;; amdgpu-corpus repo=ROCm/rocSPARSE kind=compiled arch=gfx950 opt=O3
	.amdgcn_target "amdgcn-amd-amdhsa--gfx950"
	.amdhsa_code_object_version 6
	.section	.text._ZN9rocsparseL18bsrxmvn_4x4_kernelILj128ELj4EfiifffEEvT3_20rocsparse_direction_NS_24const_host_device_scalarIT1_EES1_PKS1_PKT2_SA_S7_PKT4_PKT5_S5_PT6_21rocsparse_index_base_b,"axG",@progbits,_ZN9rocsparseL18bsrxmvn_4x4_kernelILj128ELj4EfiifffEEvT3_20rocsparse_direction_NS_24const_host_device_scalarIT1_EES1_PKS1_PKT2_SA_S7_PKT4_PKT5_S5_PT6_21rocsparse_index_base_b,comdat
	.globl	_ZN9rocsparseL18bsrxmvn_4x4_kernelILj128ELj4EfiifffEEvT3_20rocsparse_direction_NS_24const_host_device_scalarIT1_EES1_PKS1_PKT2_SA_S7_PKT4_PKT5_S5_PT6_21rocsparse_index_base_b ; -- Begin function _ZN9rocsparseL18bsrxmvn_4x4_kernelILj128ELj4EfiifffEEvT3_20rocsparse_direction_NS_24const_host_device_scalarIT1_EES1_PKS1_PKT2_SA_S7_PKT4_PKT5_S5_PT6_21rocsparse_index_base_b
	.p2align	8
	.type	_ZN9rocsparseL18bsrxmvn_4x4_kernelILj128ELj4EfiifffEEvT3_20rocsparse_direction_NS_24const_host_device_scalarIT1_EES1_PKS1_PKT2_SA_S7_PKT4_PKT5_S5_PT6_21rocsparse_index_base_b,@function
_ZN9rocsparseL18bsrxmvn_4x4_kernelILj128ELj4EfiifffEEvT3_20rocsparse_direction_NS_24const_host_device_scalarIT1_EES1_PKS1_PKT2_SA_S7_PKT4_PKT5_S5_PT6_21rocsparse_index_base_b: ; @_ZN9rocsparseL18bsrxmvn_4x4_kernelILj128ELj4EfiifffEEvT3_20rocsparse_direction_NS_24const_host_device_scalarIT1_EES1_PKS1_PKT2_SA_S7_PKT4_PKT5_S5_PT6_21rocsparse_index_base_b
; %bb.0:
	s_load_dwordx2 s[16:17], s[0:1], 0x58
	s_load_dwordx2 s[12:13], s[0:1], 0x8
	;; [unrolled: 1-line block ×3, first 2 shown]
	s_waitcnt lgkmcnt(0)
	s_bitcmp1_b32 s17, 0
	s_cselect_b64 s[6:7], -1, 0
	s_xor_b64 s[4:5], s[6:7], -1
	s_and_b64 vcc, exec, s[6:7]
	s_cbranch_vccnz .LBB0_2
; %bb.1:
	s_load_dword s12, s[12:13], 0x0
.LBB0_2:
	s_andn2_b64 vcc, exec, s[4:5]
	s_cbranch_vccnz .LBB0_4
; %bb.3:
	s_load_dword s14, s[14:15], 0x0
.LBB0_4:
	s_waitcnt lgkmcnt(0)
	v_cmp_neq_f32_e64 s[4:5], s12, 0
	v_cmp_neq_f32_e64 s[6:7], s14, 1.0
	s_or_b64 s[4:5], s[4:5], s[6:7]
	s_andn2_b64 vcc, exec, s[4:5]
	s_cbranch_vccnz .LBB0_10
; %bb.5:
	s_load_dwordx2 s[4:5], s[0:1], 0x18
	s_load_dwordx2 s[18:19], s[0:1], 0x0
	v_lshrrev_b32_e32 v1, 2, v0
	v_lshl_or_b32 v2, s2, 5, v1
	s_mov_b64 s[2:3], 0
	s_waitcnt lgkmcnt(0)
	s_cmp_lg_u64 s[4:5], 0
	s_cbranch_scc0 .LBB0_11
; %bb.6:
	s_load_dword s6, s[0:1], 0x10
                                        ; implicit-def: $vgpr1
	s_waitcnt lgkmcnt(0)
	v_cmp_gt_i32_e32 vcc, s6, v2
	s_and_saveexec_b64 s[6:7], vcc
	s_xor_b64 s[6:7], exec, s[6:7]
	s_cbranch_execz .LBB0_8
; %bb.7:
	v_ashrrev_i32_e32 v3, 31, v2
	v_lshl_add_u64 v[4:5], v[2:3], 2, s[4:5]
	global_load_dword v1, v[4:5], off
	s_mov_b64 s[2:3], exec
	s_waitcnt vmcnt(0)
	v_subrev_u32_e32 v1, s16, v1
.LBB0_8:
	s_or_b64 exec, exec, s[6:7]
	s_branch .LBB0_12
.LBB0_9:
	v_cmp_gt_i32_e32 vcc, s18, v2
	s_andn2_b64 s[2:3], s[2:3], exec
	s_and_b64 s[4:5], vcc, exec
	s_or_b64 s[2:3], s[2:3], s[4:5]
	s_and_saveexec_b64 s[4:5], s[2:3]
	s_cbranch_execnz .LBB0_13
.LBB0_10:
	s_endpgm
.LBB0_11:
                                        ; implicit-def: $vgpr1
	s_cbranch_execnz .LBB0_9
.LBB0_12:
	v_mov_b32_e32 v2, v1
	s_and_saveexec_b64 s[4:5], s[2:3]
	s_cbranch_execz .LBB0_10
.LBB0_13:
	s_load_dwordx8 s[4:11], s[0:1], 0x20
	v_ashrrev_i32_e32 v3, 31, v2
	v_lshlrev_b64 v[4:5], 2, v[2:3]
	v_and_b32_e32 v3, 3, v0
	s_waitcnt lgkmcnt(0)
	v_lshl_add_u64 v[6:7], s[4:5], 0, v[4:5]
	s_cmp_eq_u64 s[6:7], 0
	global_load_dword v15, v[6:7], off
	v_lshl_add_u64 v[6:7], v[6:7], 0, 4
	v_lshl_add_u64 v[4:5], s[6:7], 0, v[4:5]
	s_cselect_b64 vcc, -1, 0
	v_cndmask_b32_e32 v5, v5, v7, vcc
	v_cndmask_b32_e32 v4, v4, v6, vcc
	global_load_dword v1, v[4:5], off
	s_load_dwordx2 s[4:5], s[0:1], 0x40
	s_cmp_eq_u32 s19, 1
	s_waitcnt vmcnt(1)
	v_subrev_u32_e32 v0, s16, v15
	v_add_u32_e32 v0, v0, v3
	s_waitcnt vmcnt(0)
	v_subrev_u32_e32 v14, s16, v1
	v_ashrrev_i32_e32 v1, 31, v0
	v_lshlrev_b64 v[4:5], 6, v[0:1]
	v_lshl_add_u64 v[4:5], s[10:11], 0, v[4:5]
	v_cmp_lt_i32_e64 s[2:3], v0, v14
	s_cbranch_scc1 .LBB0_25
; %bb.14:
	v_mov_b32_e32 v9, 0
	v_mov_b32_e32 v8, 0
	;; [unrolled: 1-line block ×4, first 2 shown]
	s_and_saveexec_b64 s[6:7], s[2:3]
	s_cbranch_execz .LBB0_24
; %bb.15:
	v_add_u32_e32 v1, v15, v3
	v_subrev_u32_e32 v1, s16, v1
	v_add_u32_e32 v1, 4, v1
	v_max_i32_e32 v1, v1, v14
	v_not_b32_e32 v6, v15
	v_add3_u32 v1, s16, v1, v6
	v_sub_u32_e32 v1, v1, v3
	v_and_b32_e32 v6, 12, v1
	v_cmp_ne_u32_e32 vcc, 12, v6
	v_mov_b32_e32 v6, 0
	v_mov_b32_e32 v7, v6
	v_mov_b64_e32 v[8:9], v[6:7]
	v_mov_b32_e32 v10, v0
	v_mov_b64_e32 v[12:13], v[4:5]
	s_and_saveexec_b64 s[10:11], vcc
	s_cbranch_execz .LBB0_19
; %bb.16:
	v_lshrrev_b32_e32 v7, 2, v1
	v_add_u32_e32 v7, 1, v7
	v_and_b32_e32 v7, 3, v7
	v_sub_u32_e32 v16, 0, v7
	s_mov_b64 s[18:19], 0
	s_mov_b64 s[20:21], 0x100
	v_mov_b64_e32 v[12:13], v[4:5]
	v_mov_b32_e32 v10, v0
	v_mov_b32_e32 v7, v6
	;; [unrolled: 1-line block ×4, first 2 shown]
.LBB0_17:                               ; =>This Inner Loop Header: Depth=1
	v_ashrrev_i32_e32 v11, 31, v10
	v_lshl_add_u64 v[26:27], v[10:11], 2, s[8:9]
	global_load_dword v11, v[26:27], off
	global_load_dwordx4 v[32:35], v[12:13], off
	global_load_dwordx4 v[18:21], v[12:13], off offset:16
	global_load_dwordx4 v[36:39], v[12:13], off offset:32
	;; [unrolled: 1-line block ×3, first 2 shown]
	v_add_co_u32_e32 v16, vcc, 1, v16
	v_lshl_add_u64 v[12:13], v[12:13], 0, s[20:21]
	v_add_u32_e32 v10, 4, v10
	s_or_b64 s[18:19], vcc, s[18:19]
	s_waitcnt vmcnt(4)
	v_subrev_u32_e32 v11, s16, v11
	v_lshlrev_b32_e32 v26, 2, v11
	v_ashrrev_i32_e32 v27, 31, v26
	s_waitcnt lgkmcnt(0)
	v_lshl_add_u64 v[26:27], v[26:27], 2, s[4:5]
	global_load_dwordx4 v[26:29], v[26:27], off
	s_waitcnt vmcnt(4)
	v_mov_b32_e32 v30, v32
	s_waitcnt vmcnt(3)
	v_mov_b32_e32 v31, v18
	v_mov_b32_e32 v18, v33
	;; [unrolled: 1-line block ×5, first 2 shown]
	s_waitcnt vmcnt(2)
	v_mov_b32_e32 v34, v36
	s_waitcnt vmcnt(1)
	v_mov_b32_e32 v35, v22
	v_mov_b32_e32 v22, v37
	v_mov_b32_e32 v36, v38
	v_mov_b32_e32 v37, v24
	v_mov_b32_e32 v24, v39
	s_waitcnt vmcnt(0)
	v_pk_fma_f32 v[6:7], v[30:31], v[26:27], v[6:7] op_sel_hi:[1,0,1]
	v_pk_fma_f32 v[8:9], v[34:35], v[26:27], v[8:9] op_sel_hi:[1,0,1]
	v_pk_fma_f32 v[6:7], v[18:19], v[26:27], v[6:7] op_sel:[0,1,0]
	v_pk_fma_f32 v[8:9], v[22:23], v[26:27], v[8:9] op_sel:[0,1,0]
	v_mov_b32_e32 v30, v29
	v_pk_fma_f32 v[6:7], v[32:33], v[28:29], v[6:7] op_sel_hi:[1,0,1]
	v_pk_fma_f32 v[8:9], v[36:37], v[28:29], v[8:9] op_sel_hi:[1,0,1]
	;; [unrolled: 1-line block ×4, first 2 shown]
	s_andn2_b64 exec, exec, s[18:19]
	s_cbranch_execnz .LBB0_17
; %bb.18:
	s_or_b64 exec, exec, s[18:19]
.LBB0_19:
	s_or_b64 exec, exec, s[10:11]
	v_cmp_lt_u32_e32 vcc, 11, v1
	s_and_saveexec_b64 s[10:11], vcc
	s_cbranch_execz .LBB0_23
; %bb.20:
	s_mov_b64 s[18:19], 0
	s_mov_b64 s[20:21], 0x400
.LBB0_21:                               ; =>This Inner Loop Header: Depth=1
	v_ashrrev_i32_e32 v11, 31, v10
	v_lshl_add_u64 v[40:41], v[10:11], 2, s[8:9]
	global_load_dword v1, v[40:41], off
	global_load_dword v11, v[40:41], off offset:16
	global_load_dword v48, v[40:41], off offset:32
	;; [unrolled: 1-line block ×3, first 2 shown]
	global_load_dwordx4 v[74:77], v[12:13], off
	global_load_dwordx4 v[16:19], v[12:13], off offset:16
	global_load_dwordx4 v[78:81], v[12:13], off offset:32
	;; [unrolled: 1-line block ×10, first 2 shown]
                                        ; kill: killed $vgpr40_vgpr41
	global_load_dwordx4 v[94:97], v[12:13], off offset:512
	global_load_dwordx4 v[40:43], v[12:13], off offset:816
	;; [unrolled: 1-line block ×5, first 2 shown]
	v_add_u32_e32 v10, 16, v10
	v_cmp_ge_i32_e32 vcc, v10, v14
	v_lshl_add_u64 v[12:13], v[12:13], 0, s[20:21]
	s_or_b64 s[18:19], vcc, s[18:19]
	s_waitcnt vmcnt(19)
	v_subrev_u32_e32 v1, s16, v1
	s_waitcnt vmcnt(18)
	v_subrev_u32_e32 v11, s16, v11
	;; [unrolled: 2-line block ×4, first 2 shown]
	v_lshlrev_b32_e32 v48, 2, v1
	v_lshlrev_b32_e32 v50, 2, v11
	;; [unrolled: 1-line block ×4, first 2 shown]
	v_ashrrev_i32_e32 v49, 31, v48
	v_ashrrev_i32_e32 v51, 31, v50
	;; [unrolled: 1-line block ×4, first 2 shown]
	s_waitcnt lgkmcnt(0)
	v_lshl_add_u64 v[66:67], v[48:49], 2, s[4:5]
	v_lshl_add_u64 v[68:69], v[50:51], 2, s[4:5]
	;; [unrolled: 1-line block ×4, first 2 shown]
	global_load_dwordx4 v[48:51], v[66:67], off
	global_load_dwordx4 v[52:55], v[68:69], off
	global_load_dwordx4 v[56:59], v[70:71], off
	global_load_dwordx4 v[60:63], v[72:73], off
	s_waitcnt vmcnt(19)
	v_mov_b32_e32 v64, v74
	s_waitcnt vmcnt(18)
	v_mov_b32_e32 v65, v16
	;; [unrolled: 2-line block ×4, first 2 shown]
	v_mov_b32_e32 v16, v75
	v_mov_b32_e32 v20, v79
	;; [unrolled: 1-line block ×8, first 2 shown]
	s_waitcnt vmcnt(15)
	v_mov_b32_e32 v72, v82
	s_waitcnt vmcnt(14)
	v_mov_b32_e32 v73, v24
	;; [unrolled: 2-line block ×3, first 2 shown]
	v_mov_b32_e32 v77, v28
	v_mov_b32_e32 v24, v83
	;; [unrolled: 1-line block ×9, first 2 shown]
	s_waitcnt vmcnt(8)
	v_mov_b32_e32 v80, v94
	v_mov_b32_e32 v81, v36
	;; [unrolled: 1-line block ×12, first 2 shown]
	s_waitcnt vmcnt(4)
	v_mov_b32_e32 v88, v102
	v_mov_b32_e32 v89, v44
	;; [unrolled: 1-line block ×12, first 2 shown]
	s_waitcnt vmcnt(3)
	v_pk_fma_f32 v[6:7], v[64:65], v[48:49], v[6:7] op_sel_hi:[1,0,1]
	v_pk_fma_f32 v[8:9], v[66:67], v[48:49], v[8:9] op_sel_hi:[1,0,1]
	v_pk_fma_f32 v[6:7], v[16:17], v[48:49], v[6:7] op_sel:[0,1,0]
	v_pk_fma_f32 v[8:9], v[20:21], v[48:49], v[8:9] op_sel:[0,1,0]
	v_mov_b32_e32 v64, v51
	v_pk_fma_f32 v[6:7], v[68:69], v[50:51], v[6:7] op_sel_hi:[1,0,1]
	v_pk_fma_f32 v[8:9], v[70:71], v[50:51], v[8:9] op_sel_hi:[1,0,1]
	v_pk_fma_f32 v[6:7], v[18:19], v[64:65], v[6:7] op_sel_hi:[1,0,1]
	v_pk_fma_f32 v[8:9], v[22:23], v[64:65], v[8:9] op_sel_hi:[1,0,1]
	s_waitcnt vmcnt(2)
	v_pk_fma_f32 v[6:7], v[72:73], v[52:53], v[6:7] op_sel_hi:[1,0,1]
	v_pk_fma_f32 v[8:9], v[76:77], v[52:53], v[8:9] op_sel_hi:[1,0,1]
	v_pk_fma_f32 v[6:7], v[24:25], v[52:53], v[6:7] op_sel:[0,1,0]
	v_pk_fma_f32 v[8:9], v[28:29], v[52:53], v[8:9] op_sel:[0,1,0]
	v_mov_b32_e32 v66, v55
	v_pk_fma_f32 v[6:7], v[74:75], v[54:55], v[6:7] op_sel_hi:[1,0,1]
	v_pk_fma_f32 v[8:9], v[78:79], v[54:55], v[8:9] op_sel_hi:[1,0,1]
	v_pk_fma_f32 v[6:7], v[26:27], v[66:67], v[6:7] op_sel_hi:[1,0,1]
	v_pk_fma_f32 v[8:9], v[30:31], v[66:67], v[8:9] op_sel_hi:[1,0,1]
	;; [unrolled: 10-line block ×4, first 2 shown]
	s_andn2_b64 exec, exec, s[18:19]
	s_cbranch_execnz .LBB0_21
; %bb.22:
	s_or_b64 exec, exec, s[18:19]
.LBB0_23:
	s_or_b64 exec, exec, s[10:11]
.LBB0_24:
	s_or_b64 exec, exec, s[6:7]
	s_cbranch_execz .LBB0_26
	s_branch .LBB0_37
.LBB0_25:
                                        ; implicit-def: $vgpr9
                                        ; implicit-def: $vgpr7
.LBB0_26:
	v_mov_b32_e32 v9, 0
	v_mov_b32_e32 v8, 0
	;; [unrolled: 1-line block ×4, first 2 shown]
	s_and_saveexec_b64 s[6:7], s[2:3]
	s_cbranch_execz .LBB0_36
; %bb.27:
	v_add_u32_e32 v1, v15, v3
	v_subrev_u32_e32 v1, s16, v1
	v_add_u32_e32 v1, 4, v1
	v_max_i32_e32 v1, v1, v14
	v_not_b32_e32 v6, v15
	v_add3_u32 v1, s16, v1, v6
	v_sub_u32_e32 v10, v1, v3
	v_mov_b32_e32 v6, 0
	v_and_b32_e32 v1, 12, v10
	v_mov_b32_e32 v7, v6
	v_cmp_ne_u32_e32 vcc, 12, v1
	v_mov_b64_e32 v[8:9], v[6:7]
	s_and_saveexec_b64 s[2:3], vcc
	s_cbranch_execz .LBB0_31
; %bb.28:
	v_lshrrev_b32_e32 v1, 2, v10
	v_add_u32_e32 v1, 1, v1
	v_and_b32_e32 v1, 3, v1
	v_sub_u32_e32 v11, 0, v1
	s_mov_b64 s[10:11], 0
	s_mov_b64 s[18:19], 0x100
	v_mov_b32_e32 v7, v6
	v_mov_b32_e32 v8, v6
	;; [unrolled: 1-line block ×3, first 2 shown]
.LBB0_29:                               ; =>This Inner Loop Header: Depth=1
	v_ashrrev_i32_e32 v1, 31, v0
	v_lshl_add_u64 v[12:13], v[0:1], 2, s[8:9]
	global_load_dword v1, v[12:13], off
	global_load_dwordx4 v[16:19], v[4:5], off offset:16
	global_load_dwordx4 v[20:23], v[4:5], off
	v_add_co_u32_e32 v11, vcc, 1, v11
	v_add_u32_e32 v0, 4, v0
	s_or_b64 s[10:11], vcc, s[10:11]
	s_waitcnt vmcnt(2)
	v_subrev_u32_e32 v1, s16, v1
	v_lshlrev_b32_e32 v12, 2, v1
	v_ashrrev_i32_e32 v13, 31, v12
	s_waitcnt lgkmcnt(0)
	v_lshl_add_u64 v[12:13], v[12:13], 2, s[4:5]
	global_load_dwordx4 v[24:27], v[12:13], off
	global_load_dwordx4 v[28:31], v[4:5], off offset:32
	global_load_dwordx4 v[32:35], v[4:5], off offset:48
	v_lshl_add_u64 v[4:5], v[4:5], 0, s[18:19]
	s_waitcnt vmcnt(2)
	v_pk_fma_f32 v[6:7], v[20:21], v[24:25], v[6:7] op_sel_hi:[1,0,1]
	v_pk_fma_f32 v[8:9], v[22:23], v[24:25], v[8:9] op_sel_hi:[1,0,1]
	v_pk_fma_f32 v[6:7], v[16:17], v[24:25], v[6:7] op_sel:[0,1,0]
	v_pk_fma_f32 v[8:9], v[18:19], v[24:25], v[8:9] op_sel:[0,1,0]
	v_mov_b32_e32 v12, v27
	s_waitcnt vmcnt(1)
	v_pk_fma_f32 v[6:7], v[28:29], v[26:27], v[6:7] op_sel_hi:[1,0,1]
	v_pk_fma_f32 v[8:9], v[30:31], v[26:27], v[8:9] op_sel_hi:[1,0,1]
	s_waitcnt vmcnt(0)
	v_pk_fma_f32 v[6:7], v[32:33], v[12:13], v[6:7] op_sel_hi:[1,0,1]
	v_pk_fma_f32 v[8:9], v[34:35], v[12:13], v[8:9] op_sel_hi:[1,0,1]
	s_andn2_b64 exec, exec, s[10:11]
	s_cbranch_execnz .LBB0_29
; %bb.30:
	s_or_b64 exec, exec, s[10:11]
.LBB0_31:
	s_or_b64 exec, exec, s[2:3]
	v_cmp_lt_u32_e32 vcc, 11, v10
	s_and_saveexec_b64 s[2:3], vcc
	s_cbranch_execz .LBB0_35
; %bb.32:
	s_mov_b64 s[10:11], 0
	s_mov_b64 s[18:19], 0x400
.LBB0_33:                               ; =>This Inner Loop Header: Depth=1
	v_ashrrev_i32_e32 v1, 31, v0
	v_lshl_add_u64 v[56:57], v[0:1], 2, s[8:9]
	global_load_dword v1, v[56:57], off
	global_load_dword v15, v[56:57], off offset:16
	global_load_dword v68, v[56:57], off offset:32
	;; [unrolled: 1-line block ×3, first 2 shown]
	global_load_dwordx4 v[10:13], v[4:5], off offset:48
	global_load_dwordx4 v[16:19], v[4:5], off offset:32
	;; [unrolled: 1-line block ×3, first 2 shown]
	global_load_dwordx4 v[24:27], v[4:5], off
	global_load_dwordx4 v[28:31], v[4:5], off offset:304
	global_load_dwordx4 v[32:35], v[4:5], off offset:288
	;; [unrolled: 1-line block ×7, first 2 shown]
                                        ; kill: killed $vgpr56_vgpr57
	global_load_dwordx4 v[56:59], v[4:5], off offset:512
	global_load_dwordx4 v[60:63], v[4:5], off offset:784
	global_load_dwordx4 v[64:67], v[4:5], off offset:768
	v_add_u32_e32 v0, 16, v0
	v_cmp_ge_i32_e32 vcc, v0, v14
	s_or_b64 s[10:11], vcc, s[10:11]
	s_waitcnt vmcnt(17)
	v_subrev_u32_e32 v1, s16, v1
	s_waitcnt vmcnt(16)
	v_subrev_u32_e32 v15, s16, v15
	;; [unrolled: 2-line block ×4, first 2 shown]
	v_lshlrev_b32_e32 v68, 2, v1
	v_lshlrev_b32_e32 v70, 2, v15
	;; [unrolled: 1-line block ×4, first 2 shown]
	v_ashrrev_i32_e32 v69, 31, v68
	v_ashrrev_i32_e32 v71, 31, v70
	;; [unrolled: 1-line block ×4, first 2 shown]
	s_waitcnt lgkmcnt(0)
	v_lshl_add_u64 v[92:93], v[68:69], 2, s[4:5]
	v_lshl_add_u64 v[94:95], v[70:71], 2, s[4:5]
	;; [unrolled: 1-line block ×4, first 2 shown]
	global_load_dwordx4 v[68:71], v[92:93], off
	global_load_dwordx4 v[72:75], v[94:95], off
	;; [unrolled: 1-line block ×4, first 2 shown]
	global_load_dwordx4 v[84:87], v[4:5], off offset:800
	global_load_dwordx4 v[88:91], v[4:5], off offset:816
	v_lshl_add_u64 v[4:5], v[4:5], 0, s[18:19]
	s_waitcnt vmcnt(5)
	v_pk_fma_f32 v[6:7], v[24:25], v[68:69], v[6:7] op_sel_hi:[1,0,1]
	v_pk_fma_f32 v[8:9], v[26:27], v[68:69], v[8:9] op_sel_hi:[1,0,1]
	v_pk_fma_f32 v[6:7], v[20:21], v[68:69], v[6:7] op_sel:[0,1,0]
	v_pk_fma_f32 v[8:9], v[22:23], v[68:69], v[8:9] op_sel:[0,1,0]
	v_mov_b32_e32 v24, v71
	v_pk_fma_f32 v[6:7], v[16:17], v[70:71], v[6:7] op_sel_hi:[1,0,1]
	v_pk_fma_f32 v[8:9], v[18:19], v[70:71], v[8:9] op_sel_hi:[1,0,1]
	v_pk_fma_f32 v[6:7], v[10:11], v[24:25], v[6:7] op_sel_hi:[1,0,1]
	v_pk_fma_f32 v[8:9], v[12:13], v[24:25], v[8:9] op_sel_hi:[1,0,1]
	s_waitcnt vmcnt(4)
	v_pk_fma_f32 v[6:7], v[40:41], v[72:73], v[6:7] op_sel_hi:[1,0,1]
	v_pk_fma_f32 v[8:9], v[42:43], v[72:73], v[8:9] op_sel_hi:[1,0,1]
	v_pk_fma_f32 v[6:7], v[36:37], v[72:73], v[6:7] op_sel:[0,1,0]
	v_pk_fma_f32 v[8:9], v[38:39], v[72:73], v[8:9] op_sel:[0,1,0]
	v_mov_b32_e32 v26, v75
	v_pk_fma_f32 v[6:7], v[32:33], v[74:75], v[6:7] op_sel_hi:[1,0,1]
	v_pk_fma_f32 v[8:9], v[34:35], v[74:75], v[8:9] op_sel_hi:[1,0,1]
	v_pk_fma_f32 v[6:7], v[28:29], v[26:27], v[6:7] op_sel_hi:[1,0,1]
	v_pk_fma_f32 v[8:9], v[30:31], v[26:27], v[8:9] op_sel_hi:[1,0,1]
	s_waitcnt vmcnt(3)
	v_pk_fma_f32 v[6:7], v[56:57], v[76:77], v[6:7] op_sel_hi:[1,0,1]
	v_pk_fma_f32 v[8:9], v[58:59], v[76:77], v[8:9] op_sel_hi:[1,0,1]
	v_pk_fma_f32 v[6:7], v[52:53], v[76:77], v[6:7] op_sel:[0,1,0]
	v_pk_fma_f32 v[8:9], v[54:55], v[76:77], v[8:9] op_sel:[0,1,0]
	v_mov_b32_e32 v92, v79
	v_pk_fma_f32 v[6:7], v[48:49], v[78:79], v[6:7] op_sel_hi:[1,0,1]
	v_pk_fma_f32 v[8:9], v[50:51], v[78:79], v[8:9] op_sel_hi:[1,0,1]
	v_pk_fma_f32 v[6:7], v[44:45], v[92:93], v[6:7] op_sel_hi:[1,0,1]
	v_pk_fma_f32 v[8:9], v[46:47], v[92:93], v[8:9] op_sel_hi:[1,0,1]
	s_waitcnt vmcnt(2)
	v_pk_fma_f32 v[6:7], v[64:65], v[80:81], v[6:7] op_sel_hi:[1,0,1]
	v_pk_fma_f32 v[8:9], v[66:67], v[80:81], v[8:9] op_sel_hi:[1,0,1]
	v_pk_fma_f32 v[6:7], v[60:61], v[80:81], v[6:7] op_sel:[0,1,0]
	v_pk_fma_f32 v[8:9], v[62:63], v[80:81], v[8:9] op_sel:[0,1,0]
	v_mov_b32_e32 v94, v83
	s_waitcnt vmcnt(1)
	v_pk_fma_f32 v[6:7], v[84:85], v[82:83], v[6:7] op_sel_hi:[1,0,1]
	v_pk_fma_f32 v[8:9], v[86:87], v[82:83], v[8:9] op_sel_hi:[1,0,1]
	s_waitcnt vmcnt(0)
	v_pk_fma_f32 v[6:7], v[88:89], v[94:95], v[6:7] op_sel_hi:[1,0,1]
	v_pk_fma_f32 v[8:9], v[90:91], v[94:95], v[8:9] op_sel_hi:[1,0,1]
	s_andn2_b64 exec, exec, s[10:11]
	s_cbranch_execnz .LBB0_33
; %bb.34:
	s_or_b64 exec, exec, s[10:11]
.LBB0_35:
	s_or_b64 exec, exec, s[2:3]
.LBB0_36:
	s_or_b64 exec, exec, s[6:7]
.LBB0_37:
	v_mov_b32_dpp v0, v6 row_shr:1 row_mask:0xf bank_mask:0xf
	v_mov_b32_dpp v1, v7 row_shr:1 row_mask:0xf bank_mask:0xf
	v_pk_add_f32 v[0:1], v[6:7], v[0:1]
	v_mov_b32_dpp v6, v8 row_shr:1 row_mask:0xf bank_mask:0xf
	v_mov_b32_dpp v7, v9 row_shr:1 row_mask:0xf bank_mask:0xf
	v_pk_add_f32 v[6:7], v[8:9], v[6:7]
	v_mov_b32_dpp v4, v0 row_shr:2 row_mask:0xf bank_mask:0xf
	v_mov_b32_dpp v5, v1 row_shr:2 row_mask:0xf bank_mask:0xf
	v_mov_b32_dpp v8, v6 row_shr:2 row_mask:0xf bank_mask:0xf
	v_mov_b32_dpp v9, v7 row_shr:2 row_mask:0xf bank_mask:0xf
	v_cmp_eq_u32_e32 vcc, 3, v3
	s_and_b64 exec, exec, vcc
	s_cbranch_execz .LBB0_10
; %bb.38:
	s_load_dwordx2 s[0:1], s[0:1], 0x50
	v_cmp_eq_f32_e64 s[2:3], s14, 0
	v_pk_add_f32 v[4:5], v[0:1], v[4:5]
	v_pk_add_f32 v[0:1], v[6:7], v[8:9]
	s_and_b64 vcc, exec, s[2:3]
	v_lshlrev_b32_e32 v2, 2, v2
	s_cbranch_vccz .LBB0_40
; %bb.39:
	v_ashrrev_i32_e32 v3, 31, v2
	s_waitcnt lgkmcnt(0)
	v_lshl_add_u64 v[10:11], v[2:3], 2, s[0:1]
	v_pk_mul_f32 v[6:7], s[12:13], v[4:5] op_sel_hi:[0,1]
	v_pk_mul_f32 v[8:9], s[12:13], v[0:1] op_sel_hi:[0,1]
	global_store_dwordx4 v[10:11], v[6:9], off
	s_cbranch_execnz .LBB0_10
	s_branch .LBB0_41
.LBB0_40:
.LBB0_41:
	v_ashrrev_i32_e32 v3, 31, v2
	s_waitcnt lgkmcnt(0)
	v_lshl_add_u64 v[10:11], v[2:3], 2, s[0:1]
	global_load_dwordx4 v[6:9], v[10:11], off
	v_pk_mul_f32 v[2:3], s[12:13], v[4:5] op_sel_hi:[0,1]
	v_pk_mul_f32 v[4:5], s[12:13], v[0:1] op_sel_hi:[0,1]
	s_waitcnt vmcnt(0)
	v_pk_fma_f32 v[0:1], s[14:15], v[6:7], v[2:3] op_sel_hi:[0,1,1]
	v_pk_fma_f32 v[2:3], s[14:15], v[8:9], v[4:5] op_sel_hi:[0,1,1]
	global_store_dwordx4 v[10:11], v[0:3], off
	s_endpgm
	.section	.rodata,"a",@progbits
	.p2align	6, 0x0
	.amdhsa_kernel _ZN9rocsparseL18bsrxmvn_4x4_kernelILj128ELj4EfiifffEEvT3_20rocsparse_direction_NS_24const_host_device_scalarIT1_EES1_PKS1_PKT2_SA_S7_PKT4_PKT5_S5_PT6_21rocsparse_index_base_b
		.amdhsa_group_segment_fixed_size 0
		.amdhsa_private_segment_fixed_size 0
		.amdhsa_kernarg_size 96
		.amdhsa_user_sgpr_count 2
		.amdhsa_user_sgpr_dispatch_ptr 0
		.amdhsa_user_sgpr_queue_ptr 0
		.amdhsa_user_sgpr_kernarg_segment_ptr 1
		.amdhsa_user_sgpr_dispatch_id 0
		.amdhsa_user_sgpr_kernarg_preload_length 0
		.amdhsa_user_sgpr_kernarg_preload_offset 0
		.amdhsa_user_sgpr_private_segment_size 0
		.amdhsa_uses_dynamic_stack 0
		.amdhsa_enable_private_segment 0
		.amdhsa_system_sgpr_workgroup_id_x 1
		.amdhsa_system_sgpr_workgroup_id_y 0
		.amdhsa_system_sgpr_workgroup_id_z 0
		.amdhsa_system_sgpr_workgroup_info 0
		.amdhsa_system_vgpr_workitem_id 0
		.amdhsa_next_free_vgpr 106
		.amdhsa_next_free_sgpr 22
		.amdhsa_accum_offset 108
		.amdhsa_reserve_vcc 1
		.amdhsa_float_round_mode_32 0
		.amdhsa_float_round_mode_16_64 0
		.amdhsa_float_denorm_mode_32 3
		.amdhsa_float_denorm_mode_16_64 3
		.amdhsa_dx10_clamp 1
		.amdhsa_ieee_mode 1
		.amdhsa_fp16_overflow 0
		.amdhsa_tg_split 0
		.amdhsa_exception_fp_ieee_invalid_op 0
		.amdhsa_exception_fp_denorm_src 0
		.amdhsa_exception_fp_ieee_div_zero 0
		.amdhsa_exception_fp_ieee_overflow 0
		.amdhsa_exception_fp_ieee_underflow 0
		.amdhsa_exception_fp_ieee_inexact 0
		.amdhsa_exception_int_div_zero 0
	.end_amdhsa_kernel
	.section	.text._ZN9rocsparseL18bsrxmvn_4x4_kernelILj128ELj4EfiifffEEvT3_20rocsparse_direction_NS_24const_host_device_scalarIT1_EES1_PKS1_PKT2_SA_S7_PKT4_PKT5_S5_PT6_21rocsparse_index_base_b,"axG",@progbits,_ZN9rocsparseL18bsrxmvn_4x4_kernelILj128ELj4EfiifffEEvT3_20rocsparse_direction_NS_24const_host_device_scalarIT1_EES1_PKS1_PKT2_SA_S7_PKT4_PKT5_S5_PT6_21rocsparse_index_base_b,comdat
.Lfunc_end0:
	.size	_ZN9rocsparseL18bsrxmvn_4x4_kernelILj128ELj4EfiifffEEvT3_20rocsparse_direction_NS_24const_host_device_scalarIT1_EES1_PKS1_PKT2_SA_S7_PKT4_PKT5_S5_PT6_21rocsparse_index_base_b, .Lfunc_end0-_ZN9rocsparseL18bsrxmvn_4x4_kernelILj128ELj4EfiifffEEvT3_20rocsparse_direction_NS_24const_host_device_scalarIT1_EES1_PKS1_PKT2_SA_S7_PKT4_PKT5_S5_PT6_21rocsparse_index_base_b
                                        ; -- End function
	.set _ZN9rocsparseL18bsrxmvn_4x4_kernelILj128ELj4EfiifffEEvT3_20rocsparse_direction_NS_24const_host_device_scalarIT1_EES1_PKS1_PKT2_SA_S7_PKT4_PKT5_S5_PT6_21rocsparse_index_base_b.num_vgpr, 106
	.set _ZN9rocsparseL18bsrxmvn_4x4_kernelILj128ELj4EfiifffEEvT3_20rocsparse_direction_NS_24const_host_device_scalarIT1_EES1_PKS1_PKT2_SA_S7_PKT4_PKT5_S5_PT6_21rocsparse_index_base_b.num_agpr, 0
	.set _ZN9rocsparseL18bsrxmvn_4x4_kernelILj128ELj4EfiifffEEvT3_20rocsparse_direction_NS_24const_host_device_scalarIT1_EES1_PKS1_PKT2_SA_S7_PKT4_PKT5_S5_PT6_21rocsparse_index_base_b.numbered_sgpr, 22
	.set _ZN9rocsparseL18bsrxmvn_4x4_kernelILj128ELj4EfiifffEEvT3_20rocsparse_direction_NS_24const_host_device_scalarIT1_EES1_PKS1_PKT2_SA_S7_PKT4_PKT5_S5_PT6_21rocsparse_index_base_b.num_named_barrier, 0
	.set _ZN9rocsparseL18bsrxmvn_4x4_kernelILj128ELj4EfiifffEEvT3_20rocsparse_direction_NS_24const_host_device_scalarIT1_EES1_PKS1_PKT2_SA_S7_PKT4_PKT5_S5_PT6_21rocsparse_index_base_b.private_seg_size, 0
	.set _ZN9rocsparseL18bsrxmvn_4x4_kernelILj128ELj4EfiifffEEvT3_20rocsparse_direction_NS_24const_host_device_scalarIT1_EES1_PKS1_PKT2_SA_S7_PKT4_PKT5_S5_PT6_21rocsparse_index_base_b.uses_vcc, 1
	.set _ZN9rocsparseL18bsrxmvn_4x4_kernelILj128ELj4EfiifffEEvT3_20rocsparse_direction_NS_24const_host_device_scalarIT1_EES1_PKS1_PKT2_SA_S7_PKT4_PKT5_S5_PT6_21rocsparse_index_base_b.uses_flat_scratch, 0
	.set _ZN9rocsparseL18bsrxmvn_4x4_kernelILj128ELj4EfiifffEEvT3_20rocsparse_direction_NS_24const_host_device_scalarIT1_EES1_PKS1_PKT2_SA_S7_PKT4_PKT5_S5_PT6_21rocsparse_index_base_b.has_dyn_sized_stack, 0
	.set _ZN9rocsparseL18bsrxmvn_4x4_kernelILj128ELj4EfiifffEEvT3_20rocsparse_direction_NS_24const_host_device_scalarIT1_EES1_PKS1_PKT2_SA_S7_PKT4_PKT5_S5_PT6_21rocsparse_index_base_b.has_recursion, 0
	.set _ZN9rocsparseL18bsrxmvn_4x4_kernelILj128ELj4EfiifffEEvT3_20rocsparse_direction_NS_24const_host_device_scalarIT1_EES1_PKS1_PKT2_SA_S7_PKT4_PKT5_S5_PT6_21rocsparse_index_base_b.has_indirect_call, 0
	.section	.AMDGPU.csdata,"",@progbits
; Kernel info:
; codeLenInByte = 2948
; TotalNumSgprs: 28
; NumVgprs: 106
; NumAgprs: 0
; TotalNumVgprs: 106
; ScratchSize: 0
; MemoryBound: 1
; FloatMode: 240
; IeeeMode: 1
; LDSByteSize: 0 bytes/workgroup (compile time only)
; SGPRBlocks: 3
; VGPRBlocks: 13
; NumSGPRsForWavesPerEU: 28
; NumVGPRsForWavesPerEU: 106
; AccumOffset: 108
; Occupancy: 4
; WaveLimiterHint : 1
; COMPUTE_PGM_RSRC2:SCRATCH_EN: 0
; COMPUTE_PGM_RSRC2:USER_SGPR: 2
; COMPUTE_PGM_RSRC2:TRAP_HANDLER: 0
; COMPUTE_PGM_RSRC2:TGID_X_EN: 1
; COMPUTE_PGM_RSRC2:TGID_Y_EN: 0
; COMPUTE_PGM_RSRC2:TGID_Z_EN: 0
; COMPUTE_PGM_RSRC2:TIDIG_COMP_CNT: 0
; COMPUTE_PGM_RSRC3_GFX90A:ACCUM_OFFSET: 26
; COMPUTE_PGM_RSRC3_GFX90A:TG_SPLIT: 0
	.section	.text._ZN9rocsparseL18bsrxmvn_4x4_kernelILj128ELj8EfiifffEEvT3_20rocsparse_direction_NS_24const_host_device_scalarIT1_EES1_PKS1_PKT2_SA_S7_PKT4_PKT5_S5_PT6_21rocsparse_index_base_b,"axG",@progbits,_ZN9rocsparseL18bsrxmvn_4x4_kernelILj128ELj8EfiifffEEvT3_20rocsparse_direction_NS_24const_host_device_scalarIT1_EES1_PKS1_PKT2_SA_S7_PKT4_PKT5_S5_PT6_21rocsparse_index_base_b,comdat
	.globl	_ZN9rocsparseL18bsrxmvn_4x4_kernelILj128ELj8EfiifffEEvT3_20rocsparse_direction_NS_24const_host_device_scalarIT1_EES1_PKS1_PKT2_SA_S7_PKT4_PKT5_S5_PT6_21rocsparse_index_base_b ; -- Begin function _ZN9rocsparseL18bsrxmvn_4x4_kernelILj128ELj8EfiifffEEvT3_20rocsparse_direction_NS_24const_host_device_scalarIT1_EES1_PKS1_PKT2_SA_S7_PKT4_PKT5_S5_PT6_21rocsparse_index_base_b
	.p2align	8
	.type	_ZN9rocsparseL18bsrxmvn_4x4_kernelILj128ELj8EfiifffEEvT3_20rocsparse_direction_NS_24const_host_device_scalarIT1_EES1_PKS1_PKT2_SA_S7_PKT4_PKT5_S5_PT6_21rocsparse_index_base_b,@function
_ZN9rocsparseL18bsrxmvn_4x4_kernelILj128ELj8EfiifffEEvT3_20rocsparse_direction_NS_24const_host_device_scalarIT1_EES1_PKS1_PKT2_SA_S7_PKT4_PKT5_S5_PT6_21rocsparse_index_base_b: ; @_ZN9rocsparseL18bsrxmvn_4x4_kernelILj128ELj8EfiifffEEvT3_20rocsparse_direction_NS_24const_host_device_scalarIT1_EES1_PKS1_PKT2_SA_S7_PKT4_PKT5_S5_PT6_21rocsparse_index_base_b
; %bb.0:
	s_load_dwordx2 s[16:17], s[0:1], 0x58
	s_load_dwordx2 s[12:13], s[0:1], 0x8
	;; [unrolled: 1-line block ×3, first 2 shown]
	s_waitcnt lgkmcnt(0)
	s_bitcmp1_b32 s17, 0
	s_cselect_b64 s[6:7], -1, 0
	s_xor_b64 s[4:5], s[6:7], -1
	s_and_b64 vcc, exec, s[6:7]
	s_cbranch_vccnz .LBB1_2
; %bb.1:
	s_load_dword s12, s[12:13], 0x0
.LBB1_2:
	s_andn2_b64 vcc, exec, s[4:5]
	s_cbranch_vccnz .LBB1_4
; %bb.3:
	s_load_dword s14, s[14:15], 0x0
.LBB1_4:
	s_waitcnt lgkmcnt(0)
	v_cmp_neq_f32_e64 s[4:5], s12, 0
	v_cmp_neq_f32_e64 s[6:7], s14, 1.0
	s_or_b64 s[4:5], s[4:5], s[6:7]
	s_andn2_b64 vcc, exec, s[4:5]
	s_cbranch_vccnz .LBB1_10
; %bb.5:
	s_load_dwordx2 s[4:5], s[0:1], 0x18
	s_load_dwordx2 s[18:19], s[0:1], 0x0
	v_lshrrev_b32_e32 v1, 3, v0
	v_lshl_or_b32 v2, s2, 4, v1
	s_mov_b64 s[2:3], 0
	s_waitcnt lgkmcnt(0)
	s_cmp_lg_u64 s[4:5], 0
	s_cbranch_scc0 .LBB1_11
; %bb.6:
	s_load_dword s6, s[0:1], 0x10
                                        ; implicit-def: $vgpr1
	s_waitcnt lgkmcnt(0)
	v_cmp_gt_i32_e32 vcc, s6, v2
	s_and_saveexec_b64 s[6:7], vcc
	s_xor_b64 s[6:7], exec, s[6:7]
	s_cbranch_execz .LBB1_8
; %bb.7:
	v_ashrrev_i32_e32 v3, 31, v2
	v_lshl_add_u64 v[4:5], v[2:3], 2, s[4:5]
	global_load_dword v1, v[4:5], off
	s_mov_b64 s[2:3], exec
	s_waitcnt vmcnt(0)
	v_subrev_u32_e32 v1, s16, v1
.LBB1_8:
	s_or_b64 exec, exec, s[6:7]
	s_branch .LBB1_12
.LBB1_9:
	v_cmp_gt_i32_e32 vcc, s18, v2
	s_andn2_b64 s[2:3], s[2:3], exec
	s_and_b64 s[4:5], vcc, exec
	s_or_b64 s[2:3], s[2:3], s[4:5]
	s_and_saveexec_b64 s[4:5], s[2:3]
	s_cbranch_execnz .LBB1_13
.LBB1_10:
	s_endpgm
.LBB1_11:
                                        ; implicit-def: $vgpr1
	s_cbranch_execnz .LBB1_9
.LBB1_12:
	v_mov_b32_e32 v2, v1
	s_and_saveexec_b64 s[4:5], s[2:3]
	s_cbranch_execz .LBB1_10
.LBB1_13:
	s_load_dwordx8 s[4:11], s[0:1], 0x20
	v_ashrrev_i32_e32 v3, 31, v2
	v_lshlrev_b64 v[4:5], 2, v[2:3]
	v_and_b32_e32 v3, 7, v0
	s_waitcnt lgkmcnt(0)
	v_lshl_add_u64 v[6:7], s[4:5], 0, v[4:5]
	s_cmp_eq_u64 s[6:7], 0
	global_load_dword v15, v[6:7], off
	v_lshl_add_u64 v[6:7], v[6:7], 0, 4
	v_lshl_add_u64 v[4:5], s[6:7], 0, v[4:5]
	s_cselect_b64 vcc, -1, 0
	v_cndmask_b32_e32 v5, v5, v7, vcc
	v_cndmask_b32_e32 v4, v4, v6, vcc
	global_load_dword v1, v[4:5], off
	s_load_dwordx2 s[4:5], s[0:1], 0x40
	s_cmp_eq_u32 s19, 1
	s_waitcnt vmcnt(1)
	v_subrev_u32_e32 v0, s16, v15
	v_add_u32_e32 v0, v0, v3
	s_waitcnt vmcnt(0)
	v_subrev_u32_e32 v14, s16, v1
	v_ashrrev_i32_e32 v1, 31, v0
	v_lshlrev_b64 v[4:5], 6, v[0:1]
	v_lshl_add_u64 v[4:5], s[10:11], 0, v[4:5]
	v_cmp_lt_i32_e64 s[2:3], v0, v14
	s_cbranch_scc1 .LBB1_25
; %bb.14:
	v_mov_b32_e32 v9, 0
	v_mov_b32_e32 v8, 0
	;; [unrolled: 1-line block ×4, first 2 shown]
	s_and_saveexec_b64 s[6:7], s[2:3]
	s_cbranch_execz .LBB1_24
; %bb.15:
	v_add_u32_e32 v1, v15, v3
	v_subrev_u32_e32 v1, s16, v1
	v_add_u32_e32 v1, 8, v1
	v_max_i32_e32 v1, v1, v14
	v_not_b32_e32 v6, v15
	v_add3_u32 v1, s16, v1, v6
	v_sub_u32_e32 v1, v1, v3
	v_and_b32_e32 v6, 24, v1
	v_cmp_ne_u32_e32 vcc, 24, v6
	v_mov_b32_e32 v6, 0
	v_mov_b32_e32 v7, v6
	v_mov_b64_e32 v[8:9], v[6:7]
	v_mov_b32_e32 v10, v0
	v_mov_b64_e32 v[12:13], v[4:5]
	s_and_saveexec_b64 s[10:11], vcc
	s_cbranch_execz .LBB1_19
; %bb.16:
	v_lshrrev_b32_e32 v7, 3, v1
	v_add_u32_e32 v7, 1, v7
	v_and_b32_e32 v7, 3, v7
	v_sub_u32_e32 v16, 0, v7
	s_mov_b64 s[18:19], 0
	s_mov_b64 s[20:21], 0x200
	v_mov_b64_e32 v[12:13], v[4:5]
	v_mov_b32_e32 v10, v0
	v_mov_b32_e32 v7, v6
	;; [unrolled: 1-line block ×4, first 2 shown]
.LBB1_17:                               ; =>This Inner Loop Header: Depth=1
	v_ashrrev_i32_e32 v11, 31, v10
	v_lshl_add_u64 v[26:27], v[10:11], 2, s[8:9]
	global_load_dword v11, v[26:27], off
	global_load_dwordx4 v[32:35], v[12:13], off
	global_load_dwordx4 v[18:21], v[12:13], off offset:16
	global_load_dwordx4 v[36:39], v[12:13], off offset:32
	;; [unrolled: 1-line block ×3, first 2 shown]
	v_add_co_u32_e32 v16, vcc, 1, v16
	v_lshl_add_u64 v[12:13], v[12:13], 0, s[20:21]
	v_add_u32_e32 v10, 8, v10
	s_or_b64 s[18:19], vcc, s[18:19]
	s_waitcnt vmcnt(4)
	v_subrev_u32_e32 v11, s16, v11
	v_lshlrev_b32_e32 v26, 2, v11
	v_ashrrev_i32_e32 v27, 31, v26
	s_waitcnt lgkmcnt(0)
	v_lshl_add_u64 v[26:27], v[26:27], 2, s[4:5]
	global_load_dwordx4 v[26:29], v[26:27], off
	s_waitcnt vmcnt(4)
	v_mov_b32_e32 v30, v32
	s_waitcnt vmcnt(3)
	v_mov_b32_e32 v31, v18
	v_mov_b32_e32 v18, v33
	;; [unrolled: 1-line block ×5, first 2 shown]
	s_waitcnt vmcnt(2)
	v_mov_b32_e32 v34, v36
	s_waitcnt vmcnt(1)
	v_mov_b32_e32 v35, v22
	v_mov_b32_e32 v22, v37
	;; [unrolled: 1-line block ×5, first 2 shown]
	s_waitcnt vmcnt(0)
	v_pk_fma_f32 v[6:7], v[30:31], v[26:27], v[6:7] op_sel_hi:[1,0,1]
	v_pk_fma_f32 v[8:9], v[34:35], v[26:27], v[8:9] op_sel_hi:[1,0,1]
	v_pk_fma_f32 v[6:7], v[18:19], v[26:27], v[6:7] op_sel:[0,1,0]
	v_pk_fma_f32 v[8:9], v[22:23], v[26:27], v[8:9] op_sel:[0,1,0]
	v_mov_b32_e32 v30, v29
	v_pk_fma_f32 v[6:7], v[32:33], v[28:29], v[6:7] op_sel_hi:[1,0,1]
	v_pk_fma_f32 v[8:9], v[36:37], v[28:29], v[8:9] op_sel_hi:[1,0,1]
	;; [unrolled: 1-line block ×4, first 2 shown]
	s_andn2_b64 exec, exec, s[18:19]
	s_cbranch_execnz .LBB1_17
; %bb.18:
	s_or_b64 exec, exec, s[18:19]
.LBB1_19:
	s_or_b64 exec, exec, s[10:11]
	v_cmp_lt_u32_e32 vcc, 23, v1
	s_and_saveexec_b64 s[10:11], vcc
	s_cbranch_execz .LBB1_23
; %bb.20:
	s_mov_b64 s[18:19], 0
	s_mov_b64 s[20:21], 0x800
.LBB1_21:                               ; =>This Inner Loop Header: Depth=1
	v_ashrrev_i32_e32 v11, 31, v10
	v_lshl_add_u64 v[40:41], v[10:11], 2, s[8:9]
	global_load_dword v1, v[40:41], off
	global_load_dword v11, v[40:41], off offset:32
	global_load_dword v48, v[40:41], off offset:64
	;; [unrolled: 1-line block ×3, first 2 shown]
	global_load_dwordx4 v[74:77], v[12:13], off
	global_load_dwordx4 v[16:19], v[12:13], off offset:16
	global_load_dwordx4 v[78:81], v[12:13], off offset:32
	;; [unrolled: 1-line block ×10, first 2 shown]
                                        ; kill: killed $vgpr40_vgpr41
	global_load_dwordx4 v[94:97], v[12:13], off offset:1024
	global_load_dwordx4 v[40:43], v[12:13], off offset:1584
	;; [unrolled: 1-line block ×5, first 2 shown]
	v_add_u32_e32 v10, 32, v10
	v_cmp_ge_i32_e32 vcc, v10, v14
	v_lshl_add_u64 v[12:13], v[12:13], 0, s[20:21]
	s_or_b64 s[18:19], vcc, s[18:19]
	s_waitcnt vmcnt(19)
	v_subrev_u32_e32 v1, s16, v1
	s_waitcnt vmcnt(18)
	v_subrev_u32_e32 v11, s16, v11
	;; [unrolled: 2-line block ×4, first 2 shown]
	v_lshlrev_b32_e32 v48, 2, v1
	v_lshlrev_b32_e32 v50, 2, v11
	v_lshlrev_b32_e32 v52, 2, v51
	v_lshlrev_b32_e32 v54, 2, v49
	v_ashrrev_i32_e32 v49, 31, v48
	v_ashrrev_i32_e32 v51, 31, v50
	;; [unrolled: 1-line block ×4, first 2 shown]
	s_waitcnt lgkmcnt(0)
	v_lshl_add_u64 v[66:67], v[48:49], 2, s[4:5]
	v_lshl_add_u64 v[68:69], v[50:51], 2, s[4:5]
	;; [unrolled: 1-line block ×4, first 2 shown]
	global_load_dwordx4 v[48:51], v[66:67], off
	global_load_dwordx4 v[52:55], v[68:69], off
	;; [unrolled: 1-line block ×4, first 2 shown]
	s_waitcnt vmcnt(19)
	v_mov_b32_e32 v64, v74
	s_waitcnt vmcnt(18)
	v_mov_b32_e32 v65, v16
	;; [unrolled: 2-line block ×4, first 2 shown]
	v_mov_b32_e32 v16, v75
	v_mov_b32_e32 v20, v79
	;; [unrolled: 1-line block ×8, first 2 shown]
	s_waitcnt vmcnt(15)
	v_mov_b32_e32 v72, v82
	s_waitcnt vmcnt(14)
	v_mov_b32_e32 v73, v24
	;; [unrolled: 2-line block ×3, first 2 shown]
	v_mov_b32_e32 v77, v28
	v_mov_b32_e32 v24, v83
	;; [unrolled: 1-line block ×9, first 2 shown]
	s_waitcnt vmcnt(8)
	v_mov_b32_e32 v80, v94
	v_mov_b32_e32 v81, v36
	;; [unrolled: 1-line block ×12, first 2 shown]
	s_waitcnt vmcnt(4)
	v_mov_b32_e32 v88, v102
	v_mov_b32_e32 v89, v44
	;; [unrolled: 1-line block ×12, first 2 shown]
	s_waitcnt vmcnt(3)
	v_pk_fma_f32 v[6:7], v[64:65], v[48:49], v[6:7] op_sel_hi:[1,0,1]
	v_pk_fma_f32 v[8:9], v[66:67], v[48:49], v[8:9] op_sel_hi:[1,0,1]
	v_pk_fma_f32 v[6:7], v[16:17], v[48:49], v[6:7] op_sel:[0,1,0]
	v_pk_fma_f32 v[8:9], v[20:21], v[48:49], v[8:9] op_sel:[0,1,0]
	v_mov_b32_e32 v64, v51
	v_pk_fma_f32 v[6:7], v[68:69], v[50:51], v[6:7] op_sel_hi:[1,0,1]
	v_pk_fma_f32 v[8:9], v[70:71], v[50:51], v[8:9] op_sel_hi:[1,0,1]
	v_pk_fma_f32 v[6:7], v[18:19], v[64:65], v[6:7] op_sel_hi:[1,0,1]
	v_pk_fma_f32 v[8:9], v[22:23], v[64:65], v[8:9] op_sel_hi:[1,0,1]
	s_waitcnt vmcnt(2)
	v_pk_fma_f32 v[6:7], v[72:73], v[52:53], v[6:7] op_sel_hi:[1,0,1]
	v_pk_fma_f32 v[8:9], v[76:77], v[52:53], v[8:9] op_sel_hi:[1,0,1]
	v_pk_fma_f32 v[6:7], v[24:25], v[52:53], v[6:7] op_sel:[0,1,0]
	v_pk_fma_f32 v[8:9], v[28:29], v[52:53], v[8:9] op_sel:[0,1,0]
	v_mov_b32_e32 v66, v55
	v_pk_fma_f32 v[6:7], v[74:75], v[54:55], v[6:7] op_sel_hi:[1,0,1]
	v_pk_fma_f32 v[8:9], v[78:79], v[54:55], v[8:9] op_sel_hi:[1,0,1]
	v_pk_fma_f32 v[6:7], v[26:27], v[66:67], v[6:7] op_sel_hi:[1,0,1]
	v_pk_fma_f32 v[8:9], v[30:31], v[66:67], v[8:9] op_sel_hi:[1,0,1]
	;; [unrolled: 10-line block ×4, first 2 shown]
	s_andn2_b64 exec, exec, s[18:19]
	s_cbranch_execnz .LBB1_21
; %bb.22:
	s_or_b64 exec, exec, s[18:19]
.LBB1_23:
	s_or_b64 exec, exec, s[10:11]
.LBB1_24:
	s_or_b64 exec, exec, s[6:7]
	s_cbranch_execz .LBB1_26
	s_branch .LBB1_37
.LBB1_25:
                                        ; implicit-def: $vgpr9
                                        ; implicit-def: $vgpr7
.LBB1_26:
	v_mov_b32_e32 v9, 0
	v_mov_b32_e32 v8, 0
	;; [unrolled: 1-line block ×4, first 2 shown]
	s_and_saveexec_b64 s[6:7], s[2:3]
	s_cbranch_execz .LBB1_36
; %bb.27:
	v_add_u32_e32 v1, v15, v3
	v_subrev_u32_e32 v1, s16, v1
	v_add_u32_e32 v1, 8, v1
	v_max_i32_e32 v1, v1, v14
	v_not_b32_e32 v6, v15
	v_add3_u32 v1, s16, v1, v6
	v_sub_u32_e32 v10, v1, v3
	v_mov_b32_e32 v6, 0
	v_and_b32_e32 v1, 24, v10
	v_mov_b32_e32 v7, v6
	v_cmp_ne_u32_e32 vcc, 24, v1
	v_mov_b64_e32 v[8:9], v[6:7]
	s_and_saveexec_b64 s[2:3], vcc
	s_cbranch_execz .LBB1_31
; %bb.28:
	v_lshrrev_b32_e32 v1, 3, v10
	v_add_u32_e32 v1, 1, v1
	v_and_b32_e32 v1, 3, v1
	v_sub_u32_e32 v11, 0, v1
	s_mov_b64 s[10:11], 0
	s_mov_b64 s[18:19], 0x200
	v_mov_b32_e32 v7, v6
	v_mov_b32_e32 v8, v6
	;; [unrolled: 1-line block ×3, first 2 shown]
.LBB1_29:                               ; =>This Inner Loop Header: Depth=1
	v_ashrrev_i32_e32 v1, 31, v0
	v_lshl_add_u64 v[12:13], v[0:1], 2, s[8:9]
	global_load_dword v1, v[12:13], off
	global_load_dwordx4 v[16:19], v[4:5], off offset:16
	global_load_dwordx4 v[20:23], v[4:5], off
	v_add_co_u32_e32 v11, vcc, 1, v11
	v_add_u32_e32 v0, 8, v0
	s_or_b64 s[10:11], vcc, s[10:11]
	s_waitcnt vmcnt(2)
	v_subrev_u32_e32 v1, s16, v1
	v_lshlrev_b32_e32 v12, 2, v1
	v_ashrrev_i32_e32 v13, 31, v12
	s_waitcnt lgkmcnt(0)
	v_lshl_add_u64 v[12:13], v[12:13], 2, s[4:5]
	global_load_dwordx4 v[24:27], v[12:13], off
	global_load_dwordx4 v[28:31], v[4:5], off offset:32
	global_load_dwordx4 v[32:35], v[4:5], off offset:48
	v_lshl_add_u64 v[4:5], v[4:5], 0, s[18:19]
	s_waitcnt vmcnt(2)
	v_pk_fma_f32 v[6:7], v[20:21], v[24:25], v[6:7] op_sel_hi:[1,0,1]
	v_pk_fma_f32 v[8:9], v[22:23], v[24:25], v[8:9] op_sel_hi:[1,0,1]
	v_pk_fma_f32 v[6:7], v[16:17], v[24:25], v[6:7] op_sel:[0,1,0]
	v_pk_fma_f32 v[8:9], v[18:19], v[24:25], v[8:9] op_sel:[0,1,0]
	v_mov_b32_e32 v12, v27
	s_waitcnt vmcnt(1)
	v_pk_fma_f32 v[6:7], v[28:29], v[26:27], v[6:7] op_sel_hi:[1,0,1]
	v_pk_fma_f32 v[8:9], v[30:31], v[26:27], v[8:9] op_sel_hi:[1,0,1]
	s_waitcnt vmcnt(0)
	v_pk_fma_f32 v[6:7], v[32:33], v[12:13], v[6:7] op_sel_hi:[1,0,1]
	v_pk_fma_f32 v[8:9], v[34:35], v[12:13], v[8:9] op_sel_hi:[1,0,1]
	s_andn2_b64 exec, exec, s[10:11]
	s_cbranch_execnz .LBB1_29
; %bb.30:
	s_or_b64 exec, exec, s[10:11]
.LBB1_31:
	s_or_b64 exec, exec, s[2:3]
	v_cmp_lt_u32_e32 vcc, 23, v10
	s_and_saveexec_b64 s[2:3], vcc
	s_cbranch_execz .LBB1_35
; %bb.32:
	s_mov_b64 s[10:11], 0
	s_mov_b64 s[18:19], 0x800
.LBB1_33:                               ; =>This Inner Loop Header: Depth=1
	v_ashrrev_i32_e32 v1, 31, v0
	v_lshl_add_u64 v[56:57], v[0:1], 2, s[8:9]
	global_load_dword v1, v[56:57], off
	global_load_dword v15, v[56:57], off offset:32
	global_load_dword v68, v[56:57], off offset:64
	;; [unrolled: 1-line block ×3, first 2 shown]
	global_load_dwordx4 v[10:13], v[4:5], off offset:48
	global_load_dwordx4 v[16:19], v[4:5], off offset:32
	;; [unrolled: 1-line block ×3, first 2 shown]
	global_load_dwordx4 v[24:27], v[4:5], off
	global_load_dwordx4 v[28:31], v[4:5], off offset:560
	global_load_dwordx4 v[32:35], v[4:5], off offset:544
	;; [unrolled: 1-line block ×7, first 2 shown]
                                        ; kill: killed $vgpr56_vgpr57
	global_load_dwordx4 v[56:59], v[4:5], off offset:1024
	global_load_dwordx4 v[60:63], v[4:5], off offset:1552
	;; [unrolled: 1-line block ×3, first 2 shown]
	v_add_u32_e32 v0, 32, v0
	v_cmp_ge_i32_e32 vcc, v0, v14
	s_or_b64 s[10:11], vcc, s[10:11]
	s_waitcnt vmcnt(17)
	v_subrev_u32_e32 v1, s16, v1
	s_waitcnt vmcnt(16)
	v_subrev_u32_e32 v15, s16, v15
	;; [unrolled: 2-line block ×4, first 2 shown]
	v_lshlrev_b32_e32 v68, 2, v1
	v_lshlrev_b32_e32 v70, 2, v15
	;; [unrolled: 1-line block ×4, first 2 shown]
	v_ashrrev_i32_e32 v69, 31, v68
	v_ashrrev_i32_e32 v71, 31, v70
	;; [unrolled: 1-line block ×4, first 2 shown]
	s_waitcnt lgkmcnt(0)
	v_lshl_add_u64 v[92:93], v[68:69], 2, s[4:5]
	v_lshl_add_u64 v[94:95], v[70:71], 2, s[4:5]
	v_lshl_add_u64 v[96:97], v[72:73], 2, s[4:5]
	v_lshl_add_u64 v[98:99], v[74:75], 2, s[4:5]
	global_load_dwordx4 v[68:71], v[92:93], off
	global_load_dwordx4 v[72:75], v[94:95], off
	;; [unrolled: 1-line block ×4, first 2 shown]
	global_load_dwordx4 v[84:87], v[4:5], off offset:1568
	global_load_dwordx4 v[88:91], v[4:5], off offset:1584
	v_lshl_add_u64 v[4:5], v[4:5], 0, s[18:19]
	s_waitcnt vmcnt(5)
	v_pk_fma_f32 v[6:7], v[24:25], v[68:69], v[6:7] op_sel_hi:[1,0,1]
	v_pk_fma_f32 v[8:9], v[26:27], v[68:69], v[8:9] op_sel_hi:[1,0,1]
	v_pk_fma_f32 v[6:7], v[20:21], v[68:69], v[6:7] op_sel:[0,1,0]
	v_pk_fma_f32 v[8:9], v[22:23], v[68:69], v[8:9] op_sel:[0,1,0]
	v_mov_b32_e32 v24, v71
	v_pk_fma_f32 v[6:7], v[16:17], v[70:71], v[6:7] op_sel_hi:[1,0,1]
	v_pk_fma_f32 v[8:9], v[18:19], v[70:71], v[8:9] op_sel_hi:[1,0,1]
	v_pk_fma_f32 v[6:7], v[10:11], v[24:25], v[6:7] op_sel_hi:[1,0,1]
	v_pk_fma_f32 v[8:9], v[12:13], v[24:25], v[8:9] op_sel_hi:[1,0,1]
	s_waitcnt vmcnt(4)
	v_pk_fma_f32 v[6:7], v[40:41], v[72:73], v[6:7] op_sel_hi:[1,0,1]
	v_pk_fma_f32 v[8:9], v[42:43], v[72:73], v[8:9] op_sel_hi:[1,0,1]
	v_pk_fma_f32 v[6:7], v[36:37], v[72:73], v[6:7] op_sel:[0,1,0]
	v_pk_fma_f32 v[8:9], v[38:39], v[72:73], v[8:9] op_sel:[0,1,0]
	v_mov_b32_e32 v26, v75
	v_pk_fma_f32 v[6:7], v[32:33], v[74:75], v[6:7] op_sel_hi:[1,0,1]
	v_pk_fma_f32 v[8:9], v[34:35], v[74:75], v[8:9] op_sel_hi:[1,0,1]
	v_pk_fma_f32 v[6:7], v[28:29], v[26:27], v[6:7] op_sel_hi:[1,0,1]
	v_pk_fma_f32 v[8:9], v[30:31], v[26:27], v[8:9] op_sel_hi:[1,0,1]
	;; [unrolled: 10-line block ×3, first 2 shown]
	s_waitcnt vmcnt(2)
	v_pk_fma_f32 v[6:7], v[64:65], v[80:81], v[6:7] op_sel_hi:[1,0,1]
	v_pk_fma_f32 v[8:9], v[66:67], v[80:81], v[8:9] op_sel_hi:[1,0,1]
	v_pk_fma_f32 v[6:7], v[60:61], v[80:81], v[6:7] op_sel:[0,1,0]
	v_pk_fma_f32 v[8:9], v[62:63], v[80:81], v[8:9] op_sel:[0,1,0]
	v_mov_b32_e32 v94, v83
	s_waitcnt vmcnt(1)
	v_pk_fma_f32 v[6:7], v[84:85], v[82:83], v[6:7] op_sel_hi:[1,0,1]
	v_pk_fma_f32 v[8:9], v[86:87], v[82:83], v[8:9] op_sel_hi:[1,0,1]
	s_waitcnt vmcnt(0)
	v_pk_fma_f32 v[6:7], v[88:89], v[94:95], v[6:7] op_sel_hi:[1,0,1]
	v_pk_fma_f32 v[8:9], v[90:91], v[94:95], v[8:9] op_sel_hi:[1,0,1]
	s_andn2_b64 exec, exec, s[10:11]
	s_cbranch_execnz .LBB1_33
; %bb.34:
	s_or_b64 exec, exec, s[10:11]
.LBB1_35:
	s_or_b64 exec, exec, s[2:3]
.LBB1_36:
	s_or_b64 exec, exec, s[6:7]
.LBB1_37:
	v_mov_b32_dpp v0, v6 row_shr:1 row_mask:0xf bank_mask:0xf
	v_mov_b32_dpp v1, v7 row_shr:1 row_mask:0xf bank_mask:0xf
	v_pk_add_f32 v[0:1], v[6:7], v[0:1]
	v_mov_b32_dpp v6, v8 row_shr:1 row_mask:0xf bank_mask:0xf
	v_mov_b32_dpp v7, v9 row_shr:1 row_mask:0xf bank_mask:0xf
	v_pk_add_f32 v[6:7], v[8:9], v[6:7]
	v_mov_b32_dpp v4, v0 row_shr:2 row_mask:0xf bank_mask:0xf
	v_mov_b32_dpp v5, v1 row_shr:2 row_mask:0xf bank_mask:0xf
	;; [unrolled: 1-line block ×4, first 2 shown]
	v_pk_add_f32 v[0:1], v[0:1], v[4:5]
	v_pk_add_f32 v[6:7], v[6:7], v[8:9]
	v_cmp_eq_u32_e32 vcc, 7, v3
	v_mov_b32_dpp v4, v0 row_shr:4 row_mask:0xf bank_mask:0xe
	v_mov_b32_dpp v5, v1 row_shr:4 row_mask:0xf bank_mask:0xe
	;; [unrolled: 1-line block ×4, first 2 shown]
	s_and_b64 exec, exec, vcc
	s_cbranch_execz .LBB1_10
; %bb.38:
	s_load_dwordx2 s[0:1], s[0:1], 0x50
	v_cmp_eq_f32_e64 s[2:3], s14, 0
	v_pk_add_f32 v[4:5], v[0:1], v[4:5]
	v_pk_add_f32 v[0:1], v[6:7], v[8:9]
	s_and_b64 vcc, exec, s[2:3]
	v_lshlrev_b32_e32 v2, 2, v2
	s_cbranch_vccz .LBB1_40
; %bb.39:
	v_ashrrev_i32_e32 v3, 31, v2
	s_waitcnt lgkmcnt(0)
	v_lshl_add_u64 v[10:11], v[2:3], 2, s[0:1]
	v_pk_mul_f32 v[6:7], s[12:13], v[4:5] op_sel_hi:[0,1]
	v_pk_mul_f32 v[8:9], s[12:13], v[0:1] op_sel_hi:[0,1]
	global_store_dwordx4 v[10:11], v[6:9], off
	s_cbranch_execnz .LBB1_10
	s_branch .LBB1_41
.LBB1_40:
.LBB1_41:
	v_ashrrev_i32_e32 v3, 31, v2
	s_waitcnt lgkmcnt(0)
	v_lshl_add_u64 v[10:11], v[2:3], 2, s[0:1]
	global_load_dwordx4 v[6:9], v[10:11], off
	v_pk_mul_f32 v[2:3], s[12:13], v[4:5] op_sel_hi:[0,1]
	v_pk_mul_f32 v[4:5], s[12:13], v[0:1] op_sel_hi:[0,1]
	s_waitcnt vmcnt(0)
	v_pk_fma_f32 v[0:1], s[14:15], v[6:7], v[2:3] op_sel_hi:[0,1,1]
	v_pk_fma_f32 v[2:3], s[14:15], v[8:9], v[4:5] op_sel_hi:[0,1,1]
	global_store_dwordx4 v[10:11], v[0:3], off
	s_endpgm
	.section	.rodata,"a",@progbits
	.p2align	6, 0x0
	.amdhsa_kernel _ZN9rocsparseL18bsrxmvn_4x4_kernelILj128ELj8EfiifffEEvT3_20rocsparse_direction_NS_24const_host_device_scalarIT1_EES1_PKS1_PKT2_SA_S7_PKT4_PKT5_S5_PT6_21rocsparse_index_base_b
		.amdhsa_group_segment_fixed_size 0
		.amdhsa_private_segment_fixed_size 0
		.amdhsa_kernarg_size 96
		.amdhsa_user_sgpr_count 2
		.amdhsa_user_sgpr_dispatch_ptr 0
		.amdhsa_user_sgpr_queue_ptr 0
		.amdhsa_user_sgpr_kernarg_segment_ptr 1
		.amdhsa_user_sgpr_dispatch_id 0
		.amdhsa_user_sgpr_kernarg_preload_length 0
		.amdhsa_user_sgpr_kernarg_preload_offset 0
		.amdhsa_user_sgpr_private_segment_size 0
		.amdhsa_uses_dynamic_stack 0
		.amdhsa_enable_private_segment 0
		.amdhsa_system_sgpr_workgroup_id_x 1
		.amdhsa_system_sgpr_workgroup_id_y 0
		.amdhsa_system_sgpr_workgroup_id_z 0
		.amdhsa_system_sgpr_workgroup_info 0
		.amdhsa_system_vgpr_workitem_id 0
		.amdhsa_next_free_vgpr 106
		.amdhsa_next_free_sgpr 22
		.amdhsa_accum_offset 108
		.amdhsa_reserve_vcc 1
		.amdhsa_float_round_mode_32 0
		.amdhsa_float_round_mode_16_64 0
		.amdhsa_float_denorm_mode_32 3
		.amdhsa_float_denorm_mode_16_64 3
		.amdhsa_dx10_clamp 1
		.amdhsa_ieee_mode 1
		.amdhsa_fp16_overflow 0
		.amdhsa_tg_split 0
		.amdhsa_exception_fp_ieee_invalid_op 0
		.amdhsa_exception_fp_denorm_src 0
		.amdhsa_exception_fp_ieee_div_zero 0
		.amdhsa_exception_fp_ieee_overflow 0
		.amdhsa_exception_fp_ieee_underflow 0
		.amdhsa_exception_fp_ieee_inexact 0
		.amdhsa_exception_int_div_zero 0
	.end_amdhsa_kernel
	.section	.text._ZN9rocsparseL18bsrxmvn_4x4_kernelILj128ELj8EfiifffEEvT3_20rocsparse_direction_NS_24const_host_device_scalarIT1_EES1_PKS1_PKT2_SA_S7_PKT4_PKT5_S5_PT6_21rocsparse_index_base_b,"axG",@progbits,_ZN9rocsparseL18bsrxmvn_4x4_kernelILj128ELj8EfiifffEEvT3_20rocsparse_direction_NS_24const_host_device_scalarIT1_EES1_PKS1_PKT2_SA_S7_PKT4_PKT5_S5_PT6_21rocsparse_index_base_b,comdat
.Lfunc_end1:
	.size	_ZN9rocsparseL18bsrxmvn_4x4_kernelILj128ELj8EfiifffEEvT3_20rocsparse_direction_NS_24const_host_device_scalarIT1_EES1_PKS1_PKT2_SA_S7_PKT4_PKT5_S5_PT6_21rocsparse_index_base_b, .Lfunc_end1-_ZN9rocsparseL18bsrxmvn_4x4_kernelILj128ELj8EfiifffEEvT3_20rocsparse_direction_NS_24const_host_device_scalarIT1_EES1_PKS1_PKT2_SA_S7_PKT4_PKT5_S5_PT6_21rocsparse_index_base_b
                                        ; -- End function
	.set _ZN9rocsparseL18bsrxmvn_4x4_kernelILj128ELj8EfiifffEEvT3_20rocsparse_direction_NS_24const_host_device_scalarIT1_EES1_PKS1_PKT2_SA_S7_PKT4_PKT5_S5_PT6_21rocsparse_index_base_b.num_vgpr, 106
	.set _ZN9rocsparseL18bsrxmvn_4x4_kernelILj128ELj8EfiifffEEvT3_20rocsparse_direction_NS_24const_host_device_scalarIT1_EES1_PKS1_PKT2_SA_S7_PKT4_PKT5_S5_PT6_21rocsparse_index_base_b.num_agpr, 0
	.set _ZN9rocsparseL18bsrxmvn_4x4_kernelILj128ELj8EfiifffEEvT3_20rocsparse_direction_NS_24const_host_device_scalarIT1_EES1_PKS1_PKT2_SA_S7_PKT4_PKT5_S5_PT6_21rocsparse_index_base_b.numbered_sgpr, 22
	.set _ZN9rocsparseL18bsrxmvn_4x4_kernelILj128ELj8EfiifffEEvT3_20rocsparse_direction_NS_24const_host_device_scalarIT1_EES1_PKS1_PKT2_SA_S7_PKT4_PKT5_S5_PT6_21rocsparse_index_base_b.num_named_barrier, 0
	.set _ZN9rocsparseL18bsrxmvn_4x4_kernelILj128ELj8EfiifffEEvT3_20rocsparse_direction_NS_24const_host_device_scalarIT1_EES1_PKS1_PKT2_SA_S7_PKT4_PKT5_S5_PT6_21rocsparse_index_base_b.private_seg_size, 0
	.set _ZN9rocsparseL18bsrxmvn_4x4_kernelILj128ELj8EfiifffEEvT3_20rocsparse_direction_NS_24const_host_device_scalarIT1_EES1_PKS1_PKT2_SA_S7_PKT4_PKT5_S5_PT6_21rocsparse_index_base_b.uses_vcc, 1
	.set _ZN9rocsparseL18bsrxmvn_4x4_kernelILj128ELj8EfiifffEEvT3_20rocsparse_direction_NS_24const_host_device_scalarIT1_EES1_PKS1_PKT2_SA_S7_PKT4_PKT5_S5_PT6_21rocsparse_index_base_b.uses_flat_scratch, 0
	.set _ZN9rocsparseL18bsrxmvn_4x4_kernelILj128ELj8EfiifffEEvT3_20rocsparse_direction_NS_24const_host_device_scalarIT1_EES1_PKS1_PKT2_SA_S7_PKT4_PKT5_S5_PT6_21rocsparse_index_base_b.has_dyn_sized_stack, 0
	.set _ZN9rocsparseL18bsrxmvn_4x4_kernelILj128ELj8EfiifffEEvT3_20rocsparse_direction_NS_24const_host_device_scalarIT1_EES1_PKS1_PKT2_SA_S7_PKT4_PKT5_S5_PT6_21rocsparse_index_base_b.has_recursion, 0
	.set _ZN9rocsparseL18bsrxmvn_4x4_kernelILj128ELj8EfiifffEEvT3_20rocsparse_direction_NS_24const_host_device_scalarIT1_EES1_PKS1_PKT2_SA_S7_PKT4_PKT5_S5_PT6_21rocsparse_index_base_b.has_indirect_call, 0
	.section	.AMDGPU.csdata,"",@progbits
; Kernel info:
; codeLenInByte = 2996
; TotalNumSgprs: 28
; NumVgprs: 106
; NumAgprs: 0
; TotalNumVgprs: 106
; ScratchSize: 0
; MemoryBound: 1
; FloatMode: 240
; IeeeMode: 1
; LDSByteSize: 0 bytes/workgroup (compile time only)
; SGPRBlocks: 3
; VGPRBlocks: 13
; NumSGPRsForWavesPerEU: 28
; NumVGPRsForWavesPerEU: 106
; AccumOffset: 108
; Occupancy: 4
; WaveLimiterHint : 1
; COMPUTE_PGM_RSRC2:SCRATCH_EN: 0
; COMPUTE_PGM_RSRC2:USER_SGPR: 2
; COMPUTE_PGM_RSRC2:TRAP_HANDLER: 0
; COMPUTE_PGM_RSRC2:TGID_X_EN: 1
; COMPUTE_PGM_RSRC2:TGID_Y_EN: 0
; COMPUTE_PGM_RSRC2:TGID_Z_EN: 0
; COMPUTE_PGM_RSRC2:TIDIG_COMP_CNT: 0
; COMPUTE_PGM_RSRC3_GFX90A:ACCUM_OFFSET: 26
; COMPUTE_PGM_RSRC3_GFX90A:TG_SPLIT: 0
	.section	.text._ZN9rocsparseL18bsrxmvn_4x4_kernelILj128ELj16EfiifffEEvT3_20rocsparse_direction_NS_24const_host_device_scalarIT1_EES1_PKS1_PKT2_SA_S7_PKT4_PKT5_S5_PT6_21rocsparse_index_base_b,"axG",@progbits,_ZN9rocsparseL18bsrxmvn_4x4_kernelILj128ELj16EfiifffEEvT3_20rocsparse_direction_NS_24const_host_device_scalarIT1_EES1_PKS1_PKT2_SA_S7_PKT4_PKT5_S5_PT6_21rocsparse_index_base_b,comdat
	.globl	_ZN9rocsparseL18bsrxmvn_4x4_kernelILj128ELj16EfiifffEEvT3_20rocsparse_direction_NS_24const_host_device_scalarIT1_EES1_PKS1_PKT2_SA_S7_PKT4_PKT5_S5_PT6_21rocsparse_index_base_b ; -- Begin function _ZN9rocsparseL18bsrxmvn_4x4_kernelILj128ELj16EfiifffEEvT3_20rocsparse_direction_NS_24const_host_device_scalarIT1_EES1_PKS1_PKT2_SA_S7_PKT4_PKT5_S5_PT6_21rocsparse_index_base_b
	.p2align	8
	.type	_ZN9rocsparseL18bsrxmvn_4x4_kernelILj128ELj16EfiifffEEvT3_20rocsparse_direction_NS_24const_host_device_scalarIT1_EES1_PKS1_PKT2_SA_S7_PKT4_PKT5_S5_PT6_21rocsparse_index_base_b,@function
_ZN9rocsparseL18bsrxmvn_4x4_kernelILj128ELj16EfiifffEEvT3_20rocsparse_direction_NS_24const_host_device_scalarIT1_EES1_PKS1_PKT2_SA_S7_PKT4_PKT5_S5_PT6_21rocsparse_index_base_b: ; @_ZN9rocsparseL18bsrxmvn_4x4_kernelILj128ELj16EfiifffEEvT3_20rocsparse_direction_NS_24const_host_device_scalarIT1_EES1_PKS1_PKT2_SA_S7_PKT4_PKT5_S5_PT6_21rocsparse_index_base_b
; %bb.0:
	s_load_dwordx2 s[16:17], s[0:1], 0x58
	s_load_dwordx2 s[12:13], s[0:1], 0x8
	;; [unrolled: 1-line block ×3, first 2 shown]
	s_waitcnt lgkmcnt(0)
	s_bitcmp1_b32 s17, 0
	s_cselect_b64 s[6:7], -1, 0
	s_xor_b64 s[4:5], s[6:7], -1
	s_and_b64 vcc, exec, s[6:7]
	s_cbranch_vccnz .LBB2_2
; %bb.1:
	s_load_dword s12, s[12:13], 0x0
.LBB2_2:
	s_andn2_b64 vcc, exec, s[4:5]
	s_cbranch_vccnz .LBB2_4
; %bb.3:
	s_load_dword s14, s[14:15], 0x0
.LBB2_4:
	s_waitcnt lgkmcnt(0)
	v_cmp_neq_f32_e64 s[4:5], s12, 0
	v_cmp_neq_f32_e64 s[6:7], s14, 1.0
	s_or_b64 s[4:5], s[4:5], s[6:7]
	s_andn2_b64 vcc, exec, s[4:5]
	s_cbranch_vccnz .LBB2_10
; %bb.5:
	s_load_dwordx2 s[4:5], s[0:1], 0x18
	s_load_dwordx2 s[18:19], s[0:1], 0x0
	v_lshrrev_b32_e32 v1, 4, v0
	v_lshl_or_b32 v2, s2, 3, v1
	s_mov_b64 s[2:3], 0
	s_waitcnt lgkmcnt(0)
	s_cmp_lg_u64 s[4:5], 0
	s_cbranch_scc0 .LBB2_11
; %bb.6:
	s_load_dword s6, s[0:1], 0x10
                                        ; implicit-def: $vgpr1
	s_waitcnt lgkmcnt(0)
	v_cmp_gt_i32_e32 vcc, s6, v2
	s_and_saveexec_b64 s[6:7], vcc
	s_xor_b64 s[6:7], exec, s[6:7]
	s_cbranch_execz .LBB2_8
; %bb.7:
	v_ashrrev_i32_e32 v3, 31, v2
	v_lshl_add_u64 v[4:5], v[2:3], 2, s[4:5]
	global_load_dword v1, v[4:5], off
	s_mov_b64 s[2:3], exec
	s_waitcnt vmcnt(0)
	v_subrev_u32_e32 v1, s16, v1
.LBB2_8:
	s_or_b64 exec, exec, s[6:7]
	s_branch .LBB2_12
.LBB2_9:
	v_cmp_gt_i32_e32 vcc, s18, v2
	s_andn2_b64 s[2:3], s[2:3], exec
	s_and_b64 s[4:5], vcc, exec
	s_or_b64 s[2:3], s[2:3], s[4:5]
	s_and_saveexec_b64 s[4:5], s[2:3]
	s_cbranch_execnz .LBB2_13
.LBB2_10:
	s_endpgm
.LBB2_11:
                                        ; implicit-def: $vgpr1
	s_cbranch_execnz .LBB2_9
.LBB2_12:
	v_mov_b32_e32 v2, v1
	s_and_saveexec_b64 s[4:5], s[2:3]
	s_cbranch_execz .LBB2_10
.LBB2_13:
	s_load_dwordx8 s[4:11], s[0:1], 0x20
	v_ashrrev_i32_e32 v3, 31, v2
	v_lshlrev_b64 v[4:5], 2, v[2:3]
	v_and_b32_e32 v3, 15, v0
	s_waitcnt lgkmcnt(0)
	v_lshl_add_u64 v[6:7], s[4:5], 0, v[4:5]
	s_cmp_eq_u64 s[6:7], 0
	global_load_dword v15, v[6:7], off
	v_lshl_add_u64 v[6:7], v[6:7], 0, 4
	v_lshl_add_u64 v[4:5], s[6:7], 0, v[4:5]
	s_cselect_b64 vcc, -1, 0
	v_cndmask_b32_e32 v5, v5, v7, vcc
	v_cndmask_b32_e32 v4, v4, v6, vcc
	global_load_dword v1, v[4:5], off
	s_load_dwordx2 s[4:5], s[0:1], 0x40
	s_cmp_eq_u32 s19, 1
	s_waitcnt vmcnt(1)
	v_subrev_u32_e32 v0, s16, v15
	v_add_u32_e32 v0, v0, v3
	s_waitcnt vmcnt(0)
	v_subrev_u32_e32 v14, s16, v1
	v_ashrrev_i32_e32 v1, 31, v0
	v_lshlrev_b64 v[4:5], 6, v[0:1]
	v_lshl_add_u64 v[4:5], s[10:11], 0, v[4:5]
	v_cmp_lt_i32_e64 s[2:3], v0, v14
	s_cbranch_scc1 .LBB2_25
; %bb.14:
	v_mov_b32_e32 v7, 0
	v_mov_b32_e32 v6, 0
	;; [unrolled: 1-line block ×4, first 2 shown]
	s_and_saveexec_b64 s[6:7], s[2:3]
	s_cbranch_execz .LBB2_24
; %bb.15:
	v_add_u32_e32 v1, v15, v3
	v_subrev_u32_e32 v1, s16, v1
	v_add_u32_e32 v1, 16, v1
	v_max_i32_e32 v1, v1, v14
	v_not_b32_e32 v6, v15
	v_add3_u32 v1, s16, v1, v6
	v_sub_u32_e32 v1, v1, v3
	v_and_b32_e32 v6, 48, v1
	v_mov_b32_e32 v8, 0
	v_cmp_ne_u32_e32 vcc, 48, v6
	v_mov_b32_e32 v9, v8
	v_mov_b32_e32 v6, v8
	;; [unrolled: 1-line block ×4, first 2 shown]
	v_mov_b64_e32 v[12:13], v[4:5]
	s_and_saveexec_b64 s[10:11], vcc
	s_cbranch_execz .LBB2_19
; %bb.16:
	v_lshrrev_b32_e32 v6, 4, v1
	v_add_u32_e32 v6, 1, v6
	v_and_b32_e32 v6, 3, v6
	v_mov_b32_e32 v7, 0
	v_sub_u32_e32 v16, 0, v6
	s_mov_b64 s[18:19], 0
	s_mov_b64 s[20:21], 0x400
	v_mov_b64_e32 v[12:13], v[4:5]
	v_mov_b32_e32 v10, v0
	v_mov_b32_e32 v6, v7
	;; [unrolled: 1-line block ×4, first 2 shown]
.LBB2_17:                               ; =>This Inner Loop Header: Depth=1
	v_ashrrev_i32_e32 v11, 31, v10
	v_lshl_add_u64 v[26:27], v[10:11], 2, s[8:9]
	global_load_dword v11, v[26:27], off
	global_load_dwordx4 v[32:35], v[12:13], off
	global_load_dwordx4 v[18:21], v[12:13], off offset:16
	global_load_dwordx4 v[36:39], v[12:13], off offset:32
	;; [unrolled: 1-line block ×3, first 2 shown]
	v_add_co_u32_e32 v16, vcc, 1, v16
	v_lshl_add_u64 v[12:13], v[12:13], 0, s[20:21]
	v_add_u32_e32 v10, 16, v10
	s_or_b64 s[18:19], vcc, s[18:19]
	s_waitcnt vmcnt(4)
	v_subrev_u32_e32 v11, s16, v11
	v_lshlrev_b32_e32 v26, 2, v11
	v_ashrrev_i32_e32 v27, 31, v26
	s_waitcnt lgkmcnt(0)
	v_lshl_add_u64 v[26:27], v[26:27], 2, s[4:5]
	global_load_dwordx4 v[26:29], v[26:27], off
	s_waitcnt vmcnt(4)
	v_mov_b32_e32 v30, v32
	s_waitcnt vmcnt(3)
	v_mov_b32_e32 v31, v18
	v_mov_b32_e32 v18, v33
	;; [unrolled: 1-line block ×5, first 2 shown]
	s_waitcnt vmcnt(2)
	v_mov_b32_e32 v34, v36
	s_waitcnt vmcnt(1)
	v_mov_b32_e32 v35, v22
	v_mov_b32_e32 v22, v37
	;; [unrolled: 1-line block ×5, first 2 shown]
	s_waitcnt vmcnt(0)
	v_pk_fma_f32 v[8:9], v[30:31], v[26:27], v[8:9] op_sel_hi:[1,0,1]
	v_pk_fma_f32 v[6:7], v[34:35], v[26:27], v[6:7] op_sel_hi:[1,0,1]
	v_pk_fma_f32 v[8:9], v[18:19], v[26:27], v[8:9] op_sel:[0,1,0]
	v_pk_fma_f32 v[6:7], v[22:23], v[26:27], v[6:7] op_sel:[0,1,0]
	v_mov_b32_e32 v30, v29
	v_pk_fma_f32 v[8:9], v[32:33], v[28:29], v[8:9] op_sel_hi:[1,0,1]
	v_pk_fma_f32 v[6:7], v[36:37], v[28:29], v[6:7] op_sel_hi:[1,0,1]
	;; [unrolled: 1-line block ×4, first 2 shown]
	s_andn2_b64 exec, exec, s[18:19]
	s_cbranch_execnz .LBB2_17
; %bb.18:
	s_or_b64 exec, exec, s[18:19]
.LBB2_19:
	s_or_b64 exec, exec, s[10:11]
	v_cmp_lt_u32_e32 vcc, 47, v1
	s_and_saveexec_b64 s[10:11], vcc
	s_cbranch_execz .LBB2_23
; %bb.20:
	s_mov_b64 s[18:19], 0
	s_mov_b64 s[20:21], 0x1000
.LBB2_21:                               ; =>This Inner Loop Header: Depth=1
	v_ashrrev_i32_e32 v11, 31, v10
	v_lshl_add_u64 v[40:41], v[10:11], 2, s[8:9]
	global_load_dword v1, v[40:41], off
	global_load_dword v11, v[40:41], off offset:64
	global_load_dword v48, v[40:41], off offset:128
	;; [unrolled: 1-line block ×3, first 2 shown]
	global_load_dwordx4 v[74:77], v[12:13], off
	global_load_dwordx4 v[16:19], v[12:13], off offset:16
	global_load_dwordx4 v[78:81], v[12:13], off offset:32
	;; [unrolled: 1-line block ×10, first 2 shown]
                                        ; kill: killed $vgpr40_vgpr41
	global_load_dwordx4 v[94:97], v[12:13], off offset:2048
	global_load_dwordx4 v[40:43], v[12:13], off offset:3120
	;; [unrolled: 1-line block ×5, first 2 shown]
	v_add_u32_e32 v10, 64, v10
	v_cmp_ge_i32_e32 vcc, v10, v14
	v_lshl_add_u64 v[12:13], v[12:13], 0, s[20:21]
	s_or_b64 s[18:19], vcc, s[18:19]
	s_waitcnt vmcnt(19)
	v_subrev_u32_e32 v1, s16, v1
	s_waitcnt vmcnt(18)
	v_subrev_u32_e32 v11, s16, v11
	;; [unrolled: 2-line block ×4, first 2 shown]
	v_lshlrev_b32_e32 v48, 2, v1
	v_lshlrev_b32_e32 v50, 2, v11
	;; [unrolled: 1-line block ×4, first 2 shown]
	v_ashrrev_i32_e32 v49, 31, v48
	v_ashrrev_i32_e32 v51, 31, v50
	;; [unrolled: 1-line block ×4, first 2 shown]
	s_waitcnt lgkmcnt(0)
	v_lshl_add_u64 v[66:67], v[48:49], 2, s[4:5]
	v_lshl_add_u64 v[68:69], v[50:51], 2, s[4:5]
	;; [unrolled: 1-line block ×4, first 2 shown]
	global_load_dwordx4 v[48:51], v[66:67], off
	global_load_dwordx4 v[52:55], v[68:69], off
	global_load_dwordx4 v[56:59], v[70:71], off
	global_load_dwordx4 v[60:63], v[72:73], off
	s_waitcnt vmcnt(19)
	v_mov_b32_e32 v64, v74
	s_waitcnt vmcnt(18)
	v_mov_b32_e32 v65, v16
	;; [unrolled: 2-line block ×4, first 2 shown]
	v_mov_b32_e32 v16, v75
	v_mov_b32_e32 v20, v79
	;; [unrolled: 1-line block ×8, first 2 shown]
	s_waitcnt vmcnt(15)
	v_mov_b32_e32 v72, v82
	s_waitcnt vmcnt(14)
	v_mov_b32_e32 v73, v24
	;; [unrolled: 2-line block ×3, first 2 shown]
	v_mov_b32_e32 v77, v28
	v_mov_b32_e32 v24, v83
	;; [unrolled: 1-line block ×9, first 2 shown]
	s_waitcnt vmcnt(8)
	v_mov_b32_e32 v80, v94
	v_mov_b32_e32 v81, v36
	;; [unrolled: 1-line block ×12, first 2 shown]
	s_waitcnt vmcnt(4)
	v_mov_b32_e32 v88, v102
	v_mov_b32_e32 v89, v44
	;; [unrolled: 1-line block ×12, first 2 shown]
	s_waitcnt vmcnt(3)
	v_pk_fma_f32 v[8:9], v[64:65], v[48:49], v[8:9] op_sel_hi:[1,0,1]
	v_pk_fma_f32 v[6:7], v[66:67], v[48:49], v[6:7] op_sel_hi:[1,0,1]
	v_pk_fma_f32 v[8:9], v[16:17], v[48:49], v[8:9] op_sel:[0,1,0]
	v_pk_fma_f32 v[6:7], v[20:21], v[48:49], v[6:7] op_sel:[0,1,0]
	v_mov_b32_e32 v64, v51
	v_pk_fma_f32 v[8:9], v[68:69], v[50:51], v[8:9] op_sel_hi:[1,0,1]
	v_pk_fma_f32 v[6:7], v[70:71], v[50:51], v[6:7] op_sel_hi:[1,0,1]
	v_pk_fma_f32 v[8:9], v[18:19], v[64:65], v[8:9] op_sel_hi:[1,0,1]
	v_pk_fma_f32 v[6:7], v[22:23], v[64:65], v[6:7] op_sel_hi:[1,0,1]
	s_waitcnt vmcnt(2)
	v_pk_fma_f32 v[8:9], v[72:73], v[52:53], v[8:9] op_sel_hi:[1,0,1]
	v_pk_fma_f32 v[6:7], v[76:77], v[52:53], v[6:7] op_sel_hi:[1,0,1]
	v_pk_fma_f32 v[8:9], v[24:25], v[52:53], v[8:9] op_sel:[0,1,0]
	v_pk_fma_f32 v[6:7], v[28:29], v[52:53], v[6:7] op_sel:[0,1,0]
	v_mov_b32_e32 v66, v55
	v_pk_fma_f32 v[8:9], v[74:75], v[54:55], v[8:9] op_sel_hi:[1,0,1]
	v_pk_fma_f32 v[6:7], v[78:79], v[54:55], v[6:7] op_sel_hi:[1,0,1]
	v_pk_fma_f32 v[8:9], v[26:27], v[66:67], v[8:9] op_sel_hi:[1,0,1]
	v_pk_fma_f32 v[6:7], v[30:31], v[66:67], v[6:7] op_sel_hi:[1,0,1]
	s_waitcnt vmcnt(1)
	v_pk_fma_f32 v[8:9], v[80:81], v[56:57], v[8:9] op_sel_hi:[1,0,1]
	v_pk_fma_f32 v[6:7], v[84:85], v[56:57], v[6:7] op_sel_hi:[1,0,1]
	v_pk_fma_f32 v[8:9], v[36:37], v[56:57], v[8:9] op_sel:[0,1,0]
	v_pk_fma_f32 v[6:7], v[32:33], v[56:57], v[6:7] op_sel:[0,1,0]
	v_mov_b32_e32 v96, v59
	v_pk_fma_f32 v[8:9], v[82:83], v[58:59], v[8:9] op_sel_hi:[1,0,1]
	v_pk_fma_f32 v[6:7], v[86:87], v[58:59], v[6:7] op_sel_hi:[1,0,1]
	v_pk_fma_f32 v[8:9], v[38:39], v[96:97], v[8:9] op_sel_hi:[1,0,1]
	v_pk_fma_f32 v[6:7], v[34:35], v[96:97], v[6:7] op_sel_hi:[1,0,1]
	s_waitcnt vmcnt(0)
	v_pk_fma_f32 v[8:9], v[88:89], v[60:61], v[8:9] op_sel_hi:[1,0,1]
	v_pk_fma_f32 v[6:7], v[92:93], v[60:61], v[6:7] op_sel_hi:[1,0,1]
	v_pk_fma_f32 v[8:9], v[44:45], v[60:61], v[8:9] op_sel:[0,1,0]
	v_pk_fma_f32 v[6:7], v[40:41], v[60:61], v[6:7] op_sel:[0,1,0]
	v_mov_b32_e32 v98, v63
	v_pk_fma_f32 v[8:9], v[90:91], v[62:63], v[8:9] op_sel_hi:[1,0,1]
	v_pk_fma_f32 v[6:7], v[94:95], v[62:63], v[6:7] op_sel_hi:[1,0,1]
	v_pk_fma_f32 v[8:9], v[46:47], v[98:99], v[8:9] op_sel_hi:[1,0,1]
	v_pk_fma_f32 v[6:7], v[42:43], v[98:99], v[6:7] op_sel_hi:[1,0,1]
	s_andn2_b64 exec, exec, s[18:19]
	s_cbranch_execnz .LBB2_21
; %bb.22:
	s_or_b64 exec, exec, s[18:19]
.LBB2_23:
	s_or_b64 exec, exec, s[10:11]
.LBB2_24:
	s_or_b64 exec, exec, s[6:7]
	s_cbranch_execz .LBB2_26
	s_branch .LBB2_37
.LBB2_25:
                                        ; implicit-def: $vgpr7
                                        ; implicit-def: $vgpr9
.LBB2_26:
	v_mov_b32_e32 v7, 0
	v_mov_b32_e32 v6, 0
	;; [unrolled: 1-line block ×4, first 2 shown]
	s_and_saveexec_b64 s[6:7], s[2:3]
	s_cbranch_execz .LBB2_36
; %bb.27:
	v_add_u32_e32 v1, v15, v3
	v_subrev_u32_e32 v1, s16, v1
	v_add_u32_e32 v1, 16, v1
	v_max_i32_e32 v1, v1, v14
	v_not_b32_e32 v6, v15
	v_add3_u32 v1, s16, v1, v6
	v_sub_u32_e32 v10, v1, v3
	v_and_b32_e32 v1, 48, v10
	v_mov_b32_e32 v8, 0
	v_cmp_ne_u32_e32 vcc, 48, v1
	v_mov_b32_e32 v9, v8
	v_mov_b32_e32 v6, v8
	;; [unrolled: 1-line block ×3, first 2 shown]
	s_and_saveexec_b64 s[2:3], vcc
	s_cbranch_execz .LBB2_31
; %bb.28:
	v_lshrrev_b32_e32 v1, 4, v10
	v_add_u32_e32 v1, 1, v1
	v_and_b32_e32 v1, 3, v1
	v_mov_b32_e32 v7, 0
	v_sub_u32_e32 v11, 0, v1
	s_mov_b64 s[10:11], 0
	s_mov_b64 s[18:19], 0x400
	v_mov_b32_e32 v6, v7
	v_mov_b32_e32 v9, v7
	;; [unrolled: 1-line block ×3, first 2 shown]
.LBB2_29:                               ; =>This Inner Loop Header: Depth=1
	v_ashrrev_i32_e32 v1, 31, v0
	v_lshl_add_u64 v[12:13], v[0:1], 2, s[8:9]
	global_load_dword v1, v[12:13], off
	global_load_dwordx4 v[16:19], v[4:5], off offset:16
	global_load_dwordx4 v[20:23], v[4:5], off
	v_add_co_u32_e32 v11, vcc, 1, v11
	v_add_u32_e32 v0, 16, v0
	s_or_b64 s[10:11], vcc, s[10:11]
	s_waitcnt vmcnt(2)
	v_subrev_u32_e32 v1, s16, v1
	v_lshlrev_b32_e32 v12, 2, v1
	v_ashrrev_i32_e32 v13, 31, v12
	s_waitcnt lgkmcnt(0)
	v_lshl_add_u64 v[12:13], v[12:13], 2, s[4:5]
	global_load_dwordx4 v[24:27], v[12:13], off
	global_load_dwordx4 v[28:31], v[4:5], off offset:32
	global_load_dwordx4 v[32:35], v[4:5], off offset:48
	v_lshl_add_u64 v[4:5], v[4:5], 0, s[18:19]
	s_waitcnt vmcnt(2)
	v_pk_fma_f32 v[8:9], v[20:21], v[24:25], v[8:9] op_sel_hi:[1,0,1]
	v_pk_fma_f32 v[6:7], v[22:23], v[24:25], v[6:7] op_sel_hi:[1,0,1]
	v_pk_fma_f32 v[8:9], v[16:17], v[24:25], v[8:9] op_sel:[0,1,0]
	v_pk_fma_f32 v[6:7], v[18:19], v[24:25], v[6:7] op_sel:[0,1,0]
	v_mov_b32_e32 v12, v27
	s_waitcnt vmcnt(1)
	v_pk_fma_f32 v[8:9], v[28:29], v[26:27], v[8:9] op_sel_hi:[1,0,1]
	v_pk_fma_f32 v[6:7], v[30:31], v[26:27], v[6:7] op_sel_hi:[1,0,1]
	s_waitcnt vmcnt(0)
	v_pk_fma_f32 v[8:9], v[32:33], v[12:13], v[8:9] op_sel_hi:[1,0,1]
	v_pk_fma_f32 v[6:7], v[34:35], v[12:13], v[6:7] op_sel_hi:[1,0,1]
	s_andn2_b64 exec, exec, s[10:11]
	s_cbranch_execnz .LBB2_29
; %bb.30:
	s_or_b64 exec, exec, s[10:11]
.LBB2_31:
	s_or_b64 exec, exec, s[2:3]
	v_cmp_lt_u32_e32 vcc, 47, v10
	s_and_saveexec_b64 s[2:3], vcc
	s_cbranch_execz .LBB2_35
; %bb.32:
	s_mov_b64 s[10:11], 0
	s_mov_b64 s[18:19], 0x1000
.LBB2_33:                               ; =>This Inner Loop Header: Depth=1
	v_ashrrev_i32_e32 v1, 31, v0
	v_lshl_add_u64 v[56:57], v[0:1], 2, s[8:9]
	global_load_dword v1, v[56:57], off
	global_load_dword v15, v[56:57], off offset:64
	global_load_dword v68, v[56:57], off offset:128
	;; [unrolled: 1-line block ×3, first 2 shown]
	global_load_dwordx4 v[10:13], v[4:5], off offset:48
	global_load_dwordx4 v[16:19], v[4:5], off offset:32
	;; [unrolled: 1-line block ×3, first 2 shown]
	global_load_dwordx4 v[24:27], v[4:5], off
	global_load_dwordx4 v[28:31], v[4:5], off offset:1072
	global_load_dwordx4 v[32:35], v[4:5], off offset:1056
	;; [unrolled: 1-line block ×7, first 2 shown]
                                        ; kill: killed $vgpr56_vgpr57
	global_load_dwordx4 v[56:59], v[4:5], off offset:2048
	global_load_dwordx4 v[60:63], v[4:5], off offset:3088
	;; [unrolled: 1-line block ×3, first 2 shown]
	v_add_u32_e32 v0, 64, v0
	v_cmp_ge_i32_e32 vcc, v0, v14
	s_or_b64 s[10:11], vcc, s[10:11]
	s_waitcnt vmcnt(17)
	v_subrev_u32_e32 v1, s16, v1
	s_waitcnt vmcnt(16)
	v_subrev_u32_e32 v15, s16, v15
	;; [unrolled: 2-line block ×4, first 2 shown]
	v_lshlrev_b32_e32 v68, 2, v1
	v_lshlrev_b32_e32 v70, 2, v15
	;; [unrolled: 1-line block ×4, first 2 shown]
	v_ashrrev_i32_e32 v69, 31, v68
	v_ashrrev_i32_e32 v71, 31, v70
	;; [unrolled: 1-line block ×4, first 2 shown]
	s_waitcnt lgkmcnt(0)
	v_lshl_add_u64 v[92:93], v[68:69], 2, s[4:5]
	v_lshl_add_u64 v[94:95], v[70:71], 2, s[4:5]
	;; [unrolled: 1-line block ×4, first 2 shown]
	global_load_dwordx4 v[68:71], v[92:93], off
	global_load_dwordx4 v[72:75], v[94:95], off
	;; [unrolled: 1-line block ×4, first 2 shown]
	global_load_dwordx4 v[84:87], v[4:5], off offset:3104
	global_load_dwordx4 v[88:91], v[4:5], off offset:3120
	v_lshl_add_u64 v[4:5], v[4:5], 0, s[18:19]
	s_waitcnt vmcnt(5)
	v_pk_fma_f32 v[8:9], v[24:25], v[68:69], v[8:9] op_sel_hi:[1,0,1]
	v_pk_fma_f32 v[6:7], v[26:27], v[68:69], v[6:7] op_sel_hi:[1,0,1]
	v_pk_fma_f32 v[8:9], v[20:21], v[68:69], v[8:9] op_sel:[0,1,0]
	v_pk_fma_f32 v[6:7], v[22:23], v[68:69], v[6:7] op_sel:[0,1,0]
	v_mov_b32_e32 v24, v71
	v_pk_fma_f32 v[8:9], v[16:17], v[70:71], v[8:9] op_sel_hi:[1,0,1]
	v_pk_fma_f32 v[6:7], v[18:19], v[70:71], v[6:7] op_sel_hi:[1,0,1]
	v_pk_fma_f32 v[8:9], v[10:11], v[24:25], v[8:9] op_sel_hi:[1,0,1]
	v_pk_fma_f32 v[6:7], v[12:13], v[24:25], v[6:7] op_sel_hi:[1,0,1]
	s_waitcnt vmcnt(4)
	v_pk_fma_f32 v[8:9], v[40:41], v[72:73], v[8:9] op_sel_hi:[1,0,1]
	v_pk_fma_f32 v[6:7], v[42:43], v[72:73], v[6:7] op_sel_hi:[1,0,1]
	v_pk_fma_f32 v[8:9], v[36:37], v[72:73], v[8:9] op_sel:[0,1,0]
	v_pk_fma_f32 v[6:7], v[38:39], v[72:73], v[6:7] op_sel:[0,1,0]
	v_mov_b32_e32 v26, v75
	v_pk_fma_f32 v[8:9], v[32:33], v[74:75], v[8:9] op_sel_hi:[1,0,1]
	v_pk_fma_f32 v[6:7], v[34:35], v[74:75], v[6:7] op_sel_hi:[1,0,1]
	v_pk_fma_f32 v[8:9], v[28:29], v[26:27], v[8:9] op_sel_hi:[1,0,1]
	v_pk_fma_f32 v[6:7], v[30:31], v[26:27], v[6:7] op_sel_hi:[1,0,1]
	;; [unrolled: 10-line block ×3, first 2 shown]
	s_waitcnt vmcnt(2)
	v_pk_fma_f32 v[8:9], v[64:65], v[80:81], v[8:9] op_sel_hi:[1,0,1]
	v_pk_fma_f32 v[6:7], v[66:67], v[80:81], v[6:7] op_sel_hi:[1,0,1]
	v_pk_fma_f32 v[8:9], v[60:61], v[80:81], v[8:9] op_sel:[0,1,0]
	v_pk_fma_f32 v[6:7], v[62:63], v[80:81], v[6:7] op_sel:[0,1,0]
	v_mov_b32_e32 v94, v83
	s_waitcnt vmcnt(1)
	v_pk_fma_f32 v[8:9], v[84:85], v[82:83], v[8:9] op_sel_hi:[1,0,1]
	v_pk_fma_f32 v[6:7], v[86:87], v[82:83], v[6:7] op_sel_hi:[1,0,1]
	s_waitcnt vmcnt(0)
	v_pk_fma_f32 v[8:9], v[88:89], v[94:95], v[8:9] op_sel_hi:[1,0,1]
	v_pk_fma_f32 v[6:7], v[90:91], v[94:95], v[6:7] op_sel_hi:[1,0,1]
	s_andn2_b64 exec, exec, s[10:11]
	s_cbranch_execnz .LBB2_33
; %bb.34:
	s_or_b64 exec, exec, s[10:11]
.LBB2_35:
	s_or_b64 exec, exec, s[2:3]
.LBB2_36:
	s_or_b64 exec, exec, s[6:7]
.LBB2_37:
	v_mov_b32_dpp v0, v8 row_shr:1 row_mask:0xf bank_mask:0xf
	v_mov_b32_dpp v1, v9 row_shr:1 row_mask:0xf bank_mask:0xf
	v_pk_add_f32 v[0:1], v[8:9], v[0:1]
	v_mov_b32_dpp v8, v6 row_shr:1 row_mask:0xf bank_mask:0xf
	v_mov_b32_dpp v9, v7 row_shr:1 row_mask:0xf bank_mask:0xf
	v_pk_add_f32 v[6:7], v[6:7], v[8:9]
	v_mov_b32_dpp v4, v0 row_shr:2 row_mask:0xf bank_mask:0xf
	v_mov_b32_dpp v5, v1 row_shr:2 row_mask:0xf bank_mask:0xf
	;; [unrolled: 1-line block ×4, first 2 shown]
	v_pk_add_f32 v[0:1], v[0:1], v[4:5]
	v_pk_add_f32 v[6:7], v[6:7], v[8:9]
	v_cmp_eq_u32_e32 vcc, 15, v3
	v_mov_b32_dpp v4, v0 row_shr:4 row_mask:0xf bank_mask:0xe
	v_mov_b32_dpp v5, v1 row_shr:4 row_mask:0xf bank_mask:0xe
	;; [unrolled: 1-line block ×4, first 2 shown]
	v_pk_add_f32 v[0:1], v[0:1], v[4:5]
	v_pk_add_f32 v[6:7], v[6:7], v[8:9]
	s_nop 0
	v_mov_b32_dpp v4, v0 row_shr:8 row_mask:0xf bank_mask:0xc
	v_mov_b32_dpp v5, v1 row_shr:8 row_mask:0xf bank_mask:0xc
	;; [unrolled: 1-line block ×4, first 2 shown]
	s_and_b64 exec, exec, vcc
	s_cbranch_execz .LBB2_10
; %bb.38:
	s_load_dwordx2 s[0:1], s[0:1], 0x50
	v_cmp_eq_f32_e64 s[2:3], s14, 0
	v_pk_add_f32 v[4:5], v[0:1], v[4:5]
	v_pk_add_f32 v[0:1], v[6:7], v[8:9]
	s_and_b64 vcc, exec, s[2:3]
	v_lshlrev_b32_e32 v2, 2, v2
	s_cbranch_vccz .LBB2_40
; %bb.39:
	v_ashrrev_i32_e32 v3, 31, v2
	s_waitcnt lgkmcnt(0)
	v_lshl_add_u64 v[10:11], v[2:3], 2, s[0:1]
	v_pk_mul_f32 v[6:7], s[12:13], v[4:5] op_sel_hi:[0,1]
	v_pk_mul_f32 v[8:9], s[12:13], v[0:1] op_sel_hi:[0,1]
	global_store_dwordx4 v[10:11], v[6:9], off
	s_cbranch_execnz .LBB2_10
	s_branch .LBB2_41
.LBB2_40:
.LBB2_41:
	v_ashrrev_i32_e32 v3, 31, v2
	s_waitcnt lgkmcnt(0)
	v_lshl_add_u64 v[10:11], v[2:3], 2, s[0:1]
	global_load_dwordx4 v[6:9], v[10:11], off
	v_pk_mul_f32 v[2:3], s[12:13], v[4:5] op_sel_hi:[0,1]
	v_pk_mul_f32 v[4:5], s[12:13], v[0:1] op_sel_hi:[0,1]
	s_waitcnt vmcnt(0)
	v_pk_fma_f32 v[0:1], s[14:15], v[6:7], v[2:3] op_sel_hi:[0,1,1]
	v_pk_fma_f32 v[2:3], s[14:15], v[8:9], v[4:5] op_sel_hi:[0,1,1]
	global_store_dwordx4 v[10:11], v[0:3], off
	s_endpgm
	.section	.rodata,"a",@progbits
	.p2align	6, 0x0
	.amdhsa_kernel _ZN9rocsparseL18bsrxmvn_4x4_kernelILj128ELj16EfiifffEEvT3_20rocsparse_direction_NS_24const_host_device_scalarIT1_EES1_PKS1_PKT2_SA_S7_PKT4_PKT5_S5_PT6_21rocsparse_index_base_b
		.amdhsa_group_segment_fixed_size 0
		.amdhsa_private_segment_fixed_size 0
		.amdhsa_kernarg_size 96
		.amdhsa_user_sgpr_count 2
		.amdhsa_user_sgpr_dispatch_ptr 0
		.amdhsa_user_sgpr_queue_ptr 0
		.amdhsa_user_sgpr_kernarg_segment_ptr 1
		.amdhsa_user_sgpr_dispatch_id 0
		.amdhsa_user_sgpr_kernarg_preload_length 0
		.amdhsa_user_sgpr_kernarg_preload_offset 0
		.amdhsa_user_sgpr_private_segment_size 0
		.amdhsa_uses_dynamic_stack 0
		.amdhsa_enable_private_segment 0
		.amdhsa_system_sgpr_workgroup_id_x 1
		.amdhsa_system_sgpr_workgroup_id_y 0
		.amdhsa_system_sgpr_workgroup_id_z 0
		.amdhsa_system_sgpr_workgroup_info 0
		.amdhsa_system_vgpr_workitem_id 0
		.amdhsa_next_free_vgpr 106
		.amdhsa_next_free_sgpr 22
		.amdhsa_accum_offset 108
		.amdhsa_reserve_vcc 1
		.amdhsa_float_round_mode_32 0
		.amdhsa_float_round_mode_16_64 0
		.amdhsa_float_denorm_mode_32 3
		.amdhsa_float_denorm_mode_16_64 3
		.amdhsa_dx10_clamp 1
		.amdhsa_ieee_mode 1
		.amdhsa_fp16_overflow 0
		.amdhsa_tg_split 0
		.amdhsa_exception_fp_ieee_invalid_op 0
		.amdhsa_exception_fp_denorm_src 0
		.amdhsa_exception_fp_ieee_div_zero 0
		.amdhsa_exception_fp_ieee_overflow 0
		.amdhsa_exception_fp_ieee_underflow 0
		.amdhsa_exception_fp_ieee_inexact 0
		.amdhsa_exception_int_div_zero 0
	.end_amdhsa_kernel
	.section	.text._ZN9rocsparseL18bsrxmvn_4x4_kernelILj128ELj16EfiifffEEvT3_20rocsparse_direction_NS_24const_host_device_scalarIT1_EES1_PKS1_PKT2_SA_S7_PKT4_PKT5_S5_PT6_21rocsparse_index_base_b,"axG",@progbits,_ZN9rocsparseL18bsrxmvn_4x4_kernelILj128ELj16EfiifffEEvT3_20rocsparse_direction_NS_24const_host_device_scalarIT1_EES1_PKS1_PKT2_SA_S7_PKT4_PKT5_S5_PT6_21rocsparse_index_base_b,comdat
.Lfunc_end2:
	.size	_ZN9rocsparseL18bsrxmvn_4x4_kernelILj128ELj16EfiifffEEvT3_20rocsparse_direction_NS_24const_host_device_scalarIT1_EES1_PKS1_PKT2_SA_S7_PKT4_PKT5_S5_PT6_21rocsparse_index_base_b, .Lfunc_end2-_ZN9rocsparseL18bsrxmvn_4x4_kernelILj128ELj16EfiifffEEvT3_20rocsparse_direction_NS_24const_host_device_scalarIT1_EES1_PKS1_PKT2_SA_S7_PKT4_PKT5_S5_PT6_21rocsparse_index_base_b
                                        ; -- End function
	.set _ZN9rocsparseL18bsrxmvn_4x4_kernelILj128ELj16EfiifffEEvT3_20rocsparse_direction_NS_24const_host_device_scalarIT1_EES1_PKS1_PKT2_SA_S7_PKT4_PKT5_S5_PT6_21rocsparse_index_base_b.num_vgpr, 106
	.set _ZN9rocsparseL18bsrxmvn_4x4_kernelILj128ELj16EfiifffEEvT3_20rocsparse_direction_NS_24const_host_device_scalarIT1_EES1_PKS1_PKT2_SA_S7_PKT4_PKT5_S5_PT6_21rocsparse_index_base_b.num_agpr, 0
	.set _ZN9rocsparseL18bsrxmvn_4x4_kernelILj128ELj16EfiifffEEvT3_20rocsparse_direction_NS_24const_host_device_scalarIT1_EES1_PKS1_PKT2_SA_S7_PKT4_PKT5_S5_PT6_21rocsparse_index_base_b.numbered_sgpr, 22
	.set _ZN9rocsparseL18bsrxmvn_4x4_kernelILj128ELj16EfiifffEEvT3_20rocsparse_direction_NS_24const_host_device_scalarIT1_EES1_PKS1_PKT2_SA_S7_PKT4_PKT5_S5_PT6_21rocsparse_index_base_b.num_named_barrier, 0
	.set _ZN9rocsparseL18bsrxmvn_4x4_kernelILj128ELj16EfiifffEEvT3_20rocsparse_direction_NS_24const_host_device_scalarIT1_EES1_PKS1_PKT2_SA_S7_PKT4_PKT5_S5_PT6_21rocsparse_index_base_b.private_seg_size, 0
	.set _ZN9rocsparseL18bsrxmvn_4x4_kernelILj128ELj16EfiifffEEvT3_20rocsparse_direction_NS_24const_host_device_scalarIT1_EES1_PKS1_PKT2_SA_S7_PKT4_PKT5_S5_PT6_21rocsparse_index_base_b.uses_vcc, 1
	.set _ZN9rocsparseL18bsrxmvn_4x4_kernelILj128ELj16EfiifffEEvT3_20rocsparse_direction_NS_24const_host_device_scalarIT1_EES1_PKS1_PKT2_SA_S7_PKT4_PKT5_S5_PT6_21rocsparse_index_base_b.uses_flat_scratch, 0
	.set _ZN9rocsparseL18bsrxmvn_4x4_kernelILj128ELj16EfiifffEEvT3_20rocsparse_direction_NS_24const_host_device_scalarIT1_EES1_PKS1_PKT2_SA_S7_PKT4_PKT5_S5_PT6_21rocsparse_index_base_b.has_dyn_sized_stack, 0
	.set _ZN9rocsparseL18bsrxmvn_4x4_kernelILj128ELj16EfiifffEEvT3_20rocsparse_direction_NS_24const_host_device_scalarIT1_EES1_PKS1_PKT2_SA_S7_PKT4_PKT5_S5_PT6_21rocsparse_index_base_b.has_recursion, 0
	.set _ZN9rocsparseL18bsrxmvn_4x4_kernelILj128ELj16EfiifffEEvT3_20rocsparse_direction_NS_24const_host_device_scalarIT1_EES1_PKS1_PKT2_SA_S7_PKT4_PKT5_S5_PT6_21rocsparse_index_base_b.has_indirect_call, 0
	.section	.AMDGPU.csdata,"",@progbits
; Kernel info:
; codeLenInByte = 3064
; TotalNumSgprs: 28
; NumVgprs: 106
; NumAgprs: 0
; TotalNumVgprs: 106
; ScratchSize: 0
; MemoryBound: 0
; FloatMode: 240
; IeeeMode: 1
; LDSByteSize: 0 bytes/workgroup (compile time only)
; SGPRBlocks: 3
; VGPRBlocks: 13
; NumSGPRsForWavesPerEU: 28
; NumVGPRsForWavesPerEU: 106
; AccumOffset: 108
; Occupancy: 4
; WaveLimiterHint : 1
; COMPUTE_PGM_RSRC2:SCRATCH_EN: 0
; COMPUTE_PGM_RSRC2:USER_SGPR: 2
; COMPUTE_PGM_RSRC2:TRAP_HANDLER: 0
; COMPUTE_PGM_RSRC2:TGID_X_EN: 1
; COMPUTE_PGM_RSRC2:TGID_Y_EN: 0
; COMPUTE_PGM_RSRC2:TGID_Z_EN: 0
; COMPUTE_PGM_RSRC2:TIDIG_COMP_CNT: 0
; COMPUTE_PGM_RSRC3_GFX90A:ACCUM_OFFSET: 26
; COMPUTE_PGM_RSRC3_GFX90A:TG_SPLIT: 0
	.section	.text._ZN9rocsparseL18bsrxmvn_4x4_kernelILj128ELj32EfiifffEEvT3_20rocsparse_direction_NS_24const_host_device_scalarIT1_EES1_PKS1_PKT2_SA_S7_PKT4_PKT5_S5_PT6_21rocsparse_index_base_b,"axG",@progbits,_ZN9rocsparseL18bsrxmvn_4x4_kernelILj128ELj32EfiifffEEvT3_20rocsparse_direction_NS_24const_host_device_scalarIT1_EES1_PKS1_PKT2_SA_S7_PKT4_PKT5_S5_PT6_21rocsparse_index_base_b,comdat
	.globl	_ZN9rocsparseL18bsrxmvn_4x4_kernelILj128ELj32EfiifffEEvT3_20rocsparse_direction_NS_24const_host_device_scalarIT1_EES1_PKS1_PKT2_SA_S7_PKT4_PKT5_S5_PT6_21rocsparse_index_base_b ; -- Begin function _ZN9rocsparseL18bsrxmvn_4x4_kernelILj128ELj32EfiifffEEvT3_20rocsparse_direction_NS_24const_host_device_scalarIT1_EES1_PKS1_PKT2_SA_S7_PKT4_PKT5_S5_PT6_21rocsparse_index_base_b
	.p2align	8
	.type	_ZN9rocsparseL18bsrxmvn_4x4_kernelILj128ELj32EfiifffEEvT3_20rocsparse_direction_NS_24const_host_device_scalarIT1_EES1_PKS1_PKT2_SA_S7_PKT4_PKT5_S5_PT6_21rocsparse_index_base_b,@function
_ZN9rocsparseL18bsrxmvn_4x4_kernelILj128ELj32EfiifffEEvT3_20rocsparse_direction_NS_24const_host_device_scalarIT1_EES1_PKS1_PKT2_SA_S7_PKT4_PKT5_S5_PT6_21rocsparse_index_base_b: ; @_ZN9rocsparseL18bsrxmvn_4x4_kernelILj128ELj32EfiifffEEvT3_20rocsparse_direction_NS_24const_host_device_scalarIT1_EES1_PKS1_PKT2_SA_S7_PKT4_PKT5_S5_PT6_21rocsparse_index_base_b
; %bb.0:
	s_load_dwordx2 s[16:17], s[0:1], 0x58
	s_load_dwordx2 s[12:13], s[0:1], 0x8
	;; [unrolled: 1-line block ×3, first 2 shown]
	s_waitcnt lgkmcnt(0)
	s_bitcmp1_b32 s17, 0
	s_cselect_b64 s[6:7], -1, 0
	s_xor_b64 s[4:5], s[6:7], -1
	s_and_b64 vcc, exec, s[6:7]
	s_cbranch_vccnz .LBB3_2
; %bb.1:
	s_load_dword s12, s[12:13], 0x0
.LBB3_2:
	s_andn2_b64 vcc, exec, s[4:5]
	s_cbranch_vccnz .LBB3_4
; %bb.3:
	s_load_dword s14, s[14:15], 0x0
.LBB3_4:
	s_waitcnt lgkmcnt(0)
	v_cmp_neq_f32_e64 s[4:5], s12, 0
	v_cmp_neq_f32_e64 s[6:7], s14, 1.0
	s_or_b64 s[4:5], s[4:5], s[6:7]
	s_andn2_b64 vcc, exec, s[4:5]
	s_cbranch_vccnz .LBB3_10
; %bb.5:
	s_load_dwordx2 s[4:5], s[0:1], 0x18
	s_load_dwordx2 s[18:19], s[0:1], 0x0
	v_lshrrev_b32_e32 v1, 5, v0
	v_lshl_or_b32 v2, s2, 2, v1
	s_mov_b64 s[2:3], 0
	s_waitcnt lgkmcnt(0)
	s_cmp_lg_u64 s[4:5], 0
	s_cbranch_scc0 .LBB3_11
; %bb.6:
	s_load_dword s6, s[0:1], 0x10
                                        ; implicit-def: $vgpr1
	s_waitcnt lgkmcnt(0)
	v_cmp_gt_i32_e32 vcc, s6, v2
	s_and_saveexec_b64 s[6:7], vcc
	s_xor_b64 s[6:7], exec, s[6:7]
	s_cbranch_execz .LBB3_8
; %bb.7:
	v_ashrrev_i32_e32 v3, 31, v2
	v_lshl_add_u64 v[4:5], v[2:3], 2, s[4:5]
	global_load_dword v1, v[4:5], off
	s_mov_b64 s[2:3], exec
	s_waitcnt vmcnt(0)
	v_subrev_u32_e32 v1, s16, v1
.LBB3_8:
	s_or_b64 exec, exec, s[6:7]
	s_branch .LBB3_12
.LBB3_9:
	v_cmp_gt_i32_e32 vcc, s18, v2
	s_andn2_b64 s[2:3], s[2:3], exec
	s_and_b64 s[4:5], vcc, exec
	s_or_b64 s[2:3], s[2:3], s[4:5]
	s_and_saveexec_b64 s[4:5], s[2:3]
	s_cbranch_execnz .LBB3_13
.LBB3_10:
	s_endpgm
.LBB3_11:
                                        ; implicit-def: $vgpr1
	s_cbranch_execnz .LBB3_9
.LBB3_12:
	v_mov_b32_e32 v2, v1
	s_and_saveexec_b64 s[4:5], s[2:3]
	s_cbranch_execz .LBB3_10
.LBB3_13:
	s_load_dwordx8 s[4:11], s[0:1], 0x20
	v_ashrrev_i32_e32 v3, 31, v2
	v_lshlrev_b64 v[4:5], 2, v[2:3]
	v_and_b32_e32 v3, 31, v0
	s_waitcnt lgkmcnt(0)
	v_lshl_add_u64 v[6:7], s[4:5], 0, v[4:5]
	s_cmp_eq_u64 s[6:7], 0
	global_load_dword v15, v[6:7], off
	v_lshl_add_u64 v[6:7], v[6:7], 0, 4
	v_lshl_add_u64 v[4:5], s[6:7], 0, v[4:5]
	s_cselect_b64 vcc, -1, 0
	v_cndmask_b32_e32 v5, v5, v7, vcc
	v_cndmask_b32_e32 v4, v4, v6, vcc
	global_load_dword v1, v[4:5], off
	s_load_dwordx2 s[4:5], s[0:1], 0x40
	s_cmp_eq_u32 s19, 1
	s_waitcnt vmcnt(1)
	v_subrev_u32_e32 v0, s16, v15
	v_add_u32_e32 v0, v0, v3
	s_waitcnt vmcnt(0)
	v_subrev_u32_e32 v14, s16, v1
	v_ashrrev_i32_e32 v1, 31, v0
	v_lshlrev_b64 v[4:5], 6, v[0:1]
	v_lshl_add_u64 v[4:5], s[10:11], 0, v[4:5]
	v_cmp_lt_i32_e64 s[2:3], v0, v14
	s_cbranch_scc1 .LBB3_25
; %bb.14:
	v_mov_b32_e32 v7, 0
	v_mov_b32_e32 v6, 0
	;; [unrolled: 1-line block ×4, first 2 shown]
	s_and_saveexec_b64 s[6:7], s[2:3]
	s_cbranch_execz .LBB3_24
; %bb.15:
	v_add_u32_e32 v1, v15, v3
	v_subrev_u32_e32 v1, s16, v1
	v_add_u32_e32 v1, 32, v1
	v_max_i32_e32 v1, v1, v14
	v_not_b32_e32 v6, v15
	v_add3_u32 v1, s16, v1, v6
	v_sub_u32_e32 v1, v1, v3
	s_movk_i32 s10, 0x60
	v_and_b32_e32 v6, 0x60, v1
	v_cmp_ne_u32_e32 vcc, s10, v6
	v_mov_b32_e32 v6, 0
	v_mov_b32_e32 v7, v6
	v_mov_b64_e32 v[8:9], v[6:7]
	v_mov_b32_e32 v10, v0
	v_mov_b64_e32 v[12:13], v[4:5]
	s_and_saveexec_b64 s[10:11], vcc
	s_cbranch_execz .LBB3_19
; %bb.16:
	v_lshrrev_b32_e32 v7, 5, v1
	v_add_u32_e32 v7, 1, v7
	v_and_b32_e32 v7, 3, v7
	v_sub_u32_e32 v16, 0, v7
	s_mov_b64 s[18:19], 0
	s_mov_b64 s[20:21], 0x800
	v_mov_b64_e32 v[12:13], v[4:5]
	v_mov_b32_e32 v10, v0
	v_mov_b32_e32 v7, v6
	;; [unrolled: 1-line block ×4, first 2 shown]
.LBB3_17:                               ; =>This Inner Loop Header: Depth=1
	v_ashrrev_i32_e32 v11, 31, v10
	v_lshl_add_u64 v[26:27], v[10:11], 2, s[8:9]
	global_load_dword v11, v[26:27], off
	global_load_dwordx4 v[32:35], v[12:13], off
	global_load_dwordx4 v[18:21], v[12:13], off offset:16
	global_load_dwordx4 v[36:39], v[12:13], off offset:32
	;; [unrolled: 1-line block ×3, first 2 shown]
	v_add_co_u32_e32 v16, vcc, 1, v16
	v_lshl_add_u64 v[12:13], v[12:13], 0, s[20:21]
	v_add_u32_e32 v10, 32, v10
	s_or_b64 s[18:19], vcc, s[18:19]
	s_waitcnt vmcnt(4)
	v_subrev_u32_e32 v11, s16, v11
	v_lshlrev_b32_e32 v26, 2, v11
	v_ashrrev_i32_e32 v27, 31, v26
	s_waitcnt lgkmcnt(0)
	v_lshl_add_u64 v[26:27], v[26:27], 2, s[4:5]
	global_load_dwordx4 v[26:29], v[26:27], off
	s_waitcnt vmcnt(4)
	v_mov_b32_e32 v30, v32
	s_waitcnt vmcnt(3)
	v_mov_b32_e32 v31, v18
	v_mov_b32_e32 v18, v33
	;; [unrolled: 1-line block ×5, first 2 shown]
	s_waitcnt vmcnt(2)
	v_mov_b32_e32 v34, v36
	s_waitcnt vmcnt(1)
	v_mov_b32_e32 v35, v22
	v_mov_b32_e32 v22, v37
	;; [unrolled: 1-line block ×5, first 2 shown]
	s_waitcnt vmcnt(0)
	v_pk_fma_f32 v[8:9], v[30:31], v[26:27], v[8:9] op_sel_hi:[1,0,1]
	v_pk_fma_f32 v[6:7], v[34:35], v[26:27], v[6:7] op_sel_hi:[1,0,1]
	v_pk_fma_f32 v[8:9], v[18:19], v[26:27], v[8:9] op_sel:[0,1,0]
	v_pk_fma_f32 v[6:7], v[22:23], v[26:27], v[6:7] op_sel:[0,1,0]
	v_mov_b32_e32 v30, v29
	v_pk_fma_f32 v[8:9], v[32:33], v[28:29], v[8:9] op_sel_hi:[1,0,1]
	v_pk_fma_f32 v[6:7], v[36:37], v[28:29], v[6:7] op_sel_hi:[1,0,1]
	v_pk_fma_f32 v[8:9], v[20:21], v[30:31], v[8:9] op_sel_hi:[1,0,1]
	v_pk_fma_f32 v[6:7], v[24:25], v[30:31], v[6:7] op_sel_hi:[1,0,1]
	s_andn2_b64 exec, exec, s[18:19]
	s_cbranch_execnz .LBB3_17
; %bb.18:
	s_or_b64 exec, exec, s[18:19]
.LBB3_19:
	s_or_b64 exec, exec, s[10:11]
	s_movk_i32 s10, 0x5f
	v_cmp_lt_u32_e32 vcc, s10, v1
	s_and_saveexec_b64 s[10:11], vcc
	s_cbranch_execz .LBB3_23
; %bb.20:
	s_mov_b64 s[18:19], 0
	s_mov_b64 s[20:21], 0x1000
	s_movk_i32 s13, 0x1000
	s_mov_b64 s[22:23], 0x2000
.LBB3_21:                               ; =>This Inner Loop Header: Depth=1
	v_ashrrev_i32_e32 v11, 31, v10
	v_lshl_add_u64 v[32:33], v[10:11], 2, s[8:9]
	global_load_dword v1, v[32:33], off
	global_load_dword v11, v[32:33], off offset:128
	global_load_dword v52, v[32:33], off offset:256
	;; [unrolled: 1-line block ×3, first 2 shown]
	global_load_dwordx4 v[74:77], v[12:13], off
	global_load_dwordx4 v[16:19], v[12:13], off offset:16
	global_load_dwordx4 v[78:81], v[12:13], off offset:32
	;; [unrolled: 1-line block ×7, first 2 shown]
	v_add_co_u32_e32 v50, vcc, s13, v12
	v_lshl_add_u64 v[48:49], v[12:13], 0, s[20:21]
	s_nop 0
	v_addc_co_u32_e32 v51, vcc, 0, v13, vcc
	global_load_dwordx4 v[90:93], v[48:49], off offset:32
	global_load_dwordx4 v[32:35], v[48:49], off offset:16
	;; [unrolled: 1-line block ×7, first 2 shown]
	global_load_dwordx4 v[102:105], v[50:51], off
	v_add_u32_e32 v10, 0x80, v10
	v_cmp_ge_i32_e32 vcc, v10, v14
	v_lshl_add_u64 v[12:13], v[12:13], 0, s[22:23]
	s_or_b64 s[18:19], vcc, s[18:19]
	s_waitcnt vmcnt(19)
	v_subrev_u32_e32 v1, s16, v1
	s_waitcnt vmcnt(18)
	v_subrev_u32_e32 v11, s16, v11
	s_waitcnt vmcnt(17)
	v_subrev_u32_e32 v49, s16, v52
	s_waitcnt vmcnt(16)
	v_subrev_u32_e32 v51, s16, v53
	v_lshlrev_b32_e32 v48, 2, v1
	v_lshlrev_b32_e32 v50, 2, v11
	;; [unrolled: 1-line block ×4, first 2 shown]
	v_ashrrev_i32_e32 v49, 31, v48
	v_ashrrev_i32_e32 v51, 31, v50
	;; [unrolled: 1-line block ×4, first 2 shown]
	s_waitcnt lgkmcnt(0)
	v_lshl_add_u64 v[66:67], v[48:49], 2, s[4:5]
	v_lshl_add_u64 v[68:69], v[50:51], 2, s[4:5]
	;; [unrolled: 1-line block ×4, first 2 shown]
	global_load_dwordx4 v[48:51], v[66:67], off
	global_load_dwordx4 v[52:55], v[68:69], off
	;; [unrolled: 1-line block ×4, first 2 shown]
	s_waitcnt vmcnt(19)
	v_mov_b32_e32 v64, v74
	s_waitcnt vmcnt(18)
	v_mov_b32_e32 v65, v16
	;; [unrolled: 2-line block ×4, first 2 shown]
	v_mov_b32_e32 v16, v75
	v_mov_b32_e32 v20, v79
	v_mov_b32_e32 v68, v76
	v_mov_b32_e32 v69, v18
	v_mov_b32_e32 v70, v80
	v_mov_b32_e32 v71, v22
	v_mov_b32_e32 v18, v77
	v_mov_b32_e32 v22, v81
	s_waitcnt vmcnt(14)
	v_mov_b32_e32 v72, v82
	v_mov_b32_e32 v73, v24
	s_waitcnt vmcnt(12)
	v_mov_b32_e32 v76, v86
	v_mov_b32_e32 v77, v28
	;; [unrolled: 1-line block ×10, first 2 shown]
	s_waitcnt vmcnt(10)
	v_mov_b32_e32 v81, v32
	v_mov_b32_e32 v84, v90
	s_waitcnt vmcnt(7)
	v_mov_b32_e32 v85, v40
	s_waitcnt vmcnt(4)
	v_mov_b32_e32 v80, v102
	v_mov_b32_e32 v40, v91
	;; [unrolled: 1-line block ×21, first 2 shown]
	s_waitcnt vmcnt(3)
	v_pk_fma_f32 v[8:9], v[64:65], v[48:49], v[8:9] op_sel_hi:[1,0,1]
	v_pk_fma_f32 v[6:7], v[66:67], v[48:49], v[6:7] op_sel_hi:[1,0,1]
	v_pk_fma_f32 v[8:9], v[16:17], v[48:49], v[8:9] op_sel:[0,1,0]
	v_pk_fma_f32 v[6:7], v[20:21], v[48:49], v[6:7] op_sel:[0,1,0]
	v_mov_b32_e32 v64, v51
	v_pk_fma_f32 v[8:9], v[68:69], v[50:51], v[8:9] op_sel_hi:[1,0,1]
	v_pk_fma_f32 v[6:7], v[70:71], v[50:51], v[6:7] op_sel_hi:[1,0,1]
	v_pk_fma_f32 v[8:9], v[18:19], v[64:65], v[8:9] op_sel_hi:[1,0,1]
	v_pk_fma_f32 v[6:7], v[22:23], v[64:65], v[6:7] op_sel_hi:[1,0,1]
	s_waitcnt vmcnt(2)
	v_pk_fma_f32 v[8:9], v[72:73], v[52:53], v[8:9] op_sel_hi:[1,0,1]
	v_pk_fma_f32 v[6:7], v[76:77], v[52:53], v[6:7] op_sel_hi:[1,0,1]
	v_pk_fma_f32 v[8:9], v[24:25], v[52:53], v[8:9] op_sel:[0,1,0]
	v_pk_fma_f32 v[6:7], v[28:29], v[52:53], v[6:7] op_sel:[0,1,0]
	v_mov_b32_e32 v66, v55
	v_pk_fma_f32 v[8:9], v[74:75], v[54:55], v[8:9] op_sel_hi:[1,0,1]
	v_pk_fma_f32 v[6:7], v[78:79], v[54:55], v[6:7] op_sel_hi:[1,0,1]
	v_pk_fma_f32 v[8:9], v[26:27], v[66:67], v[8:9] op_sel_hi:[1,0,1]
	v_pk_fma_f32 v[6:7], v[30:31], v[66:67], v[6:7] op_sel_hi:[1,0,1]
	;; [unrolled: 10-line block ×4, first 2 shown]
	s_andn2_b64 exec, exec, s[18:19]
	s_cbranch_execnz .LBB3_21
; %bb.22:
	s_or_b64 exec, exec, s[18:19]
.LBB3_23:
	s_or_b64 exec, exec, s[10:11]
.LBB3_24:
	s_or_b64 exec, exec, s[6:7]
	s_cbranch_execz .LBB3_26
	s_branch .LBB3_37
.LBB3_25:
                                        ; implicit-def: $vgpr7
                                        ; implicit-def: $vgpr9
.LBB3_26:
	v_mov_b32_e32 v7, 0
	v_mov_b32_e32 v6, 0
	;; [unrolled: 1-line block ×4, first 2 shown]
	s_and_saveexec_b64 s[6:7], s[2:3]
	s_cbranch_execz .LBB3_36
; %bb.27:
	v_add_u32_e32 v1, v15, v3
	v_subrev_u32_e32 v1, s16, v1
	v_add_u32_e32 v1, 32, v1
	v_max_i32_e32 v1, v1, v14
	v_not_b32_e32 v6, v15
	v_add3_u32 v1, s16, v1, v6
	v_sub_u32_e32 v10, v1, v3
	v_mov_b32_e32 v6, 0
	s_movk_i32 s2, 0x60
	v_and_b32_e32 v1, 0x60, v10
	v_mov_b32_e32 v7, v6
	v_cmp_ne_u32_e32 vcc, s2, v1
	v_mov_b64_e32 v[8:9], v[6:7]
	s_and_saveexec_b64 s[2:3], vcc
	s_cbranch_execz .LBB3_31
; %bb.28:
	v_lshrrev_b32_e32 v1, 5, v10
	v_add_u32_e32 v1, 1, v1
	v_and_b32_e32 v1, 3, v1
	v_sub_u32_e32 v11, 0, v1
	s_mov_b64 s[10:11], 0
	s_mov_b64 s[18:19], 0x800
	v_mov_b32_e32 v7, v6
	v_mov_b32_e32 v8, v6
	;; [unrolled: 1-line block ×3, first 2 shown]
.LBB3_29:                               ; =>This Inner Loop Header: Depth=1
	v_ashrrev_i32_e32 v1, 31, v0
	v_lshl_add_u64 v[12:13], v[0:1], 2, s[8:9]
	global_load_dword v1, v[12:13], off
	global_load_dwordx4 v[16:19], v[4:5], off offset:16
	global_load_dwordx4 v[20:23], v[4:5], off
	v_add_co_u32_e32 v11, vcc, 1, v11
	v_add_u32_e32 v0, 32, v0
	s_or_b64 s[10:11], vcc, s[10:11]
	s_waitcnt vmcnt(2)
	v_subrev_u32_e32 v1, s16, v1
	v_lshlrev_b32_e32 v12, 2, v1
	v_ashrrev_i32_e32 v13, 31, v12
	s_waitcnt lgkmcnt(0)
	v_lshl_add_u64 v[12:13], v[12:13], 2, s[4:5]
	global_load_dwordx4 v[24:27], v[12:13], off
	global_load_dwordx4 v[28:31], v[4:5], off offset:32
	global_load_dwordx4 v[32:35], v[4:5], off offset:48
	v_lshl_add_u64 v[4:5], v[4:5], 0, s[18:19]
	s_waitcnt vmcnt(2)
	v_pk_fma_f32 v[8:9], v[20:21], v[24:25], v[8:9] op_sel_hi:[1,0,1]
	v_pk_fma_f32 v[6:7], v[22:23], v[24:25], v[6:7] op_sel_hi:[1,0,1]
	v_pk_fma_f32 v[8:9], v[16:17], v[24:25], v[8:9] op_sel:[0,1,0]
	v_pk_fma_f32 v[6:7], v[18:19], v[24:25], v[6:7] op_sel:[0,1,0]
	v_mov_b32_e32 v12, v27
	s_waitcnt vmcnt(1)
	v_pk_fma_f32 v[8:9], v[28:29], v[26:27], v[8:9] op_sel_hi:[1,0,1]
	v_pk_fma_f32 v[6:7], v[30:31], v[26:27], v[6:7] op_sel_hi:[1,0,1]
	s_waitcnt vmcnt(0)
	v_pk_fma_f32 v[8:9], v[32:33], v[12:13], v[8:9] op_sel_hi:[1,0,1]
	v_pk_fma_f32 v[6:7], v[34:35], v[12:13], v[6:7] op_sel_hi:[1,0,1]
	s_andn2_b64 exec, exec, s[10:11]
	s_cbranch_execnz .LBB3_29
; %bb.30:
	s_or_b64 exec, exec, s[10:11]
.LBB3_31:
	s_or_b64 exec, exec, s[2:3]
	s_movk_i32 s2, 0x5f
	v_cmp_lt_u32_e32 vcc, s2, v10
	s_and_saveexec_b64 s[2:3], vcc
	s_cbranch_execz .LBB3_35
; %bb.32:
	s_mov_b64 s[10:11], 0
	s_mov_b64 s[18:19], 0x1000
	s_movk_i32 s13, 0x1000
	s_mov_b64 s[20:21], 0x2000
.LBB3_33:                               ; =>This Inner Loop Header: Depth=1
	v_ashrrev_i32_e32 v1, 31, v0
	v_lshl_add_u64 v[44:45], v[0:1], 2, s[8:9]
	global_load_dword v1, v[44:45], off
	global_load_dword v15, v[44:45], off offset:128
	global_load_dword v70, v[44:45], off offset:256
	;; [unrolled: 1-line block ×3, first 2 shown]
	global_load_dwordx4 v[10:13], v[4:5], off offset:48
	global_load_dwordx4 v[16:19], v[4:5], off offset:32
	;; [unrolled: 1-line block ×3, first 2 shown]
	global_load_dwordx4 v[24:27], v[4:5], off
	global_load_dwordx4 v[28:31], v[4:5], off offset:2096
	global_load_dwordx4 v[32:35], v[4:5], off offset:2080
	;; [unrolled: 1-line block ×4, first 2 shown]
	v_add_co_u32_e32 v68, vcc, s13, v4
	v_lshl_add_u64 v[92:93], v[4:5], 0, s[18:19]
	s_nop 0
	v_addc_co_u32_e32 v69, vcc, 0, v5, vcc
	global_load_dwordx4 v[44:47], v[68:69], off
	global_load_dwordx4 v[48:51], v[92:93], off offset:32
	global_load_dwordx4 v[52:55], v[92:93], off offset:16
	;; [unrolled: 1-line block ×5, first 2 shown]
	v_add_u32_e32 v0, 0x80, v0
	v_cmp_ge_i32_e32 vcc, v0, v14
	v_lshl_add_u64 v[4:5], v[4:5], 0, s[20:21]
	s_or_b64 s[10:11], vcc, s[10:11]
	s_waitcnt vmcnt(17)
	v_subrev_u32_e32 v1, s16, v1
	s_waitcnt vmcnt(16)
	v_subrev_u32_e32 v15, s16, v15
	;; [unrolled: 2-line block ×4, first 2 shown]
	v_lshlrev_b32_e32 v68, 2, v1
	v_lshlrev_b32_e32 v70, 2, v15
	;; [unrolled: 1-line block ×4, first 2 shown]
	v_ashrrev_i32_e32 v69, 31, v68
	v_ashrrev_i32_e32 v71, 31, v70
	;; [unrolled: 1-line block ×4, first 2 shown]
	s_waitcnt lgkmcnt(0)
	v_lshl_add_u64 v[94:95], v[68:69], 2, s[4:5]
	v_lshl_add_u64 v[96:97], v[70:71], 2, s[4:5]
	;; [unrolled: 1-line block ×4, first 2 shown]
	global_load_dwordx4 v[68:71], v[94:95], off
	global_load_dwordx4 v[72:75], v[96:97], off
	;; [unrolled: 1-line block ×4, first 2 shown]
	global_load_dwordx4 v[84:87], v[92:93], off offset:2080
	global_load_dwordx4 v[88:91], v[92:93], off offset:2096
	s_waitcnt vmcnt(5)
	v_pk_fma_f32 v[8:9], v[24:25], v[68:69], v[8:9] op_sel_hi:[1,0,1]
	v_pk_fma_f32 v[6:7], v[26:27], v[68:69], v[6:7] op_sel_hi:[1,0,1]
	v_pk_fma_f32 v[8:9], v[20:21], v[68:69], v[8:9] op_sel:[0,1,0]
	v_pk_fma_f32 v[6:7], v[22:23], v[68:69], v[6:7] op_sel:[0,1,0]
	v_mov_b32_e32 v24, v71
	v_pk_fma_f32 v[8:9], v[16:17], v[70:71], v[8:9] op_sel_hi:[1,0,1]
	v_pk_fma_f32 v[6:7], v[18:19], v[70:71], v[6:7] op_sel_hi:[1,0,1]
	v_pk_fma_f32 v[8:9], v[10:11], v[24:25], v[8:9] op_sel_hi:[1,0,1]
	v_pk_fma_f32 v[6:7], v[12:13], v[24:25], v[6:7] op_sel_hi:[1,0,1]
	s_waitcnt vmcnt(4)
	v_pk_fma_f32 v[8:9], v[40:41], v[72:73], v[8:9] op_sel_hi:[1,0,1]
	v_pk_fma_f32 v[6:7], v[42:43], v[72:73], v[6:7] op_sel_hi:[1,0,1]
	v_pk_fma_f32 v[8:9], v[36:37], v[72:73], v[8:9] op_sel:[0,1,0]
	v_pk_fma_f32 v[6:7], v[38:39], v[72:73], v[6:7] op_sel:[0,1,0]
	v_mov_b32_e32 v26, v75
	v_pk_fma_f32 v[8:9], v[32:33], v[74:75], v[8:9] op_sel_hi:[1,0,1]
	v_pk_fma_f32 v[6:7], v[34:35], v[74:75], v[6:7] op_sel_hi:[1,0,1]
	v_pk_fma_f32 v[8:9], v[28:29], v[26:27], v[8:9] op_sel_hi:[1,0,1]
	v_pk_fma_f32 v[6:7], v[30:31], v[26:27], v[6:7] op_sel_hi:[1,0,1]
	;; [unrolled: 10-line block ×3, first 2 shown]
	s_waitcnt vmcnt(2)
	v_pk_fma_f32 v[8:9], v[64:65], v[80:81], v[8:9] op_sel_hi:[1,0,1]
	v_pk_fma_f32 v[6:7], v[66:67], v[80:81], v[6:7] op_sel_hi:[1,0,1]
	v_pk_fma_f32 v[8:9], v[56:57], v[80:81], v[8:9] op_sel:[0,1,0]
	v_pk_fma_f32 v[6:7], v[58:59], v[80:81], v[6:7] op_sel:[0,1,0]
	v_mov_b32_e32 v94, v83
	s_waitcnt vmcnt(1)
	v_pk_fma_f32 v[8:9], v[84:85], v[82:83], v[8:9] op_sel_hi:[1,0,1]
	v_pk_fma_f32 v[6:7], v[86:87], v[82:83], v[6:7] op_sel_hi:[1,0,1]
	s_waitcnt vmcnt(0)
	v_pk_fma_f32 v[8:9], v[88:89], v[94:95], v[8:9] op_sel_hi:[1,0,1]
	v_pk_fma_f32 v[6:7], v[90:91], v[94:95], v[6:7] op_sel_hi:[1,0,1]
	s_andn2_b64 exec, exec, s[10:11]
	s_cbranch_execnz .LBB3_33
; %bb.34:
	s_or_b64 exec, exec, s[10:11]
.LBB3_35:
	s_or_b64 exec, exec, s[2:3]
.LBB3_36:
	s_or_b64 exec, exec, s[6:7]
.LBB3_37:
	v_mov_b32_dpp v0, v8 row_shr:1 row_mask:0xf bank_mask:0xf
	v_mov_b32_dpp v1, v9 row_shr:1 row_mask:0xf bank_mask:0xf
	v_pk_add_f32 v[0:1], v[8:9], v[0:1]
	v_mov_b32_dpp v8, v6 row_shr:1 row_mask:0xf bank_mask:0xf
	v_mov_b32_dpp v9, v7 row_shr:1 row_mask:0xf bank_mask:0xf
	v_pk_add_f32 v[6:7], v[6:7], v[8:9]
	v_mov_b32_dpp v4, v0 row_shr:2 row_mask:0xf bank_mask:0xf
	v_mov_b32_dpp v5, v1 row_shr:2 row_mask:0xf bank_mask:0xf
	;; [unrolled: 1-line block ×4, first 2 shown]
	v_pk_add_f32 v[0:1], v[0:1], v[4:5]
	v_pk_add_f32 v[6:7], v[6:7], v[8:9]
	v_cmp_eq_u32_e32 vcc, 31, v3
	v_mov_b32_dpp v4, v0 row_shr:4 row_mask:0xf bank_mask:0xe
	v_mov_b32_dpp v5, v1 row_shr:4 row_mask:0xf bank_mask:0xe
	;; [unrolled: 1-line block ×4, first 2 shown]
	v_pk_add_f32 v[0:1], v[0:1], v[4:5]
	v_pk_add_f32 v[6:7], v[6:7], v[8:9]
	s_nop 0
	v_mov_b32_dpp v4, v0 row_shr:8 row_mask:0xf bank_mask:0xc
	v_mov_b32_dpp v5, v1 row_shr:8 row_mask:0xf bank_mask:0xc
	;; [unrolled: 1-line block ×4, first 2 shown]
	v_pk_add_f32 v[0:1], v[0:1], v[4:5]
	v_pk_add_f32 v[6:7], v[6:7], v[8:9]
	s_nop 0
	v_mov_b32_dpp v4, v0 row_bcast:15 row_mask:0xa bank_mask:0xf
	v_mov_b32_dpp v5, v1 row_bcast:15 row_mask:0xa bank_mask:0xf
	;; [unrolled: 1-line block ×4, first 2 shown]
	s_and_b64 exec, exec, vcc
	s_cbranch_execz .LBB3_10
; %bb.38:
	s_load_dwordx2 s[0:1], s[0:1], 0x50
	v_cmp_eq_f32_e64 s[2:3], s14, 0
	v_pk_add_f32 v[4:5], v[0:1], v[4:5]
	v_pk_add_f32 v[0:1], v[6:7], v[8:9]
	s_and_b64 vcc, exec, s[2:3]
	v_lshlrev_b32_e32 v2, 2, v2
	s_cbranch_vccz .LBB3_40
; %bb.39:
	v_ashrrev_i32_e32 v3, 31, v2
	s_waitcnt lgkmcnt(0)
	v_lshl_add_u64 v[10:11], v[2:3], 2, s[0:1]
	v_pk_mul_f32 v[6:7], s[12:13], v[4:5] op_sel_hi:[0,1]
	v_pk_mul_f32 v[8:9], s[12:13], v[0:1] op_sel_hi:[0,1]
	global_store_dwordx4 v[10:11], v[6:9], off
	s_cbranch_execnz .LBB3_10
	s_branch .LBB3_41
.LBB3_40:
.LBB3_41:
	v_ashrrev_i32_e32 v3, 31, v2
	s_waitcnt lgkmcnt(0)
	v_lshl_add_u64 v[10:11], v[2:3], 2, s[0:1]
	global_load_dwordx4 v[6:9], v[10:11], off
	v_pk_mul_f32 v[2:3], s[12:13], v[4:5] op_sel_hi:[0,1]
	v_pk_mul_f32 v[4:5], s[12:13], v[0:1] op_sel_hi:[0,1]
	s_waitcnt vmcnt(0)
	v_pk_fma_f32 v[0:1], s[14:15], v[6:7], v[2:3] op_sel_hi:[0,1,1]
	v_pk_fma_f32 v[2:3], s[14:15], v[8:9], v[4:5] op_sel_hi:[0,1,1]
	global_store_dwordx4 v[10:11], v[0:3], off
	s_endpgm
	.section	.rodata,"a",@progbits
	.p2align	6, 0x0
	.amdhsa_kernel _ZN9rocsparseL18bsrxmvn_4x4_kernelILj128ELj32EfiifffEEvT3_20rocsparse_direction_NS_24const_host_device_scalarIT1_EES1_PKS1_PKT2_SA_S7_PKT4_PKT5_S5_PT6_21rocsparse_index_base_b
		.amdhsa_group_segment_fixed_size 0
		.amdhsa_private_segment_fixed_size 0
		.amdhsa_kernarg_size 96
		.amdhsa_user_sgpr_count 2
		.amdhsa_user_sgpr_dispatch_ptr 0
		.amdhsa_user_sgpr_queue_ptr 0
		.amdhsa_user_sgpr_kernarg_segment_ptr 1
		.amdhsa_user_sgpr_dispatch_id 0
		.amdhsa_user_sgpr_kernarg_preload_length 0
		.amdhsa_user_sgpr_kernarg_preload_offset 0
		.amdhsa_user_sgpr_private_segment_size 0
		.amdhsa_uses_dynamic_stack 0
		.amdhsa_enable_private_segment 0
		.amdhsa_system_sgpr_workgroup_id_x 1
		.amdhsa_system_sgpr_workgroup_id_y 0
		.amdhsa_system_sgpr_workgroup_id_z 0
		.amdhsa_system_sgpr_workgroup_info 0
		.amdhsa_system_vgpr_workitem_id 0
		.amdhsa_next_free_vgpr 106
		.amdhsa_next_free_sgpr 24
		.amdhsa_accum_offset 108
		.amdhsa_reserve_vcc 1
		.amdhsa_float_round_mode_32 0
		.amdhsa_float_round_mode_16_64 0
		.amdhsa_float_denorm_mode_32 3
		.amdhsa_float_denorm_mode_16_64 3
		.amdhsa_dx10_clamp 1
		.amdhsa_ieee_mode 1
		.amdhsa_fp16_overflow 0
		.amdhsa_tg_split 0
		.amdhsa_exception_fp_ieee_invalid_op 0
		.amdhsa_exception_fp_denorm_src 0
		.amdhsa_exception_fp_ieee_div_zero 0
		.amdhsa_exception_fp_ieee_overflow 0
		.amdhsa_exception_fp_ieee_underflow 0
		.amdhsa_exception_fp_ieee_inexact 0
		.amdhsa_exception_int_div_zero 0
	.end_amdhsa_kernel
	.section	.text._ZN9rocsparseL18bsrxmvn_4x4_kernelILj128ELj32EfiifffEEvT3_20rocsparse_direction_NS_24const_host_device_scalarIT1_EES1_PKS1_PKT2_SA_S7_PKT4_PKT5_S5_PT6_21rocsparse_index_base_b,"axG",@progbits,_ZN9rocsparseL18bsrxmvn_4x4_kernelILj128ELj32EfiifffEEvT3_20rocsparse_direction_NS_24const_host_device_scalarIT1_EES1_PKS1_PKT2_SA_S7_PKT4_PKT5_S5_PT6_21rocsparse_index_base_b,comdat
.Lfunc_end3:
	.size	_ZN9rocsparseL18bsrxmvn_4x4_kernelILj128ELj32EfiifffEEvT3_20rocsparse_direction_NS_24const_host_device_scalarIT1_EES1_PKS1_PKT2_SA_S7_PKT4_PKT5_S5_PT6_21rocsparse_index_base_b, .Lfunc_end3-_ZN9rocsparseL18bsrxmvn_4x4_kernelILj128ELj32EfiifffEEvT3_20rocsparse_direction_NS_24const_host_device_scalarIT1_EES1_PKS1_PKT2_SA_S7_PKT4_PKT5_S5_PT6_21rocsparse_index_base_b
                                        ; -- End function
	.set _ZN9rocsparseL18bsrxmvn_4x4_kernelILj128ELj32EfiifffEEvT3_20rocsparse_direction_NS_24const_host_device_scalarIT1_EES1_PKS1_PKT2_SA_S7_PKT4_PKT5_S5_PT6_21rocsparse_index_base_b.num_vgpr, 106
	.set _ZN9rocsparseL18bsrxmvn_4x4_kernelILj128ELj32EfiifffEEvT3_20rocsparse_direction_NS_24const_host_device_scalarIT1_EES1_PKS1_PKT2_SA_S7_PKT4_PKT5_S5_PT6_21rocsparse_index_base_b.num_agpr, 0
	.set _ZN9rocsparseL18bsrxmvn_4x4_kernelILj128ELj32EfiifffEEvT3_20rocsparse_direction_NS_24const_host_device_scalarIT1_EES1_PKS1_PKT2_SA_S7_PKT4_PKT5_S5_PT6_21rocsparse_index_base_b.numbered_sgpr, 24
	.set _ZN9rocsparseL18bsrxmvn_4x4_kernelILj128ELj32EfiifffEEvT3_20rocsparse_direction_NS_24const_host_device_scalarIT1_EES1_PKS1_PKT2_SA_S7_PKT4_PKT5_S5_PT6_21rocsparse_index_base_b.num_named_barrier, 0
	.set _ZN9rocsparseL18bsrxmvn_4x4_kernelILj128ELj32EfiifffEEvT3_20rocsparse_direction_NS_24const_host_device_scalarIT1_EES1_PKS1_PKT2_SA_S7_PKT4_PKT5_S5_PT6_21rocsparse_index_base_b.private_seg_size, 0
	.set _ZN9rocsparseL18bsrxmvn_4x4_kernelILj128ELj32EfiifffEEvT3_20rocsparse_direction_NS_24const_host_device_scalarIT1_EES1_PKS1_PKT2_SA_S7_PKT4_PKT5_S5_PT6_21rocsparse_index_base_b.uses_vcc, 1
	.set _ZN9rocsparseL18bsrxmvn_4x4_kernelILj128ELj32EfiifffEEvT3_20rocsparse_direction_NS_24const_host_device_scalarIT1_EES1_PKS1_PKT2_SA_S7_PKT4_PKT5_S5_PT6_21rocsparse_index_base_b.uses_flat_scratch, 0
	.set _ZN9rocsparseL18bsrxmvn_4x4_kernelILj128ELj32EfiifffEEvT3_20rocsparse_direction_NS_24const_host_device_scalarIT1_EES1_PKS1_PKT2_SA_S7_PKT4_PKT5_S5_PT6_21rocsparse_index_base_b.has_dyn_sized_stack, 0
	.set _ZN9rocsparseL18bsrxmvn_4x4_kernelILj128ELj32EfiifffEEvT3_20rocsparse_direction_NS_24const_host_device_scalarIT1_EES1_PKS1_PKT2_SA_S7_PKT4_PKT5_S5_PT6_21rocsparse_index_base_b.has_recursion, 0
	.set _ZN9rocsparseL18bsrxmvn_4x4_kernelILj128ELj32EfiifffEEvT3_20rocsparse_direction_NS_24const_host_device_scalarIT1_EES1_PKS1_PKT2_SA_S7_PKT4_PKT5_S5_PT6_21rocsparse_index_base_b.has_indirect_call, 0
	.section	.AMDGPU.csdata,"",@progbits
; Kernel info:
; codeLenInByte = 3196
; TotalNumSgprs: 30
; NumVgprs: 106
; NumAgprs: 0
; TotalNumVgprs: 106
; ScratchSize: 0
; MemoryBound: 1
; FloatMode: 240
; IeeeMode: 1
; LDSByteSize: 0 bytes/workgroup (compile time only)
; SGPRBlocks: 3
; VGPRBlocks: 13
; NumSGPRsForWavesPerEU: 30
; NumVGPRsForWavesPerEU: 106
; AccumOffset: 108
; Occupancy: 4
; WaveLimiterHint : 1
; COMPUTE_PGM_RSRC2:SCRATCH_EN: 0
; COMPUTE_PGM_RSRC2:USER_SGPR: 2
; COMPUTE_PGM_RSRC2:TRAP_HANDLER: 0
; COMPUTE_PGM_RSRC2:TGID_X_EN: 1
; COMPUTE_PGM_RSRC2:TGID_Y_EN: 0
; COMPUTE_PGM_RSRC2:TGID_Z_EN: 0
; COMPUTE_PGM_RSRC2:TIDIG_COMP_CNT: 0
; COMPUTE_PGM_RSRC3_GFX90A:ACCUM_OFFSET: 26
; COMPUTE_PGM_RSRC3_GFX90A:TG_SPLIT: 0
	.section	.text._ZN9rocsparseL18bsrxmvn_4x4_kernelILj128ELj64EfiifffEEvT3_20rocsparse_direction_NS_24const_host_device_scalarIT1_EES1_PKS1_PKT2_SA_S7_PKT4_PKT5_S5_PT6_21rocsparse_index_base_b,"axG",@progbits,_ZN9rocsparseL18bsrxmvn_4x4_kernelILj128ELj64EfiifffEEvT3_20rocsparse_direction_NS_24const_host_device_scalarIT1_EES1_PKS1_PKT2_SA_S7_PKT4_PKT5_S5_PT6_21rocsparse_index_base_b,comdat
	.globl	_ZN9rocsparseL18bsrxmvn_4x4_kernelILj128ELj64EfiifffEEvT3_20rocsparse_direction_NS_24const_host_device_scalarIT1_EES1_PKS1_PKT2_SA_S7_PKT4_PKT5_S5_PT6_21rocsparse_index_base_b ; -- Begin function _ZN9rocsparseL18bsrxmvn_4x4_kernelILj128ELj64EfiifffEEvT3_20rocsparse_direction_NS_24const_host_device_scalarIT1_EES1_PKS1_PKT2_SA_S7_PKT4_PKT5_S5_PT6_21rocsparse_index_base_b
	.p2align	8
	.type	_ZN9rocsparseL18bsrxmvn_4x4_kernelILj128ELj64EfiifffEEvT3_20rocsparse_direction_NS_24const_host_device_scalarIT1_EES1_PKS1_PKT2_SA_S7_PKT4_PKT5_S5_PT6_21rocsparse_index_base_b,@function
_ZN9rocsparseL18bsrxmvn_4x4_kernelILj128ELj64EfiifffEEvT3_20rocsparse_direction_NS_24const_host_device_scalarIT1_EES1_PKS1_PKT2_SA_S7_PKT4_PKT5_S5_PT6_21rocsparse_index_base_b: ; @_ZN9rocsparseL18bsrxmvn_4x4_kernelILj128ELj64EfiifffEEvT3_20rocsparse_direction_NS_24const_host_device_scalarIT1_EES1_PKS1_PKT2_SA_S7_PKT4_PKT5_S5_PT6_21rocsparse_index_base_b
; %bb.0:
	s_load_dwordx2 s[16:17], s[0:1], 0x58
	s_load_dwordx2 s[12:13], s[0:1], 0x8
	;; [unrolled: 1-line block ×3, first 2 shown]
	s_waitcnt lgkmcnt(0)
	s_bitcmp1_b32 s17, 0
	s_cselect_b64 s[6:7], -1, 0
	s_xor_b64 s[4:5], s[6:7], -1
	s_and_b64 vcc, exec, s[6:7]
	s_cbranch_vccnz .LBB4_2
; %bb.1:
	s_load_dword s12, s[12:13], 0x0
.LBB4_2:
	s_andn2_b64 vcc, exec, s[4:5]
	s_cbranch_vccnz .LBB4_4
; %bb.3:
	s_load_dword s14, s[14:15], 0x0
.LBB4_4:
	s_waitcnt lgkmcnt(0)
	v_cmp_neq_f32_e64 s[4:5], s12, 0
	v_cmp_neq_f32_e64 s[6:7], s14, 1.0
	s_or_b64 s[4:5], s[4:5], s[6:7]
	s_andn2_b64 vcc, exec, s[4:5]
	s_cbranch_vccnz .LBB4_10
; %bb.5:
	s_load_dwordx2 s[4:5], s[0:1], 0x18
	s_load_dwordx2 s[18:19], s[0:1], 0x0
	v_lshrrev_b32_e32 v1, 6, v0
	v_lshl_or_b32 v2, s2, 1, v1
	s_mov_b64 s[2:3], 0
	s_waitcnt lgkmcnt(0)
	s_cmp_lg_u64 s[4:5], 0
	s_cbranch_scc0 .LBB4_11
; %bb.6:
	s_load_dword s6, s[0:1], 0x10
                                        ; implicit-def: $vgpr1
	s_waitcnt lgkmcnt(0)
	v_cmp_gt_i32_e32 vcc, s6, v2
	s_and_saveexec_b64 s[6:7], vcc
	s_xor_b64 s[6:7], exec, s[6:7]
	s_cbranch_execz .LBB4_8
; %bb.7:
	v_ashrrev_i32_e32 v3, 31, v2
	v_lshl_add_u64 v[4:5], v[2:3], 2, s[4:5]
	global_load_dword v1, v[4:5], off
	s_mov_b64 s[2:3], exec
	s_waitcnt vmcnt(0)
	v_subrev_u32_e32 v1, s16, v1
.LBB4_8:
	s_or_b64 exec, exec, s[6:7]
	s_branch .LBB4_12
.LBB4_9:
	v_cmp_gt_i32_e32 vcc, s18, v2
	s_andn2_b64 s[2:3], s[2:3], exec
	s_and_b64 s[4:5], vcc, exec
	s_or_b64 s[2:3], s[2:3], s[4:5]
	s_and_saveexec_b64 s[4:5], s[2:3]
	s_cbranch_execnz .LBB4_13
.LBB4_10:
	s_endpgm
.LBB4_11:
                                        ; implicit-def: $vgpr1
	s_cbranch_execnz .LBB4_9
.LBB4_12:
	v_mov_b32_e32 v2, v1
	s_and_saveexec_b64 s[4:5], s[2:3]
	s_cbranch_execz .LBB4_10
.LBB4_13:
	s_load_dwordx8 s[4:11], s[0:1], 0x20
	v_ashrrev_i32_e32 v3, 31, v2
	v_lshlrev_b64 v[4:5], 2, v[2:3]
	v_and_b32_e32 v3, 63, v0
	s_waitcnt lgkmcnt(0)
	v_lshl_add_u64 v[6:7], s[4:5], 0, v[4:5]
	s_cmp_eq_u64 s[6:7], 0
	global_load_dword v15, v[6:7], off
	v_lshl_add_u64 v[6:7], v[6:7], 0, 4
	v_lshl_add_u64 v[4:5], s[6:7], 0, v[4:5]
	s_cselect_b64 vcc, -1, 0
	v_cndmask_b32_e32 v5, v5, v7, vcc
	v_cndmask_b32_e32 v4, v4, v6, vcc
	global_load_dword v1, v[4:5], off
	s_load_dwordx2 s[4:5], s[0:1], 0x40
	s_cmp_eq_u32 s19, 1
	s_waitcnt vmcnt(1)
	v_subrev_u32_e32 v0, s16, v15
	v_add_u32_e32 v0, v0, v3
	s_waitcnt vmcnt(0)
	v_subrev_u32_e32 v14, s16, v1
	v_ashrrev_i32_e32 v1, 31, v0
	v_lshlrev_b64 v[4:5], 6, v[0:1]
	v_lshl_add_u64 v[4:5], s[10:11], 0, v[4:5]
	v_cmp_lt_i32_e64 s[2:3], v0, v14
	s_cbranch_scc1 .LBB4_25
; %bb.14:
	v_mov_b32_e32 v7, 0
	v_mov_b32_e32 v6, 0
	;; [unrolled: 1-line block ×4, first 2 shown]
	s_and_saveexec_b64 s[6:7], s[2:3]
	s_cbranch_execz .LBB4_24
; %bb.15:
	v_add_u32_e32 v1, v15, v3
	v_subrev_u32_e32 v1, s16, v1
	v_add_u32_e32 v1, 64, v1
	v_max_i32_e32 v1, v1, v14
	v_not_b32_e32 v6, v15
	v_add3_u32 v1, s16, v1, v6
	v_sub_u32_e32 v1, v1, v3
	s_movk_i32 s10, 0xc0
	v_and_b32_e32 v6, 0xc0, v1
	v_cmp_ne_u32_e32 vcc, s10, v6
	v_mov_b32_e32 v6, 0
	v_mov_b32_e32 v7, v6
	v_mov_b64_e32 v[8:9], v[6:7]
	v_mov_b32_e32 v10, v0
	v_mov_b64_e32 v[12:13], v[4:5]
	s_and_saveexec_b64 s[10:11], vcc
	s_cbranch_execz .LBB4_19
; %bb.16:
	v_lshrrev_b32_e32 v7, 6, v1
	v_add_u32_e32 v7, 1, v7
	v_and_b32_e32 v7, 3, v7
	v_sub_u32_e32 v16, 0, v7
	s_mov_b64 s[18:19], 0
	s_mov_b64 s[20:21], 0x1000
	v_mov_b64_e32 v[12:13], v[4:5]
	v_mov_b32_e32 v10, v0
	v_mov_b32_e32 v7, v6
	;; [unrolled: 1-line block ×4, first 2 shown]
.LBB4_17:                               ; =>This Inner Loop Header: Depth=1
	v_ashrrev_i32_e32 v11, 31, v10
	v_lshl_add_u64 v[26:27], v[10:11], 2, s[8:9]
	global_load_dword v11, v[26:27], off
	global_load_dwordx4 v[32:35], v[12:13], off
	global_load_dwordx4 v[18:21], v[12:13], off offset:16
	global_load_dwordx4 v[36:39], v[12:13], off offset:32
	;; [unrolled: 1-line block ×3, first 2 shown]
	v_add_co_u32_e32 v16, vcc, 1, v16
	v_lshl_add_u64 v[12:13], v[12:13], 0, s[20:21]
	v_add_u32_e32 v10, 64, v10
	s_or_b64 s[18:19], vcc, s[18:19]
	s_waitcnt vmcnt(4)
	v_subrev_u32_e32 v11, s16, v11
	v_lshlrev_b32_e32 v26, 2, v11
	v_ashrrev_i32_e32 v27, 31, v26
	s_waitcnt lgkmcnt(0)
	v_lshl_add_u64 v[26:27], v[26:27], 2, s[4:5]
	global_load_dwordx4 v[26:29], v[26:27], off
	s_waitcnt vmcnt(4)
	v_mov_b32_e32 v30, v32
	s_waitcnt vmcnt(3)
	v_mov_b32_e32 v31, v18
	v_mov_b32_e32 v18, v33
	;; [unrolled: 1-line block ×5, first 2 shown]
	s_waitcnt vmcnt(2)
	v_mov_b32_e32 v34, v36
	s_waitcnt vmcnt(1)
	v_mov_b32_e32 v35, v22
	v_mov_b32_e32 v22, v37
	;; [unrolled: 1-line block ×5, first 2 shown]
	s_waitcnt vmcnt(0)
	v_pk_fma_f32 v[8:9], v[30:31], v[26:27], v[8:9] op_sel_hi:[1,0,1]
	v_pk_fma_f32 v[6:7], v[34:35], v[26:27], v[6:7] op_sel_hi:[1,0,1]
	v_pk_fma_f32 v[8:9], v[18:19], v[26:27], v[8:9] op_sel:[0,1,0]
	v_pk_fma_f32 v[6:7], v[22:23], v[26:27], v[6:7] op_sel:[0,1,0]
	v_mov_b32_e32 v30, v29
	v_pk_fma_f32 v[8:9], v[32:33], v[28:29], v[8:9] op_sel_hi:[1,0,1]
	v_pk_fma_f32 v[6:7], v[36:37], v[28:29], v[6:7] op_sel_hi:[1,0,1]
	;; [unrolled: 1-line block ×4, first 2 shown]
	s_andn2_b64 exec, exec, s[18:19]
	s_cbranch_execnz .LBB4_17
; %bb.18:
	s_or_b64 exec, exec, s[18:19]
.LBB4_19:
	s_or_b64 exec, exec, s[10:11]
	s_movk_i32 s10, 0xbf
	v_cmp_lt_u32_e32 vcc, s10, v1
	s_and_saveexec_b64 s[10:11], vcc
	s_cbranch_execz .LBB4_23
; %bb.20:
	s_mov_b64 s[18:19], 0
	s_mov_b64 s[20:21], 0x1000
	;; [unrolled: 1-line block ×3, first 2 shown]
	s_movk_i32 s13, 0x2000
	s_mov_b64 s[24:25], 0x3000
	s_movk_i32 s15, 0x3000
	s_mov_b64 s[26:27], 0x4000
.LBB4_21:                               ; =>This Inner Loop Header: Depth=1
	v_ashrrev_i32_e32 v11, 31, v10
	v_lshl_add_u64 v[24:25], v[10:11], 2, s[8:9]
	global_load_dwordx4 v[74:77], v[12:13], off
	global_load_dword v1, v[24:25], off
	global_load_dword v11, v[24:25], off offset:256
	global_load_dword v54, v[24:25], off offset:512
	;; [unrolled: 1-line block ×3, first 2 shown]
	global_load_dwordx4 v[16:19], v[12:13], off offset:16
	global_load_dwordx4 v[20:23], v[12:13], off offset:48
	;; [unrolled: 1-line block ×3, first 2 shown]
	v_add_co_u32_e32 v50, vcc, s13, v12
	v_lshl_add_u64 v[44:45], v[12:13], 0, s[20:21]
	s_nop 0
	v_addc_co_u32_e32 v51, vcc, 0, v13, vcc
	v_lshl_add_u64 v[46:47], v[12:13], 0, s[22:23]
	v_lshl_add_u64 v[48:49], v[12:13], 0, s[24:25]
	v_add_co_u32_e32 v52, vcc, s15, v12
	global_load_dwordx4 v[24:27], v[44:45], off offset:16
	global_load_dwordx4 v[82:85], v[44:45], off offset:32
	;; [unrolled: 1-line block ×8, first 2 shown]
	v_addc_co_u32_e32 v53, vcc, 0, v13, vcc
	global_load_dwordx4 v[98:101], v[50:51], off offset:-4096
	global_load_dwordx4 v[102:105], v[50:51], off
	global_load_dwordx4 v[44:47], v[48:49], off offset:48
	global_load_dwordx4 v[106:109], v[52:53], off
	v_add_u32_e32 v10, 0x100, v10
	v_cmp_ge_i32_e32 vcc, v10, v14
	v_lshl_add_u64 v[12:13], v[12:13], 0, s[26:27]
	s_or_b64 s[18:19], vcc, s[18:19]
	s_waitcnt vmcnt(18)
	v_subrev_u32_e32 v1, s16, v1
	s_waitcnt vmcnt(17)
	v_subrev_u32_e32 v11, s16, v11
	;; [unrolled: 2-line block ×4, first 2 shown]
	v_lshlrev_b32_e32 v48, 2, v1
	v_lshlrev_b32_e32 v50, 2, v11
	;; [unrolled: 1-line block ×4, first 2 shown]
	v_ashrrev_i32_e32 v49, 31, v48
	v_ashrrev_i32_e32 v51, 31, v50
	;; [unrolled: 1-line block ×4, first 2 shown]
	s_waitcnt lgkmcnt(0)
	v_lshl_add_u64 v[66:67], v[48:49], 2, s[4:5]
	v_lshl_add_u64 v[68:69], v[50:51], 2, s[4:5]
	;; [unrolled: 1-line block ×4, first 2 shown]
	global_load_dwordx4 v[48:51], v[66:67], off
	global_load_dwordx4 v[52:55], v[68:69], off
	;; [unrolled: 1-line block ×4, first 2 shown]
	v_mov_b32_e32 v64, v74
	s_waitcnt vmcnt(18)
	v_mov_b32_e32 v65, v16
	s_waitcnt vmcnt(16)
	v_mov_b32_e32 v66, v78
	v_mov_b32_e32 v67, v20
	;; [unrolled: 1-line block ×10, first 2 shown]
	s_waitcnt vmcnt(15)
	v_mov_b32_e32 v73, v24
	s_waitcnt vmcnt(14)
	v_mov_b32_e32 v76, v82
	;; [unrolled: 2-line block ×4, first 2 shown]
	v_mov_b32_e32 v28, v83
	v_mov_b32_e32 v24, v99
	;; [unrolled: 1-line block ×11, first 2 shown]
	s_waitcnt vmcnt(6)
	v_mov_b32_e32 v80, v102
	v_mov_b32_e32 v36, v87
	;; [unrolled: 1-line block ×12, first 2 shown]
	s_waitcnt vmcnt(5)
	v_mov_b32_e32 v93, v44
	s_waitcnt vmcnt(4)
	v_mov_b32_e32 v88, v106
	v_mov_b32_e32 v44, v95
	;; [unrolled: 1-line block ×8, first 2 shown]
	s_waitcnt vmcnt(3)
	v_pk_fma_f32 v[8:9], v[64:65], v[48:49], v[8:9] op_sel_hi:[1,0,1]
	v_pk_fma_f32 v[6:7], v[66:67], v[48:49], v[6:7] op_sel_hi:[1,0,1]
	v_pk_fma_f32 v[8:9], v[16:17], v[48:49], v[8:9] op_sel:[0,1,0]
	v_pk_fma_f32 v[6:7], v[20:21], v[48:49], v[6:7] op_sel:[0,1,0]
	v_mov_b32_e32 v64, v51
	v_pk_fma_f32 v[8:9], v[68:69], v[50:51], v[8:9] op_sel_hi:[1,0,1]
	v_pk_fma_f32 v[6:7], v[70:71], v[50:51], v[6:7] op_sel_hi:[1,0,1]
	v_pk_fma_f32 v[8:9], v[18:19], v[64:65], v[8:9] op_sel_hi:[1,0,1]
	v_pk_fma_f32 v[6:7], v[22:23], v[64:65], v[6:7] op_sel_hi:[1,0,1]
	s_waitcnt vmcnt(2)
	v_pk_fma_f32 v[8:9], v[72:73], v[52:53], v[8:9] op_sel_hi:[1,0,1]
	v_pk_fma_f32 v[6:7], v[76:77], v[52:53], v[6:7] op_sel_hi:[1,0,1]
	v_pk_fma_f32 v[8:9], v[24:25], v[52:53], v[8:9] op_sel:[0,1,0]
	v_pk_fma_f32 v[6:7], v[28:29], v[52:53], v[6:7] op_sel:[0,1,0]
	v_mov_b32_e32 v66, v55
	v_pk_fma_f32 v[8:9], v[74:75], v[54:55], v[8:9] op_sel_hi:[1,0,1]
	v_pk_fma_f32 v[6:7], v[78:79], v[54:55], v[6:7] op_sel_hi:[1,0,1]
	v_pk_fma_f32 v[8:9], v[26:27], v[66:67], v[8:9] op_sel_hi:[1,0,1]
	v_pk_fma_f32 v[6:7], v[30:31], v[66:67], v[6:7] op_sel_hi:[1,0,1]
	;; [unrolled: 10-line block ×4, first 2 shown]
	s_andn2_b64 exec, exec, s[18:19]
	s_cbranch_execnz .LBB4_21
; %bb.22:
	s_or_b64 exec, exec, s[18:19]
.LBB4_23:
	s_or_b64 exec, exec, s[10:11]
.LBB4_24:
	s_or_b64 exec, exec, s[6:7]
	s_cbranch_execz .LBB4_26
	s_branch .LBB4_37
.LBB4_25:
                                        ; implicit-def: $vgpr7
                                        ; implicit-def: $vgpr9
.LBB4_26:
	v_mov_b32_e32 v7, 0
	v_mov_b32_e32 v6, 0
	v_mov_b32_e32 v9, 0
	v_mov_b32_e32 v8, 0
	s_and_saveexec_b64 s[6:7], s[2:3]
	s_cbranch_execz .LBB4_36
; %bb.27:
	v_add_u32_e32 v1, v15, v3
	v_subrev_u32_e32 v1, s16, v1
	v_add_u32_e32 v1, 64, v1
	v_max_i32_e32 v1, v1, v14
	v_not_b32_e32 v6, v15
	v_add3_u32 v1, s16, v1, v6
	v_sub_u32_e32 v10, v1, v3
	v_mov_b32_e32 v6, 0
	s_movk_i32 s2, 0xc0
	v_and_b32_e32 v1, 0xc0, v10
	v_mov_b32_e32 v7, v6
	v_cmp_ne_u32_e32 vcc, s2, v1
	v_mov_b64_e32 v[8:9], v[6:7]
	s_and_saveexec_b64 s[2:3], vcc
	s_cbranch_execz .LBB4_31
; %bb.28:
	v_lshrrev_b32_e32 v1, 6, v10
	v_add_u32_e32 v1, 1, v1
	v_and_b32_e32 v1, 3, v1
	v_sub_u32_e32 v11, 0, v1
	s_mov_b64 s[10:11], 0
	s_mov_b64 s[18:19], 0x1000
	v_mov_b32_e32 v7, v6
	v_mov_b32_e32 v8, v6
	;; [unrolled: 1-line block ×3, first 2 shown]
.LBB4_29:                               ; =>This Inner Loop Header: Depth=1
	v_ashrrev_i32_e32 v1, 31, v0
	v_lshl_add_u64 v[12:13], v[0:1], 2, s[8:9]
	global_load_dword v1, v[12:13], off
	global_load_dwordx4 v[16:19], v[4:5], off offset:16
	global_load_dwordx4 v[20:23], v[4:5], off
	v_add_co_u32_e32 v11, vcc, 1, v11
	v_add_u32_e32 v0, 64, v0
	s_or_b64 s[10:11], vcc, s[10:11]
	s_waitcnt vmcnt(2)
	v_subrev_u32_e32 v1, s16, v1
	v_lshlrev_b32_e32 v12, 2, v1
	v_ashrrev_i32_e32 v13, 31, v12
	s_waitcnt lgkmcnt(0)
	v_lshl_add_u64 v[12:13], v[12:13], 2, s[4:5]
	global_load_dwordx4 v[24:27], v[12:13], off
	global_load_dwordx4 v[28:31], v[4:5], off offset:32
	global_load_dwordx4 v[32:35], v[4:5], off offset:48
	v_lshl_add_u64 v[4:5], v[4:5], 0, s[18:19]
	s_waitcnt vmcnt(2)
	v_pk_fma_f32 v[8:9], v[20:21], v[24:25], v[8:9] op_sel_hi:[1,0,1]
	v_pk_fma_f32 v[6:7], v[22:23], v[24:25], v[6:7] op_sel_hi:[1,0,1]
	v_pk_fma_f32 v[8:9], v[16:17], v[24:25], v[8:9] op_sel:[0,1,0]
	v_pk_fma_f32 v[6:7], v[18:19], v[24:25], v[6:7] op_sel:[0,1,0]
	v_mov_b32_e32 v12, v27
	s_waitcnt vmcnt(1)
	v_pk_fma_f32 v[8:9], v[28:29], v[26:27], v[8:9] op_sel_hi:[1,0,1]
	v_pk_fma_f32 v[6:7], v[30:31], v[26:27], v[6:7] op_sel_hi:[1,0,1]
	s_waitcnt vmcnt(0)
	v_pk_fma_f32 v[8:9], v[32:33], v[12:13], v[8:9] op_sel_hi:[1,0,1]
	v_pk_fma_f32 v[6:7], v[34:35], v[12:13], v[6:7] op_sel_hi:[1,0,1]
	s_andn2_b64 exec, exec, s[10:11]
	s_cbranch_execnz .LBB4_29
; %bb.30:
	s_or_b64 exec, exec, s[10:11]
.LBB4_31:
	s_or_b64 exec, exec, s[2:3]
	s_movk_i32 s2, 0xbf
	v_cmp_lt_u32_e32 vcc, s2, v10
	s_and_saveexec_b64 s[2:3], vcc
	s_cbranch_execz .LBB4_35
; %bb.32:
	s_mov_b64 s[10:11], 0
	s_mov_b64 s[18:19], 0x1000
	;; [unrolled: 1-line block ×3, first 2 shown]
	s_movk_i32 s13, 0x2000
	s_mov_b64 s[22:23], 0x3000
	s_movk_i32 s15, 0x3000
	s_mov_b64 s[24:25], 0x4000
.LBB4_33:                               ; =>This Inner Loop Header: Depth=1
	v_ashrrev_i32_e32 v1, 31, v0
	v_lshl_add_u64 v[28:29], v[0:1], 2, s[8:9]
	global_load_dword v1, v[28:29], off
	global_load_dword v15, v[28:29], off offset:256
	global_load_dword v76, v[28:29], off offset:512
	;; [unrolled: 1-line block ×3, first 2 shown]
	global_load_dwordx4 v[10:13], v[4:5], off offset:48
	global_load_dwordx4 v[16:19], v[4:5], off offset:32
	global_load_dwordx4 v[20:23], v[4:5], off offset:16
	global_load_dwordx4 v[24:27], v[4:5], off
	v_add_co_u32_e32 v70, vcc, s13, v4
	v_lshl_add_u64 v[68:69], v[4:5], 0, s[18:19]
	s_nop 0
	v_addc_co_u32_e32 v71, vcc, 0, v5, vcc
	v_add_co_u32_e32 v74, vcc, s15, v4
	v_lshl_add_u64 v[72:73], v[4:5], 0, s[20:21]
	v_lshl_add_u64 v[92:93], v[4:5], 0, s[22:23]
	v_addc_co_u32_e32 v75, vcc, 0, v5, vcc
	global_load_dwordx4 v[28:31], v[68:69], off offset:48
	global_load_dwordx4 v[32:35], v[68:69], off offset:32
	;; [unrolled: 1-line block ×3, first 2 shown]
	global_load_dwordx4 v[40:43], v[70:71], off offset:-4096
	global_load_dwordx4 v[44:47], v[70:71], off
	global_load_dwordx4 v[48:51], v[72:73], off offset:48
	global_load_dwordx4 v[52:55], v[72:73], off offset:32
	;; [unrolled: 1-line block ×3, first 2 shown]
	global_load_dwordx4 v[60:63], v[74:75], off
	global_load_dwordx4 v[64:67], v[92:93], off offset:16
	v_add_u32_e32 v0, 0x100, v0
	v_cmp_ge_i32_e32 vcc, v0, v14
	v_lshl_add_u64 v[4:5], v[4:5], 0, s[24:25]
	s_or_b64 s[10:11], vcc, s[10:11]
	s_waitcnt vmcnt(17)
	v_subrev_u32_e32 v1, s16, v1
	s_waitcnt vmcnt(16)
	v_subrev_u32_e32 v15, s16, v15
	s_waitcnt vmcnt(15)
	v_subrev_u32_e32 v69, s16, v76
	s_waitcnt vmcnt(14)
	v_subrev_u32_e32 v71, s16, v77
	v_lshlrev_b32_e32 v68, 2, v1
	v_lshlrev_b32_e32 v70, 2, v15
	v_lshlrev_b32_e32 v72, 2, v69
	v_lshlrev_b32_e32 v74, 2, v71
	v_ashrrev_i32_e32 v69, 31, v68
	v_ashrrev_i32_e32 v71, 31, v70
	;; [unrolled: 1-line block ×4, first 2 shown]
	s_waitcnt lgkmcnt(0)
	v_lshl_add_u64 v[94:95], v[68:69], 2, s[4:5]
	v_lshl_add_u64 v[96:97], v[70:71], 2, s[4:5]
	;; [unrolled: 1-line block ×4, first 2 shown]
	global_load_dwordx4 v[68:71], v[94:95], off
	global_load_dwordx4 v[72:75], v[96:97], off
	;; [unrolled: 1-line block ×4, first 2 shown]
	global_load_dwordx4 v[84:87], v[92:93], off offset:32
	global_load_dwordx4 v[88:91], v[92:93], off offset:48
	s_waitcnt vmcnt(5)
	v_pk_fma_f32 v[8:9], v[24:25], v[68:69], v[8:9] op_sel_hi:[1,0,1]
	v_pk_fma_f32 v[6:7], v[26:27], v[68:69], v[6:7] op_sel_hi:[1,0,1]
	v_pk_fma_f32 v[8:9], v[20:21], v[68:69], v[8:9] op_sel:[0,1,0]
	v_pk_fma_f32 v[6:7], v[22:23], v[68:69], v[6:7] op_sel:[0,1,0]
	v_mov_b32_e32 v24, v71
	v_pk_fma_f32 v[8:9], v[16:17], v[70:71], v[8:9] op_sel_hi:[1,0,1]
	v_pk_fma_f32 v[6:7], v[18:19], v[70:71], v[6:7] op_sel_hi:[1,0,1]
	v_pk_fma_f32 v[8:9], v[10:11], v[24:25], v[8:9] op_sel_hi:[1,0,1]
	v_pk_fma_f32 v[6:7], v[12:13], v[24:25], v[6:7] op_sel_hi:[1,0,1]
	s_waitcnt vmcnt(4)
	v_pk_fma_f32 v[8:9], v[40:41], v[72:73], v[8:9] op_sel_hi:[1,0,1]
	v_pk_fma_f32 v[6:7], v[42:43], v[72:73], v[6:7] op_sel_hi:[1,0,1]
	v_pk_fma_f32 v[8:9], v[36:37], v[72:73], v[8:9] op_sel:[0,1,0]
	v_pk_fma_f32 v[6:7], v[38:39], v[72:73], v[6:7] op_sel:[0,1,0]
	v_mov_b32_e32 v26, v75
	v_pk_fma_f32 v[8:9], v[32:33], v[74:75], v[8:9] op_sel_hi:[1,0,1]
	v_pk_fma_f32 v[6:7], v[34:35], v[74:75], v[6:7] op_sel_hi:[1,0,1]
	v_pk_fma_f32 v[8:9], v[28:29], v[26:27], v[8:9] op_sel_hi:[1,0,1]
	v_pk_fma_f32 v[6:7], v[30:31], v[26:27], v[6:7] op_sel_hi:[1,0,1]
	;; [unrolled: 10-line block ×3, first 2 shown]
	s_waitcnt vmcnt(2)
	v_pk_fma_f32 v[8:9], v[60:61], v[80:81], v[8:9] op_sel_hi:[1,0,1]
	v_pk_fma_f32 v[6:7], v[62:63], v[80:81], v[6:7] op_sel_hi:[1,0,1]
	v_pk_fma_f32 v[8:9], v[64:65], v[80:81], v[8:9] op_sel:[0,1,0]
	v_pk_fma_f32 v[6:7], v[66:67], v[80:81], v[6:7] op_sel:[0,1,0]
	v_mov_b32_e32 v94, v83
	s_waitcnt vmcnt(1)
	v_pk_fma_f32 v[8:9], v[84:85], v[82:83], v[8:9] op_sel_hi:[1,0,1]
	v_pk_fma_f32 v[6:7], v[86:87], v[82:83], v[6:7] op_sel_hi:[1,0,1]
	s_waitcnt vmcnt(0)
	v_pk_fma_f32 v[8:9], v[88:89], v[94:95], v[8:9] op_sel_hi:[1,0,1]
	v_pk_fma_f32 v[6:7], v[90:91], v[94:95], v[6:7] op_sel_hi:[1,0,1]
	s_andn2_b64 exec, exec, s[10:11]
	s_cbranch_execnz .LBB4_33
; %bb.34:
	s_or_b64 exec, exec, s[10:11]
.LBB4_35:
	s_or_b64 exec, exec, s[2:3]
.LBB4_36:
	s_or_b64 exec, exec, s[6:7]
.LBB4_37:
	v_mov_b32_dpp v0, v8 row_shr:1 row_mask:0xf bank_mask:0xf
	v_mov_b32_dpp v1, v9 row_shr:1 row_mask:0xf bank_mask:0xf
	v_pk_add_f32 v[0:1], v[8:9], v[0:1]
	v_mov_b32_dpp v8, v6 row_shr:1 row_mask:0xf bank_mask:0xf
	v_mov_b32_dpp v9, v7 row_shr:1 row_mask:0xf bank_mask:0xf
	v_pk_add_f32 v[6:7], v[6:7], v[8:9]
	v_mov_b32_dpp v4, v0 row_shr:2 row_mask:0xf bank_mask:0xf
	v_mov_b32_dpp v5, v1 row_shr:2 row_mask:0xf bank_mask:0xf
	;; [unrolled: 1-line block ×4, first 2 shown]
	v_pk_add_f32 v[0:1], v[0:1], v[4:5]
	v_pk_add_f32 v[6:7], v[6:7], v[8:9]
	v_cmp_eq_u32_e32 vcc, 63, v3
	v_mov_b32_dpp v4, v0 row_shr:4 row_mask:0xf bank_mask:0xe
	v_mov_b32_dpp v5, v1 row_shr:4 row_mask:0xf bank_mask:0xe
	;; [unrolled: 1-line block ×4, first 2 shown]
	v_pk_add_f32 v[0:1], v[0:1], v[4:5]
	v_pk_add_f32 v[6:7], v[6:7], v[8:9]
	s_nop 0
	v_mov_b32_dpp v4, v0 row_shr:8 row_mask:0xf bank_mask:0xc
	v_mov_b32_dpp v5, v1 row_shr:8 row_mask:0xf bank_mask:0xc
	;; [unrolled: 1-line block ×4, first 2 shown]
	v_pk_add_f32 v[0:1], v[0:1], v[4:5]
	v_pk_add_f32 v[6:7], v[6:7], v[8:9]
	s_nop 0
	v_mov_b32_dpp v4, v0 row_bcast:15 row_mask:0xa bank_mask:0xf
	v_mov_b32_dpp v5, v1 row_bcast:15 row_mask:0xa bank_mask:0xf
	v_mov_b32_dpp v8, v6 row_bcast:15 row_mask:0xa bank_mask:0xf
	v_mov_b32_dpp v9, v7 row_bcast:15 row_mask:0xa bank_mask:0xf
	v_pk_add_f32 v[0:1], v[0:1], v[4:5]
	v_pk_add_f32 v[6:7], v[6:7], v[8:9]
	s_nop 0
	v_mov_b32_dpp v4, v0 row_bcast:31 row_mask:0xc bank_mask:0xf
	v_mov_b32_dpp v5, v1 row_bcast:31 row_mask:0xc bank_mask:0xf
	;; [unrolled: 1-line block ×4, first 2 shown]
	s_and_b64 exec, exec, vcc
	s_cbranch_execz .LBB4_10
; %bb.38:
	s_load_dwordx2 s[0:1], s[0:1], 0x50
	v_cmp_eq_f32_e64 s[2:3], s14, 0
	v_pk_add_f32 v[4:5], v[0:1], v[4:5]
	v_pk_add_f32 v[0:1], v[6:7], v[8:9]
	s_and_b64 vcc, exec, s[2:3]
	v_lshlrev_b32_e32 v2, 2, v2
	s_cbranch_vccz .LBB4_40
; %bb.39:
	v_ashrrev_i32_e32 v3, 31, v2
	s_waitcnt lgkmcnt(0)
	v_lshl_add_u64 v[10:11], v[2:3], 2, s[0:1]
	v_pk_mul_f32 v[6:7], s[12:13], v[4:5] op_sel_hi:[0,1]
	v_pk_mul_f32 v[8:9], s[12:13], v[0:1] op_sel_hi:[0,1]
	global_store_dwordx4 v[10:11], v[6:9], off
	s_cbranch_execnz .LBB4_10
	s_branch .LBB4_41
.LBB4_40:
.LBB4_41:
	v_ashrrev_i32_e32 v3, 31, v2
	s_waitcnt lgkmcnt(0)
	v_lshl_add_u64 v[10:11], v[2:3], 2, s[0:1]
	global_load_dwordx4 v[6:9], v[10:11], off
	v_pk_mul_f32 v[2:3], s[12:13], v[4:5] op_sel_hi:[0,1]
	v_pk_mul_f32 v[4:5], s[12:13], v[0:1] op_sel_hi:[0,1]
	s_waitcnt vmcnt(0)
	v_pk_fma_f32 v[0:1], s[14:15], v[6:7], v[2:3] op_sel_hi:[0,1,1]
	v_pk_fma_f32 v[2:3], s[14:15], v[8:9], v[4:5] op_sel_hi:[0,1,1]
	global_store_dwordx4 v[10:11], v[0:3], off
	s_endpgm
	.section	.rodata,"a",@progbits
	.p2align	6, 0x0
	.amdhsa_kernel _ZN9rocsparseL18bsrxmvn_4x4_kernelILj128ELj64EfiifffEEvT3_20rocsparse_direction_NS_24const_host_device_scalarIT1_EES1_PKS1_PKT2_SA_S7_PKT4_PKT5_S5_PT6_21rocsparse_index_base_b
		.amdhsa_group_segment_fixed_size 0
		.amdhsa_private_segment_fixed_size 0
		.amdhsa_kernarg_size 96
		.amdhsa_user_sgpr_count 2
		.amdhsa_user_sgpr_dispatch_ptr 0
		.amdhsa_user_sgpr_queue_ptr 0
		.amdhsa_user_sgpr_kernarg_segment_ptr 1
		.amdhsa_user_sgpr_dispatch_id 0
		.amdhsa_user_sgpr_kernarg_preload_length 0
		.amdhsa_user_sgpr_kernarg_preload_offset 0
		.amdhsa_user_sgpr_private_segment_size 0
		.amdhsa_uses_dynamic_stack 0
		.amdhsa_enable_private_segment 0
		.amdhsa_system_sgpr_workgroup_id_x 1
		.amdhsa_system_sgpr_workgroup_id_y 0
		.amdhsa_system_sgpr_workgroup_id_z 0
		.amdhsa_system_sgpr_workgroup_info 0
		.amdhsa_system_vgpr_workitem_id 0
		.amdhsa_next_free_vgpr 110
		.amdhsa_next_free_sgpr 28
		.amdhsa_accum_offset 112
		.amdhsa_reserve_vcc 1
		.amdhsa_float_round_mode_32 0
		.amdhsa_float_round_mode_16_64 0
		.amdhsa_float_denorm_mode_32 3
		.amdhsa_float_denorm_mode_16_64 3
		.amdhsa_dx10_clamp 1
		.amdhsa_ieee_mode 1
		.amdhsa_fp16_overflow 0
		.amdhsa_tg_split 0
		.amdhsa_exception_fp_ieee_invalid_op 0
		.amdhsa_exception_fp_denorm_src 0
		.amdhsa_exception_fp_ieee_div_zero 0
		.amdhsa_exception_fp_ieee_overflow 0
		.amdhsa_exception_fp_ieee_underflow 0
		.amdhsa_exception_fp_ieee_inexact 0
		.amdhsa_exception_int_div_zero 0
	.end_amdhsa_kernel
	.section	.text._ZN9rocsparseL18bsrxmvn_4x4_kernelILj128ELj64EfiifffEEvT3_20rocsparse_direction_NS_24const_host_device_scalarIT1_EES1_PKS1_PKT2_SA_S7_PKT4_PKT5_S5_PT6_21rocsparse_index_base_b,"axG",@progbits,_ZN9rocsparseL18bsrxmvn_4x4_kernelILj128ELj64EfiifffEEvT3_20rocsparse_direction_NS_24const_host_device_scalarIT1_EES1_PKS1_PKT2_SA_S7_PKT4_PKT5_S5_PT6_21rocsparse_index_base_b,comdat
.Lfunc_end4:
	.size	_ZN9rocsparseL18bsrxmvn_4x4_kernelILj128ELj64EfiifffEEvT3_20rocsparse_direction_NS_24const_host_device_scalarIT1_EES1_PKS1_PKT2_SA_S7_PKT4_PKT5_S5_PT6_21rocsparse_index_base_b, .Lfunc_end4-_ZN9rocsparseL18bsrxmvn_4x4_kernelILj128ELj64EfiifffEEvT3_20rocsparse_direction_NS_24const_host_device_scalarIT1_EES1_PKS1_PKT2_SA_S7_PKT4_PKT5_S5_PT6_21rocsparse_index_base_b
                                        ; -- End function
	.set _ZN9rocsparseL18bsrxmvn_4x4_kernelILj128ELj64EfiifffEEvT3_20rocsparse_direction_NS_24const_host_device_scalarIT1_EES1_PKS1_PKT2_SA_S7_PKT4_PKT5_S5_PT6_21rocsparse_index_base_b.num_vgpr, 110
	.set _ZN9rocsparseL18bsrxmvn_4x4_kernelILj128ELj64EfiifffEEvT3_20rocsparse_direction_NS_24const_host_device_scalarIT1_EES1_PKS1_PKT2_SA_S7_PKT4_PKT5_S5_PT6_21rocsparse_index_base_b.num_agpr, 0
	.set _ZN9rocsparseL18bsrxmvn_4x4_kernelILj128ELj64EfiifffEEvT3_20rocsparse_direction_NS_24const_host_device_scalarIT1_EES1_PKS1_PKT2_SA_S7_PKT4_PKT5_S5_PT6_21rocsparse_index_base_b.numbered_sgpr, 28
	.set _ZN9rocsparseL18bsrxmvn_4x4_kernelILj128ELj64EfiifffEEvT3_20rocsparse_direction_NS_24const_host_device_scalarIT1_EES1_PKS1_PKT2_SA_S7_PKT4_PKT5_S5_PT6_21rocsparse_index_base_b.num_named_barrier, 0
	.set _ZN9rocsparseL18bsrxmvn_4x4_kernelILj128ELj64EfiifffEEvT3_20rocsparse_direction_NS_24const_host_device_scalarIT1_EES1_PKS1_PKT2_SA_S7_PKT4_PKT5_S5_PT6_21rocsparse_index_base_b.private_seg_size, 0
	.set _ZN9rocsparseL18bsrxmvn_4x4_kernelILj128ELj64EfiifffEEvT3_20rocsparse_direction_NS_24const_host_device_scalarIT1_EES1_PKS1_PKT2_SA_S7_PKT4_PKT5_S5_PT6_21rocsparse_index_base_b.uses_vcc, 1
	.set _ZN9rocsparseL18bsrxmvn_4x4_kernelILj128ELj64EfiifffEEvT3_20rocsparse_direction_NS_24const_host_device_scalarIT1_EES1_PKS1_PKT2_SA_S7_PKT4_PKT5_S5_PT6_21rocsparse_index_base_b.uses_flat_scratch, 0
	.set _ZN9rocsparseL18bsrxmvn_4x4_kernelILj128ELj64EfiifffEEvT3_20rocsparse_direction_NS_24const_host_device_scalarIT1_EES1_PKS1_PKT2_SA_S7_PKT4_PKT5_S5_PT6_21rocsparse_index_base_b.has_dyn_sized_stack, 0
	.set _ZN9rocsparseL18bsrxmvn_4x4_kernelILj128ELj64EfiifffEEvT3_20rocsparse_direction_NS_24const_host_device_scalarIT1_EES1_PKS1_PKT2_SA_S7_PKT4_PKT5_S5_PT6_21rocsparse_index_base_b.has_recursion, 0
	.set _ZN9rocsparseL18bsrxmvn_4x4_kernelILj128ELj64EfiifffEEvT3_20rocsparse_direction_NS_24const_host_device_scalarIT1_EES1_PKS1_PKT2_SA_S7_PKT4_PKT5_S5_PT6_21rocsparse_index_base_b.has_indirect_call, 0
	.section	.AMDGPU.csdata,"",@progbits
; Kernel info:
; codeLenInByte = 3336
; TotalNumSgprs: 34
; NumVgprs: 110
; NumAgprs: 0
; TotalNumVgprs: 110
; ScratchSize: 0
; MemoryBound: 1
; FloatMode: 240
; IeeeMode: 1
; LDSByteSize: 0 bytes/workgroup (compile time only)
; SGPRBlocks: 4
; VGPRBlocks: 13
; NumSGPRsForWavesPerEU: 34
; NumVGPRsForWavesPerEU: 110
; AccumOffset: 112
; Occupancy: 4
; WaveLimiterHint : 1
; COMPUTE_PGM_RSRC2:SCRATCH_EN: 0
; COMPUTE_PGM_RSRC2:USER_SGPR: 2
; COMPUTE_PGM_RSRC2:TRAP_HANDLER: 0
; COMPUTE_PGM_RSRC2:TGID_X_EN: 1
; COMPUTE_PGM_RSRC2:TGID_Y_EN: 0
; COMPUTE_PGM_RSRC2:TGID_Z_EN: 0
; COMPUTE_PGM_RSRC2:TIDIG_COMP_CNT: 0
; COMPUTE_PGM_RSRC3_GFX90A:ACCUM_OFFSET: 27
; COMPUTE_PGM_RSRC3_GFX90A:TG_SPLIT: 0
	.section	.text._ZN9rocsparseL18bsrxmvn_4x4_kernelILj128ELj4EdiidddEEvT3_20rocsparse_direction_NS_24const_host_device_scalarIT1_EES1_PKS1_PKT2_SA_S7_PKT4_PKT5_S5_PT6_21rocsparse_index_base_b,"axG",@progbits,_ZN9rocsparseL18bsrxmvn_4x4_kernelILj128ELj4EdiidddEEvT3_20rocsparse_direction_NS_24const_host_device_scalarIT1_EES1_PKS1_PKT2_SA_S7_PKT4_PKT5_S5_PT6_21rocsparse_index_base_b,comdat
	.globl	_ZN9rocsparseL18bsrxmvn_4x4_kernelILj128ELj4EdiidddEEvT3_20rocsparse_direction_NS_24const_host_device_scalarIT1_EES1_PKS1_PKT2_SA_S7_PKT4_PKT5_S5_PT6_21rocsparse_index_base_b ; -- Begin function _ZN9rocsparseL18bsrxmvn_4x4_kernelILj128ELj4EdiidddEEvT3_20rocsparse_direction_NS_24const_host_device_scalarIT1_EES1_PKS1_PKT2_SA_S7_PKT4_PKT5_S5_PT6_21rocsparse_index_base_b
	.p2align	8
	.type	_ZN9rocsparseL18bsrxmvn_4x4_kernelILj128ELj4EdiidddEEvT3_20rocsparse_direction_NS_24const_host_device_scalarIT1_EES1_PKS1_PKT2_SA_S7_PKT4_PKT5_S5_PT6_21rocsparse_index_base_b,@function
_ZN9rocsparseL18bsrxmvn_4x4_kernelILj128ELj4EdiidddEEvT3_20rocsparse_direction_NS_24const_host_device_scalarIT1_EES1_PKS1_PKT2_SA_S7_PKT4_PKT5_S5_PT6_21rocsparse_index_base_b: ; @_ZN9rocsparseL18bsrxmvn_4x4_kernelILj128ELj4EdiidddEEvT3_20rocsparse_direction_NS_24const_host_device_scalarIT1_EES1_PKS1_PKT2_SA_S7_PKT4_PKT5_S5_PT6_21rocsparse_index_base_b
; %bb.0:
	s_load_dwordx2 s[12:13], s[0:1], 0x58
	s_load_dwordx2 s[8:9], s[0:1], 0x8
	;; [unrolled: 1-line block ×3, first 2 shown]
	s_waitcnt lgkmcnt(0)
	s_bitcmp1_b32 s13, 0
	s_cselect_b64 s[10:11], -1, 0
	s_xor_b64 s[6:7], s[10:11], -1
	s_and_b64 vcc, exec, s[10:11]
	v_mov_b64_e32 v[54:55], s[8:9]
	s_cbranch_vccnz .LBB5_2
; %bb.1:
	v_mov_b64_e32 v[2:3], s[8:9]
	flat_load_dwordx2 v[54:55], v[2:3]
.LBB5_2:
	s_andn2_b64 vcc, exec, s[6:7]
	v_mov_b64_e32 v[52:53], s[4:5]
	s_cbranch_vccnz .LBB5_4
; %bb.3:
	v_mov_b64_e32 v[2:3], s[4:5]
	flat_load_dwordx2 v[52:53], v[2:3]
.LBB5_4:
	s_waitcnt vmcnt(0) lgkmcnt(0)
	v_cmp_neq_f64_e32 vcc, 0, v[54:55]
	v_cmp_neq_f64_e64 s[4:5], 1.0, v[52:53]
	s_mov_b64 s[6:7], 0
	s_or_b64 s[4:5], vcc, s[4:5]
	s_and_saveexec_b64 s[8:9], s[4:5]
	s_cbranch_execz .LBB5_10
; %bb.5:
	s_load_dwordx2 s[4:5], s[0:1], 0x18
	s_load_dwordx2 s[14:15], s[0:1], 0x0
	v_lshrrev_b32_e32 v1, 2, v0
	v_lshl_or_b32 v56, s2, 5, v1
	s_mov_b64 s[2:3], 0
	s_waitcnt lgkmcnt(0)
	s_cmp_lg_u64 s[4:5], 0
	s_cbranch_scc0 .LBB5_11
; %bb.6:
	s_load_dword s6, s[0:1], 0x10
                                        ; implicit-def: $vgpr1
	s_waitcnt lgkmcnt(0)
	v_cmp_gt_i32_e32 vcc, s6, v56
	s_and_saveexec_b64 s[6:7], vcc
	s_xor_b64 s[6:7], exec, s[6:7]
	s_cbranch_execz .LBB5_8
; %bb.7:
	v_ashrrev_i32_e32 v57, 31, v56
	v_lshl_add_u64 v[2:3], v[56:57], 2, s[4:5]
	global_load_dword v1, v[2:3], off
	s_mov_b64 s[2:3], exec
	s_waitcnt vmcnt(0)
	v_subrev_u32_e32 v1, s12, v1
.LBB5_8:
	s_or_b64 exec, exec, s[6:7]
	s_mov_b64 s[6:7], s[2:3]
	s_branch .LBB5_12
.LBB5_9:
	v_cmp_gt_i32_e32 vcc, s14, v56
	s_andn2_b64 s[2:3], s[6:7], exec
	s_and_b64 s[4:5], vcc, exec
	s_or_b64 s[6:7], s[2:3], s[4:5]
	s_and_b64 exec, exec, s[6:7]
	s_cbranch_execnz .LBB5_13
.LBB5_10:
	s_endpgm
.LBB5_11:
                                        ; implicit-def: $vgpr1
	s_cbranch_execnz .LBB5_9
.LBB5_12:
	v_mov_b32_e32 v56, v1
	s_and_b64 exec, exec, s[6:7]
	s_cbranch_execz .LBB5_10
.LBB5_13:
	s_load_dwordx8 s[4:11], s[0:1], 0x20
	v_ashrrev_i32_e32 v57, 31, v56
	v_lshlrev_b64 v[2:3], 2, v[56:57]
	v_and_b32_e32 v57, 3, v0
	s_waitcnt lgkmcnt(0)
	v_lshl_add_u64 v[4:5], s[4:5], 0, v[2:3]
	s_cmp_eq_u64 s[6:7], 0
	global_load_dword v75, v[4:5], off
	v_lshl_add_u64 v[4:5], v[4:5], 0, 4
	v_lshl_add_u64 v[2:3], s[6:7], 0, v[2:3]
	s_cselect_b64 vcc, -1, 0
	v_cndmask_b32_e32 v3, v3, v5, vcc
	v_cndmask_b32_e32 v2, v2, v4, vcc
	global_load_dword v1, v[2:3], off
	s_load_dwordx2 s[4:5], s[0:1], 0x40
	s_cmp_eq_u32 s15, 1
	s_waitcnt vmcnt(1)
	v_subrev_u32_e32 v0, s12, v75
	v_add_u32_e32 v60, v0, v57
	v_ashrrev_i32_e32 v61, 31, v60
	s_waitcnt vmcnt(0)
	v_subrev_u32_e32 v74, s12, v1
	v_lshlrev_b64 v[0:1], 7, v[60:61]
	v_lshl_add_u64 v[62:63], s[10:11], 0, v[0:1]
	v_cmp_lt_i32_e64 s[2:3], v60, v74
	s_cbranch_scc1 .LBB5_25
; %bb.14:
	v_mov_b64_e32 v[58:59], 0
	v_mov_b64_e32 v[64:65], 0
	;; [unrolled: 1-line block ×4, first 2 shown]
	s_and_saveexec_b64 s[6:7], s[2:3]
	s_cbranch_execz .LBB5_24
; %bb.15:
	v_add_u32_e32 v0, v75, v57
	v_subrev_u32_e32 v0, s12, v0
	v_add_u32_e32 v0, 4, v0
	v_max_i32_e32 v0, v0, v74
	v_not_b32_e32 v1, v75
	v_add3_u32 v0, s12, v0, v1
	v_sub_u32_e32 v0, v0, v57
	v_and_b32_e32 v1, 12, v0
	v_cmp_ne_u32_e32 vcc, 12, v1
	v_mov_b64_e32 v[68:69], 0
	v_mov_b64_e32 v[66:67], 0
	;; [unrolled: 1-line block ×4, first 2 shown]
	v_mov_b32_e32 v70, v60
	v_mov_b64_e32 v[72:73], v[62:63]
	s_and_saveexec_b64 s[10:11], vcc
	s_cbranch_execz .LBB5_19
; %bb.16:
	v_lshrrev_b32_e32 v1, 2, v0
	v_add_u32_e32 v1, 1, v1
	v_and_b32_e32 v1, 3, v1
	v_sub_u32_e32 v1, 0, v1
	v_mov_b64_e32 v[58:59], 0
	s_mov_b64 s[14:15], 0
	s_mov_b64 s[16:17], 0x200
	v_mov_b64_e32 v[72:73], v[62:63]
	v_mov_b32_e32 v70, v60
	v_mov_b64_e32 v[64:65], 0
	v_mov_b64_e32 v[66:67], 0
	;; [unrolled: 1-line block ×3, first 2 shown]
.LBB5_17:                               ; =>This Inner Loop Header: Depth=1
	v_ashrrev_i32_e32 v71, 31, v70
	v_lshl_add_u64 v[34:35], v[70:71], 2, s[8:9]
	global_load_dword v36, v[34:35], off
	global_load_dwordx4 v[2:5], v[72:73], off offset:48
	global_load_dwordx4 v[6:9], v[72:73], off offset:32
	;; [unrolled: 1-line block ×3, first 2 shown]
	global_load_dwordx4 v[14:17], v[72:73], off
	global_load_dwordx4 v[18:21], v[72:73], off offset:112
	global_load_dwordx4 v[22:25], v[72:73], off offset:96
	;; [unrolled: 1-line block ×4, first 2 shown]
	v_add_co_u32_e32 v1, vcc, 1, v1
	v_lshl_add_u64 v[72:73], v[72:73], 0, s[16:17]
	v_add_u32_e32 v70, 4, v70
	s_or_b64 s[14:15], vcc, s[14:15]
	s_waitcnt vmcnt(8)
	v_subrev_u32_e32 v34, s12, v36
	v_lshlrev_b32_e32 v34, 2, v34
	v_ashrrev_i32_e32 v35, 31, v34
	s_waitcnt lgkmcnt(0)
	v_lshl_add_u64 v[42:43], v[34:35], 3, s[4:5]
	global_load_dwordx4 v[34:37], v[42:43], off
	global_load_dwordx4 v[38:41], v[42:43], off offset:16
	s_waitcnt vmcnt(1)
	v_fmac_f64_e32 v[68:69], v[14:15], v[34:35]
	v_fmac_f64_e32 v[66:67], v[6:7], v[34:35]
	;; [unrolled: 1-line block ×8, first 2 shown]
	s_waitcnt vmcnt(0)
	v_fmac_f64_e32 v[68:69], v[10:11], v[38:39]
	v_fmac_f64_e32 v[66:67], v[2:3], v[38:39]
	;; [unrolled: 1-line block ×8, first 2 shown]
	s_andn2_b64 exec, exec, s[14:15]
	s_cbranch_execnz .LBB5_17
; %bb.18:
	s_or_b64 exec, exec, s[14:15]
.LBB5_19:
	s_or_b64 exec, exec, s[10:11]
	v_cmp_lt_u32_e32 vcc, 11, v0
	s_and_saveexec_b64 s[10:11], vcc
	s_cbranch_execz .LBB5_23
; %bb.20:
	s_mov_b64 s[14:15], 0
	s_mov_b64 s[16:17], 0x800
.LBB5_21:                               ; =>This Inner Loop Header: Depth=1
	v_ashrrev_i32_e32 v71, 31, v70
	v_lshl_add_u64 v[92:93], v[70:71], 2, s[8:9]
	global_load_dwordx4 v[0:3], v[72:73], off offset:48
	global_load_dwordx4 v[8:11], v[72:73], off offset:32
	;; [unrolled: 1-line block ×3, first 2 shown]
	global_load_dwordx4 v[12:15], v[72:73], off
	global_load_dwordx4 v[16:19], v[72:73], off offset:112
	global_load_dwordx4 v[24:27], v[72:73], off offset:96
	;; [unrolled: 1-line block ×13, first 2 shown]
	global_load_dword v61, v[92:93], off
	global_load_dword v71, v[92:93], off offset:16
	global_load_dword v102, v[92:93], off offset:32
	;; [unrolled: 1-line block ×3, first 2 shown]
	v_add_u32_e32 v70, 16, v70
	v_cmp_ge_i32_e32 vcc, v70, v74
	s_or_b64 s[14:15], vcc, s[14:15]
	s_waitcnt vmcnt(3)
	v_subrev_u32_e32 v61, s12, v61
	v_lshlrev_b32_e32 v92, 2, v61
	v_ashrrev_i32_e32 v93, 31, v92
	s_waitcnt lgkmcnt(0)
	v_lshl_add_u64 v[100:101], v[92:93], 3, s[4:5]
	global_load_dwordx4 v[92:95], v[100:101], off
	global_load_dwordx4 v[96:99], v[100:101], off offset:16
	s_waitcnt vmcnt(4)
	v_subrev_u32_e32 v61, s12, v71
	s_waitcnt vmcnt(2)
	v_subrev_u32_e32 v71, s12, v103
	s_waitcnt vmcnt(1)
	v_fmac_f64_e32 v[58:59], v[24:25], v[92:93]
	v_fmac_f64_e32 v[58:59], v[26:27], v[94:95]
	;; [unrolled: 1-line block ×5, first 2 shown]
	s_waitcnt vmcnt(0)
	v_fmac_f64_e32 v[58:59], v[16:17], v[96:97]
	v_lshlrev_b32_e32 v16, 2, v61
	v_fmac_f64_e32 v[68:69], v[14:15], v[94:95]
	v_fmac_f64_e32 v[66:67], v[10:11], v[94:95]
	;; [unrolled: 1-line block ×3, first 2 shown]
	v_ashrrev_i32_e32 v17, 31, v16
	v_fmac_f64_e32 v[68:69], v[4:5], v[96:97]
	v_fmac_f64_e32 v[66:67], v[0:1], v[96:97]
	;; [unrolled: 1-line block ×3, first 2 shown]
	v_lshl_add_u64 v[100:101], v[16:17], 3, s[4:5]
	global_load_dwordx4 v[12:15], v[72:73], off offset:1056
	global_load_dwordx4 v[8:11], v[72:73], off offset:1040
	global_load_dwordx4 v[32:35], v[72:73], off offset:1024
	global_load_dwordx4 v[24:27], v[72:73], off offset:1136
	global_load_dwordx4 v[92:95], v[72:73], off offset:1120
	v_fmac_f64_e32 v[68:69], v[6:7], v[98:99]
	global_load_dwordx4 v[4:7], v[72:73], off offset:1104
	v_fmac_f64_e32 v[66:67], v[2:3], v[98:99]
	global_load_dwordx4 v[0:3], v[72:73], off offset:1088
	;; [unrolled: 2-line block ×3, first 2 shown]
	v_fmac_f64_e32 v[58:59], v[18:19], v[98:99]
	global_load_dwordx4 v[16:19], v[100:101], off
	global_load_dwordx4 v[96:99], v[100:101], off offset:16
	v_subrev_u32_e32 v61, s12, v102
	v_lshlrev_b32_e32 v100, 2, v61
	v_ashrrev_i32_e32 v101, 31, v100
	v_lshl_add_u64 v[100:101], v[100:101], 3, s[4:5]
	s_waitcnt vmcnt(1)
	v_fmac_f64_e32 v[64:65], v[88:89], v[16:17]
	v_fmac_f64_e32 v[68:69], v[44:45], v[16:17]
	;; [unrolled: 1-line block ×8, first 2 shown]
	s_waitcnt vmcnt(0)
	v_fmac_f64_e32 v[64:65], v[84:85], v[96:97]
	v_lshlrev_b32_e32 v84, 2, v71
	v_fmac_f64_e32 v[68:69], v[36:37], v[96:97]
	v_fmac_f64_e32 v[66:67], v[28:29], v[96:97]
	v_ashrrev_i32_e32 v85, 31, v84
	v_fmac_f64_e32 v[58:59], v[76:77], v[96:97]
	global_load_dwordx4 v[44:47], v[72:73], off offset:1568
	global_load_dwordx4 v[40:43], v[72:73], off offset:1552
	;; [unrolled: 1-line block ×5, first 2 shown]
	v_fmac_f64_e32 v[68:69], v[38:39], v[98:99]
	global_load_dwordx4 v[36:39], v[72:73], off offset:1616
	v_fmac_f64_e32 v[66:67], v[30:31], v[98:99]
	global_load_dwordx4 v[28:31], v[72:73], off offset:1600
	v_fmac_f64_e32 v[64:65], v[86:87], v[98:99]
	v_lshl_add_u64 v[102:103], v[84:85], 3, s[4:5]
	v_fmac_f64_e32 v[58:59], v[78:79], v[98:99]
	global_load_dwordx4 v[76:79], v[100:101], off
	global_load_dwordx4 v[84:87], v[100:101], off offset:16
	global_load_dwordx4 v[96:99], v[102:103], off
	v_lshl_add_u64 v[72:73], v[72:73], 0, s[16:17]
	s_waitcnt vmcnt(2)
	v_fmac_f64_e32 v[68:69], v[32:33], v[76:77]
	v_fmac_f64_e32 v[68:69], v[34:35], v[78:79]
	global_load_dwordx4 v[32:35], v[102:103], off offset:16
	v_fmac_f64_e32 v[66:67], v[12:13], v[76:77]
	v_fmac_f64_e32 v[64:65], v[0:1], v[76:77]
	v_fmac_f64_e32 v[58:59], v[92:93], v[76:77]
	v_fmac_f64_e32 v[66:67], v[14:15], v[78:79]
	v_fmac_f64_e32 v[64:65], v[2:3], v[78:79]
	v_fmac_f64_e32 v[58:59], v[94:95], v[78:79]
	s_waitcnt vmcnt(2)
	v_fmac_f64_e32 v[68:69], v[8:9], v[84:85]
	v_fmac_f64_e32 v[66:67], v[48:49], v[84:85]
	v_fmac_f64_e32 v[64:65], v[4:5], v[84:85]
	v_fmac_f64_e32 v[58:59], v[24:25], v[84:85]
	v_fmac_f64_e32 v[68:69], v[10:11], v[86:87]
	v_fmac_f64_e32 v[66:67], v[50:51], v[86:87]
	v_fmac_f64_e32 v[64:65], v[6:7], v[86:87]
	v_fmac_f64_e32 v[58:59], v[26:27], v[86:87]
	s_waitcnt vmcnt(1)
	v_fmac_f64_e32 v[68:69], v[88:89], v[96:97]
	v_fmac_f64_e32 v[66:67], v[44:45], v[96:97]
	;; [unrolled: 9-line block ×3, first 2 shown]
	v_fmac_f64_e32 v[64:65], v[36:37], v[32:33]
	v_fmac_f64_e32 v[58:59], v[16:17], v[32:33]
	;; [unrolled: 1-line block ×6, first 2 shown]
	s_andn2_b64 exec, exec, s[14:15]
	s_cbranch_execnz .LBB5_21
; %bb.22:
	s_or_b64 exec, exec, s[14:15]
.LBB5_23:
	s_or_b64 exec, exec, s[10:11]
.LBB5_24:
	s_or_b64 exec, exec, s[6:7]
	s_cbranch_execz .LBB5_26
	s_branch .LBB5_37
.LBB5_25:
                                        ; implicit-def: $vgpr58_vgpr59
                                        ; implicit-def: $vgpr64_vgpr65
                                        ; implicit-def: $vgpr66_vgpr67
                                        ; implicit-def: $vgpr68_vgpr69
.LBB5_26:
	v_mov_b64_e32 v[58:59], 0
	v_mov_b64_e32 v[64:65], 0
	;; [unrolled: 1-line block ×4, first 2 shown]
	s_and_saveexec_b64 s[6:7], s[2:3]
	s_cbranch_execz .LBB5_36
; %bb.27:
	v_add_u32_e32 v0, v75, v57
	v_subrev_u32_e32 v0, s12, v0
	v_add_u32_e32 v0, 4, v0
	v_max_i32_e32 v0, v0, v74
	v_not_b32_e32 v1, v75
	v_add3_u32 v0, s12, v0, v1
	v_sub_u32_e32 v0, v0, v57
	v_and_b32_e32 v1, 12, v0
	v_cmp_ne_u32_e32 vcc, 12, v1
	v_mov_b64_e32 v[68:69], 0
	v_mov_b64_e32 v[66:67], 0
	;; [unrolled: 1-line block ×4, first 2 shown]
	s_and_saveexec_b64 s[2:3], vcc
	s_cbranch_execz .LBB5_31
; %bb.28:
	v_lshrrev_b32_e32 v1, 2, v0
	v_add_u32_e32 v1, 1, v1
	v_and_b32_e32 v1, 3, v1
	v_sub_u32_e32 v1, 0, v1
	v_mov_b64_e32 v[58:59], 0
	s_mov_b64 s[10:11], 0
	s_mov_b64 s[14:15], 0x200
	v_mov_b64_e32 v[64:65], 0
	v_mov_b64_e32 v[66:67], 0
	;; [unrolled: 1-line block ×3, first 2 shown]
.LBB5_29:                               ; =>This Inner Loop Header: Depth=1
	v_ashrrev_i32_e32 v61, 31, v60
	v_lshl_add_u64 v[26:27], v[60:61], 2, s[8:9]
	global_load_dword v28, v[26:27], off
	global_load_dwordx4 v[2:5], v[62:63], off offset:48
	global_load_dwordx4 v[6:9], v[62:63], off offset:32
	;; [unrolled: 1-line block ×3, first 2 shown]
	global_load_dwordx4 v[14:17], v[62:63], off
	global_load_dwordx4 v[18:21], v[62:63], off offset:80
	global_load_dwordx4 v[22:25], v[62:63], off offset:64
	v_add_co_u32_e32 v1, vcc, 1, v1
	v_add_u32_e32 v60, 4, v60
	s_or_b64 s[10:11], vcc, s[10:11]
	s_waitcnt vmcnt(6)
	v_subrev_u32_e32 v26, s12, v28
	v_lshlrev_b32_e32 v26, 2, v26
	v_ashrrev_i32_e32 v27, 31, v26
	s_waitcnt lgkmcnt(0)
	v_lshl_add_u64 v[42:43], v[26:27], 3, s[4:5]
	global_load_dwordx4 v[26:29], v[42:43], off
	global_load_dwordx4 v[30:33], v[42:43], off offset:16
	global_load_dwordx4 v[34:37], v[62:63], off offset:96
	;; [unrolled: 1-line block ×3, first 2 shown]
	v_lshl_add_u64 v[62:63], v[62:63], 0, s[14:15]
	s_waitcnt vmcnt(3)
	v_fmac_f64_e32 v[68:69], v[14:15], v[26:27]
	v_fmac_f64_e32 v[66:67], v[16:17], v[26:27]
	;; [unrolled: 1-line block ×8, first 2 shown]
	s_waitcnt vmcnt(2)
	v_fmac_f64_e32 v[68:69], v[22:23], v[30:31]
	v_fmac_f64_e32 v[66:67], v[24:25], v[30:31]
	;; [unrolled: 1-line block ×4, first 2 shown]
	s_waitcnt vmcnt(1)
	v_fmac_f64_e32 v[68:69], v[34:35], v[32:33]
	v_fmac_f64_e32 v[66:67], v[36:37], v[32:33]
	s_waitcnt vmcnt(0)
	v_fmac_f64_e32 v[64:65], v[38:39], v[32:33]
	v_fmac_f64_e32 v[58:59], v[40:41], v[32:33]
	s_andn2_b64 exec, exec, s[10:11]
	s_cbranch_execnz .LBB5_29
; %bb.30:
	s_or_b64 exec, exec, s[10:11]
.LBB5_31:
	s_or_b64 exec, exec, s[2:3]
	v_cmp_lt_u32_e32 vcc, 11, v0
	s_and_saveexec_b64 s[2:3], vcc
	s_cbranch_execz .LBB5_35
; %bb.32:
	s_mov_b64 s[10:11], 0
	s_mov_b64 s[14:15], 0x800
.LBB5_33:                               ; =>This Inner Loop Header: Depth=1
	v_ashrrev_i32_e32 v61, 31, v60
	v_lshl_add_u64 v[70:71], v[60:61], 2, s[8:9]
	global_load_dwordx4 v[0:3], v[62:63], off offset:48
	global_load_dwordx4 v[4:7], v[62:63], off offset:32
	;; [unrolled: 1-line block ×3, first 2 shown]
	global_load_dwordx4 v[12:15], v[62:63], off
	global_load_dwordx4 v[16:19], v[62:63], off offset:112
	global_load_dwordx4 v[20:23], v[62:63], off offset:96
	;; [unrolled: 1-line block ×9, first 2 shown]
	global_load_dword v61, v[70:71], off
	global_load_dword v75, v[70:71], off offset:16
	global_load_dword v82, v[70:71], off offset:32
	;; [unrolled: 1-line block ×3, first 2 shown]
	v_add_u32_e32 v60, 16, v60
	v_cmp_ge_i32_e32 vcc, v60, v74
	s_or_b64 s[10:11], vcc, s[10:11]
	s_waitcnt vmcnt(3)
	v_subrev_u32_e32 v61, s12, v61
	v_lshlrev_b32_e32 v70, 2, v61
	v_ashrrev_i32_e32 v71, 31, v70
	s_waitcnt lgkmcnt(0)
	v_lshl_add_u64 v[80:81], v[70:71], 3, s[4:5]
	global_load_dwordx4 v[70:73], v[80:81], off
	global_load_dwordx4 v[76:79], v[80:81], off offset:16
	s_waitcnt vmcnt(4)
	v_subrev_u32_e32 v61, s12, v75
	s_waitcnt vmcnt(1)
	v_fmac_f64_e32 v[64:65], v[8:9], v[70:71]
	v_fmac_f64_e32 v[64:65], v[0:1], v[72:73]
	s_waitcnt vmcnt(0)
	v_fmac_f64_e32 v[64:65], v[32:33], v[76:77]
	v_fmac_f64_e32 v[68:69], v[12:13], v[70:71]
	;; [unrolled: 1-line block ×5, first 2 shown]
	v_lshlrev_b32_e32 v16, 2, v61
	v_fmac_f64_e32 v[68:69], v[4:5], v[72:73]
	v_fmac_f64_e32 v[66:67], v[6:7], v[72:73]
	;; [unrolled: 1-line block ×3, first 2 shown]
	v_ashrrev_i32_e32 v17, 31, v16
	v_fmac_f64_e32 v[68:69], v[40:41], v[76:77]
	v_fmac_f64_e32 v[66:67], v[42:43], v[76:77]
	;; [unrolled: 1-line block ×3, first 2 shown]
	v_lshl_add_u64 v[80:81], v[16:17], 3, s[4:5]
	global_load_dwordx4 v[12:15], v[62:63], off offset:608
	global_load_dwordx4 v[8:11], v[62:63], off offset:592
	;; [unrolled: 1-line block ×7, first 2 shown]
	v_fmac_f64_e32 v[68:69], v[20:21], v[78:79]
	v_fmac_f64_e32 v[66:67], v[22:23], v[78:79]
	global_load_dwordx4 v[20:23], v[62:63], off offset:1136
	v_fmac_f64_e32 v[58:59], v[18:19], v[78:79]
	global_load_dwordx4 v[16:19], v[80:81], off
	global_load_dwordx4 v[76:79], v[80:81], off offset:16
	v_subrev_u32_e32 v61, s12, v82
	s_waitcnt vmcnt(1)
	v_fmac_f64_e32 v[68:69], v[44:45], v[16:17]
	v_fmac_f64_e32 v[66:67], v[46:47], v[16:17]
	;; [unrolled: 1-line block ×8, first 2 shown]
	s_waitcnt vmcnt(0)
	v_fmac_f64_e32 v[68:69], v[4:5], v[76:77]
	v_fmac_f64_e32 v[66:67], v[6:7], v[76:77]
	v_fmac_f64_e32 v[64:65], v[8:9], v[76:77]
	v_fmac_f64_e32 v[58:59], v[10:11], v[76:77]
	v_lshlrev_b32_e32 v76, 2, v61
	v_ashrrev_i32_e32 v77, 31, v76
	v_lshl_add_u64 v[80:81], v[76:77], 3, s[4:5]
	global_load_dwordx4 v[44:47], v[62:63], off offset:1120
	global_load_dwordx4 v[36:39], v[62:63], off offset:1104
	;; [unrolled: 1-line block ×7, first 2 shown]
	v_fmac_f64_e32 v[68:69], v[12:13], v[78:79]
	v_fmac_f64_e32 v[66:67], v[14:15], v[78:79]
	global_load_dwordx4 v[12:15], v[62:63], off offset:1632
	v_fmac_f64_e32 v[64:65], v[48:49], v[78:79]
	v_fmac_f64_e32 v[58:59], v[50:51], v[78:79]
	global_load_dwordx4 v[48:51], v[80:81], off
	global_load_dwordx4 v[76:79], v[80:81], off offset:16
	s_waitcnt vmcnt(1)
	v_fmac_f64_e32 v[68:69], v[32:33], v[48:49]
	v_fmac_f64_e32 v[66:67], v[34:35], v[48:49]
	;; [unrolled: 1-line block ×4, first 2 shown]
	v_subrev_u32_e32 v48, s12, v83
	v_lshlrev_b32_e32 v48, 2, v48
	v_ashrrev_i32_e32 v49, 31, v48
	v_lshl_add_u64 v[80:81], v[48:49], 3, s[4:5]
	v_fmac_f64_e32 v[68:69], v[70:71], v[50:51]
	v_fmac_f64_e32 v[66:67], v[72:73], v[50:51]
	global_load_dwordx4 v[70:73], v[80:81], off
	global_load_dwordx4 v[32:35], v[62:63], off offset:1616
	global_load_dwordx4 v[40:43], v[62:63], off offset:1600
	v_fmac_f64_e32 v[64:65], v[0:1], v[50:51]
	v_fmac_f64_e32 v[58:59], v[2:3], v[50:51]
	global_load_dwordx4 v[0:3], v[80:81], off offset:16
	global_load_dwordx4 v[48:51], v[62:63], off offset:1648
	s_waitcnt vmcnt(5)
	v_fmac_f64_e32 v[68:69], v[28:29], v[76:77]
	v_fmac_f64_e32 v[66:67], v[30:31], v[76:77]
	;; [unrolled: 1-line block ×8, first 2 shown]
	v_lshl_add_u64 v[62:63], v[62:63], 0, s[14:15]
	s_waitcnt vmcnt(4)
	v_fmac_f64_e32 v[68:69], v[8:9], v[70:71]
	v_fmac_f64_e32 v[66:67], v[10:11], v[70:71]
	;; [unrolled: 1-line block ×8, first 2 shown]
	s_waitcnt vmcnt(1)
	v_fmac_f64_e32 v[68:69], v[40:41], v[0:1]
	v_fmac_f64_e32 v[66:67], v[42:43], v[0:1]
	;; [unrolled: 1-line block ×6, first 2 shown]
	s_waitcnt vmcnt(0)
	v_fmac_f64_e32 v[64:65], v[48:49], v[2:3]
	v_fmac_f64_e32 v[58:59], v[50:51], v[2:3]
	s_andn2_b64 exec, exec, s[10:11]
	s_cbranch_execnz .LBB5_33
; %bb.34:
	s_or_b64 exec, exec, s[10:11]
.LBB5_35:
	s_or_b64 exec, exec, s[2:3]
.LBB5_36:
	s_or_b64 exec, exec, s[6:7]
.LBB5_37:
	v_mov_b32_dpp v0, v68 row_shr:1 row_mask:0xf bank_mask:0xf
	v_mov_b32_dpp v1, v69 row_shr:1 row_mask:0xf bank_mask:0xf
	;; [unrolled: 1-line block ×8, first 2 shown]
	v_add_f64 v[0:1], v[68:69], v[0:1]
	v_add_f64 v[4:5], v[66:67], v[4:5]
	;; [unrolled: 1-line block ×4, first 2 shown]
	v_mov_b32_dpp v2, v0 row_shr:2 row_mask:0xf bank_mask:0xf
	v_mov_b32_dpp v3, v1 row_shr:2 row_mask:0xf bank_mask:0xf
	v_mov_b32_dpp v6, v4 row_shr:2 row_mask:0xf bank_mask:0xf
	v_mov_b32_dpp v7, v5 row_shr:2 row_mask:0xf bank_mask:0xf
	v_mov_b32_dpp v10, v8 row_shr:2 row_mask:0xf bank_mask:0xf
	v_mov_b32_dpp v11, v9 row_shr:2 row_mask:0xf bank_mask:0xf
	v_mov_b32_dpp v14, v12 row_shr:2 row_mask:0xf bank_mask:0xf
	v_mov_b32_dpp v15, v13 row_shr:2 row_mask:0xf bank_mask:0xf
	v_cmp_eq_u32_e32 vcc, 3, v57
	s_and_b64 exec, exec, vcc
	s_cbranch_execz .LBB5_10
; %bb.38:
	s_load_dwordx2 s[0:1], s[0:1], 0x50
	v_add_f64 v[0:1], v[0:1], v[2:3]
	v_add_f64 v[2:3], v[4:5], v[6:7]
	;; [unrolled: 1-line block ×4, first 2 shown]
	v_cmp_eq_f64_e32 vcc, 0, v[52:53]
	v_mul_f64 v[4:5], v[54:55], v[0:1]
	v_mul_f64 v[6:7], v[54:55], v[2:3]
	;; [unrolled: 1-line block ×4, first 2 shown]
	v_lshlrev_b32_e32 v8, 2, v56
	s_and_saveexec_b64 s[2:3], vcc
	s_xor_b64 s[2:3], exec, s[2:3]
	s_cbranch_execz .LBB5_40
; %bb.39:
	v_ashrrev_i32_e32 v9, 31, v8
	s_waitcnt lgkmcnt(0)
	v_lshl_add_u64 v[8:9], v[8:9], 3, s[0:1]
	global_store_dwordx4 v[8:9], v[4:7], off
	global_store_dwordx4 v[8:9], v[0:3], off offset:16
                                        ; implicit-def: $vgpr8
                                        ; implicit-def: $vgpr52_vgpr53
                                        ; implicit-def: $vgpr4_vgpr5
                                        ; implicit-def: $vgpr0_vgpr1
.LBB5_40:
	s_andn2_saveexec_b64 s[2:3], s[2:3]
	s_cbranch_execz .LBB5_10
; %bb.41:
	v_ashrrev_i32_e32 v9, 31, v8
	s_waitcnt lgkmcnt(0)
	v_lshl_add_u64 v[16:17], v[8:9], 3, s[0:1]
	global_load_dwordx4 v[8:11], v[16:17], off
	global_load_dwordx4 v[12:15], v[16:17], off offset:16
	s_waitcnt vmcnt(1)
	v_fmac_f64_e32 v[4:5], v[52:53], v[8:9]
	v_fmac_f64_e32 v[6:7], v[52:53], v[10:11]
	s_waitcnt vmcnt(0)
	v_fmac_f64_e32 v[0:1], v[52:53], v[12:13]
	v_fmac_f64_e32 v[2:3], v[52:53], v[14:15]
	global_store_dwordx4 v[16:17], v[4:7], off
	global_store_dwordx4 v[16:17], v[0:3], off offset:16
	s_endpgm
	.section	.rodata,"a",@progbits
	.p2align	6, 0x0
	.amdhsa_kernel _ZN9rocsparseL18bsrxmvn_4x4_kernelILj128ELj4EdiidddEEvT3_20rocsparse_direction_NS_24const_host_device_scalarIT1_EES1_PKS1_PKT2_SA_S7_PKT4_PKT5_S5_PT6_21rocsparse_index_base_b
		.amdhsa_group_segment_fixed_size 0
		.amdhsa_private_segment_fixed_size 0
		.amdhsa_kernarg_size 96
		.amdhsa_user_sgpr_count 2
		.amdhsa_user_sgpr_dispatch_ptr 0
		.amdhsa_user_sgpr_queue_ptr 0
		.amdhsa_user_sgpr_kernarg_segment_ptr 1
		.amdhsa_user_sgpr_dispatch_id 0
		.amdhsa_user_sgpr_kernarg_preload_length 0
		.amdhsa_user_sgpr_kernarg_preload_offset 0
		.amdhsa_user_sgpr_private_segment_size 0
		.amdhsa_uses_dynamic_stack 0
		.amdhsa_enable_private_segment 0
		.amdhsa_system_sgpr_workgroup_id_x 1
		.amdhsa_system_sgpr_workgroup_id_y 0
		.amdhsa_system_sgpr_workgroup_id_z 0
		.amdhsa_system_sgpr_workgroup_info 0
		.amdhsa_system_vgpr_workitem_id 0
		.amdhsa_next_free_vgpr 104
		.amdhsa_next_free_sgpr 18
		.amdhsa_accum_offset 104
		.amdhsa_reserve_vcc 1
		.amdhsa_float_round_mode_32 0
		.amdhsa_float_round_mode_16_64 0
		.amdhsa_float_denorm_mode_32 3
		.amdhsa_float_denorm_mode_16_64 3
		.amdhsa_dx10_clamp 1
		.amdhsa_ieee_mode 1
		.amdhsa_fp16_overflow 0
		.amdhsa_tg_split 0
		.amdhsa_exception_fp_ieee_invalid_op 0
		.amdhsa_exception_fp_denorm_src 0
		.amdhsa_exception_fp_ieee_div_zero 0
		.amdhsa_exception_fp_ieee_overflow 0
		.amdhsa_exception_fp_ieee_underflow 0
		.amdhsa_exception_fp_ieee_inexact 0
		.amdhsa_exception_int_div_zero 0
	.end_amdhsa_kernel
	.section	.text._ZN9rocsparseL18bsrxmvn_4x4_kernelILj128ELj4EdiidddEEvT3_20rocsparse_direction_NS_24const_host_device_scalarIT1_EES1_PKS1_PKT2_SA_S7_PKT4_PKT5_S5_PT6_21rocsparse_index_base_b,"axG",@progbits,_ZN9rocsparseL18bsrxmvn_4x4_kernelILj128ELj4EdiidddEEvT3_20rocsparse_direction_NS_24const_host_device_scalarIT1_EES1_PKS1_PKT2_SA_S7_PKT4_PKT5_S5_PT6_21rocsparse_index_base_b,comdat
.Lfunc_end5:
	.size	_ZN9rocsparseL18bsrxmvn_4x4_kernelILj128ELj4EdiidddEEvT3_20rocsparse_direction_NS_24const_host_device_scalarIT1_EES1_PKS1_PKT2_SA_S7_PKT4_PKT5_S5_PT6_21rocsparse_index_base_b, .Lfunc_end5-_ZN9rocsparseL18bsrxmvn_4x4_kernelILj128ELj4EdiidddEEvT3_20rocsparse_direction_NS_24const_host_device_scalarIT1_EES1_PKS1_PKT2_SA_S7_PKT4_PKT5_S5_PT6_21rocsparse_index_base_b
                                        ; -- End function
	.set _ZN9rocsparseL18bsrxmvn_4x4_kernelILj128ELj4EdiidddEEvT3_20rocsparse_direction_NS_24const_host_device_scalarIT1_EES1_PKS1_PKT2_SA_S7_PKT4_PKT5_S5_PT6_21rocsparse_index_base_b.num_vgpr, 104
	.set _ZN9rocsparseL18bsrxmvn_4x4_kernelILj128ELj4EdiidddEEvT3_20rocsparse_direction_NS_24const_host_device_scalarIT1_EES1_PKS1_PKT2_SA_S7_PKT4_PKT5_S5_PT6_21rocsparse_index_base_b.num_agpr, 0
	.set _ZN9rocsparseL18bsrxmvn_4x4_kernelILj128ELj4EdiidddEEvT3_20rocsparse_direction_NS_24const_host_device_scalarIT1_EES1_PKS1_PKT2_SA_S7_PKT4_PKT5_S5_PT6_21rocsparse_index_base_b.numbered_sgpr, 18
	.set _ZN9rocsparseL18bsrxmvn_4x4_kernelILj128ELj4EdiidddEEvT3_20rocsparse_direction_NS_24const_host_device_scalarIT1_EES1_PKS1_PKT2_SA_S7_PKT4_PKT5_S5_PT6_21rocsparse_index_base_b.num_named_barrier, 0
	.set _ZN9rocsparseL18bsrxmvn_4x4_kernelILj128ELj4EdiidddEEvT3_20rocsparse_direction_NS_24const_host_device_scalarIT1_EES1_PKS1_PKT2_SA_S7_PKT4_PKT5_S5_PT6_21rocsparse_index_base_b.private_seg_size, 0
	.set _ZN9rocsparseL18bsrxmvn_4x4_kernelILj128ELj4EdiidddEEvT3_20rocsparse_direction_NS_24const_host_device_scalarIT1_EES1_PKS1_PKT2_SA_S7_PKT4_PKT5_S5_PT6_21rocsparse_index_base_b.uses_vcc, 1
	.set _ZN9rocsparseL18bsrxmvn_4x4_kernelILj128ELj4EdiidddEEvT3_20rocsparse_direction_NS_24const_host_device_scalarIT1_EES1_PKS1_PKT2_SA_S7_PKT4_PKT5_S5_PT6_21rocsparse_index_base_b.uses_flat_scratch, 0
	.set _ZN9rocsparseL18bsrxmvn_4x4_kernelILj128ELj4EdiidddEEvT3_20rocsparse_direction_NS_24const_host_device_scalarIT1_EES1_PKS1_PKT2_SA_S7_PKT4_PKT5_S5_PT6_21rocsparse_index_base_b.has_dyn_sized_stack, 0
	.set _ZN9rocsparseL18bsrxmvn_4x4_kernelILj128ELj4EdiidddEEvT3_20rocsparse_direction_NS_24const_host_device_scalarIT1_EES1_PKS1_PKT2_SA_S7_PKT4_PKT5_S5_PT6_21rocsparse_index_base_b.has_recursion, 0
	.set _ZN9rocsparseL18bsrxmvn_4x4_kernelILj128ELj4EdiidddEEvT3_20rocsparse_direction_NS_24const_host_device_scalarIT1_EES1_PKS1_PKT2_SA_S7_PKT4_PKT5_S5_PT6_21rocsparse_index_base_b.has_indirect_call, 0
	.section	.AMDGPU.csdata,"",@progbits
; Kernel info:
; codeLenInByte = 3200
; TotalNumSgprs: 24
; NumVgprs: 104
; NumAgprs: 0
; TotalNumVgprs: 104
; ScratchSize: 0
; MemoryBound: 1
; FloatMode: 240
; IeeeMode: 1
; LDSByteSize: 0 bytes/workgroup (compile time only)
; SGPRBlocks: 2
; VGPRBlocks: 12
; NumSGPRsForWavesPerEU: 24
; NumVGPRsForWavesPerEU: 104
; AccumOffset: 104
; Occupancy: 4
; WaveLimiterHint : 1
; COMPUTE_PGM_RSRC2:SCRATCH_EN: 0
; COMPUTE_PGM_RSRC2:USER_SGPR: 2
; COMPUTE_PGM_RSRC2:TRAP_HANDLER: 0
; COMPUTE_PGM_RSRC2:TGID_X_EN: 1
; COMPUTE_PGM_RSRC2:TGID_Y_EN: 0
; COMPUTE_PGM_RSRC2:TGID_Z_EN: 0
; COMPUTE_PGM_RSRC2:TIDIG_COMP_CNT: 0
; COMPUTE_PGM_RSRC3_GFX90A:ACCUM_OFFSET: 25
; COMPUTE_PGM_RSRC3_GFX90A:TG_SPLIT: 0
	.section	.text._ZN9rocsparseL18bsrxmvn_4x4_kernelILj128ELj8EdiidddEEvT3_20rocsparse_direction_NS_24const_host_device_scalarIT1_EES1_PKS1_PKT2_SA_S7_PKT4_PKT5_S5_PT6_21rocsparse_index_base_b,"axG",@progbits,_ZN9rocsparseL18bsrxmvn_4x4_kernelILj128ELj8EdiidddEEvT3_20rocsparse_direction_NS_24const_host_device_scalarIT1_EES1_PKS1_PKT2_SA_S7_PKT4_PKT5_S5_PT6_21rocsparse_index_base_b,comdat
	.globl	_ZN9rocsparseL18bsrxmvn_4x4_kernelILj128ELj8EdiidddEEvT3_20rocsparse_direction_NS_24const_host_device_scalarIT1_EES1_PKS1_PKT2_SA_S7_PKT4_PKT5_S5_PT6_21rocsparse_index_base_b ; -- Begin function _ZN9rocsparseL18bsrxmvn_4x4_kernelILj128ELj8EdiidddEEvT3_20rocsparse_direction_NS_24const_host_device_scalarIT1_EES1_PKS1_PKT2_SA_S7_PKT4_PKT5_S5_PT6_21rocsparse_index_base_b
	.p2align	8
	.type	_ZN9rocsparseL18bsrxmvn_4x4_kernelILj128ELj8EdiidddEEvT3_20rocsparse_direction_NS_24const_host_device_scalarIT1_EES1_PKS1_PKT2_SA_S7_PKT4_PKT5_S5_PT6_21rocsparse_index_base_b,@function
_ZN9rocsparseL18bsrxmvn_4x4_kernelILj128ELj8EdiidddEEvT3_20rocsparse_direction_NS_24const_host_device_scalarIT1_EES1_PKS1_PKT2_SA_S7_PKT4_PKT5_S5_PT6_21rocsparse_index_base_b: ; @_ZN9rocsparseL18bsrxmvn_4x4_kernelILj128ELj8EdiidddEEvT3_20rocsparse_direction_NS_24const_host_device_scalarIT1_EES1_PKS1_PKT2_SA_S7_PKT4_PKT5_S5_PT6_21rocsparse_index_base_b
; %bb.0:
	s_load_dwordx2 s[12:13], s[0:1], 0x58
	s_load_dwordx2 s[8:9], s[0:1], 0x8
	;; [unrolled: 1-line block ×3, first 2 shown]
	s_waitcnt lgkmcnt(0)
	s_bitcmp1_b32 s13, 0
	s_cselect_b64 s[10:11], -1, 0
	s_xor_b64 s[6:7], s[10:11], -1
	s_and_b64 vcc, exec, s[10:11]
	v_mov_b64_e32 v[54:55], s[8:9]
	s_cbranch_vccnz .LBB6_2
; %bb.1:
	v_mov_b64_e32 v[2:3], s[8:9]
	flat_load_dwordx2 v[54:55], v[2:3]
.LBB6_2:
	s_andn2_b64 vcc, exec, s[6:7]
	v_mov_b64_e32 v[52:53], s[4:5]
	s_cbranch_vccnz .LBB6_4
; %bb.3:
	v_mov_b64_e32 v[2:3], s[4:5]
	flat_load_dwordx2 v[52:53], v[2:3]
.LBB6_4:
	s_waitcnt vmcnt(0) lgkmcnt(0)
	v_cmp_neq_f64_e32 vcc, 0, v[54:55]
	v_cmp_neq_f64_e64 s[4:5], 1.0, v[52:53]
	s_mov_b64 s[6:7], 0
	s_or_b64 s[4:5], vcc, s[4:5]
	s_and_saveexec_b64 s[8:9], s[4:5]
	s_cbranch_execz .LBB6_10
; %bb.5:
	s_load_dwordx2 s[4:5], s[0:1], 0x18
	s_load_dwordx2 s[14:15], s[0:1], 0x0
	v_lshrrev_b32_e32 v1, 3, v0
	v_lshl_or_b32 v56, s2, 4, v1
	s_mov_b64 s[2:3], 0
	s_waitcnt lgkmcnt(0)
	s_cmp_lg_u64 s[4:5], 0
	s_cbranch_scc0 .LBB6_11
; %bb.6:
	s_load_dword s6, s[0:1], 0x10
                                        ; implicit-def: $vgpr1
	s_waitcnt lgkmcnt(0)
	v_cmp_gt_i32_e32 vcc, s6, v56
	s_and_saveexec_b64 s[6:7], vcc
	s_xor_b64 s[6:7], exec, s[6:7]
	s_cbranch_execz .LBB6_8
; %bb.7:
	v_ashrrev_i32_e32 v57, 31, v56
	v_lshl_add_u64 v[2:3], v[56:57], 2, s[4:5]
	global_load_dword v1, v[2:3], off
	s_mov_b64 s[2:3], exec
	s_waitcnt vmcnt(0)
	v_subrev_u32_e32 v1, s12, v1
.LBB6_8:
	s_or_b64 exec, exec, s[6:7]
	s_mov_b64 s[6:7], s[2:3]
	s_branch .LBB6_12
.LBB6_9:
	v_cmp_gt_i32_e32 vcc, s14, v56
	s_andn2_b64 s[2:3], s[6:7], exec
	s_and_b64 s[4:5], vcc, exec
	s_or_b64 s[6:7], s[2:3], s[4:5]
	s_and_b64 exec, exec, s[6:7]
	s_cbranch_execnz .LBB6_13
.LBB6_10:
	s_endpgm
.LBB6_11:
                                        ; implicit-def: $vgpr1
	s_cbranch_execnz .LBB6_9
.LBB6_12:
	v_mov_b32_e32 v56, v1
	s_and_b64 exec, exec, s[6:7]
	s_cbranch_execz .LBB6_10
.LBB6_13:
	s_load_dwordx8 s[4:11], s[0:1], 0x20
	v_ashrrev_i32_e32 v57, 31, v56
	v_lshlrev_b64 v[2:3], 2, v[56:57]
	v_and_b32_e32 v57, 7, v0
	s_waitcnt lgkmcnt(0)
	v_lshl_add_u64 v[4:5], s[4:5], 0, v[2:3]
	s_cmp_eq_u64 s[6:7], 0
	global_load_dword v75, v[4:5], off
	v_lshl_add_u64 v[4:5], v[4:5], 0, 4
	v_lshl_add_u64 v[2:3], s[6:7], 0, v[2:3]
	s_cselect_b64 vcc, -1, 0
	v_cndmask_b32_e32 v3, v3, v5, vcc
	v_cndmask_b32_e32 v2, v2, v4, vcc
	global_load_dword v1, v[2:3], off
	s_load_dwordx2 s[4:5], s[0:1], 0x40
	s_cmp_eq_u32 s15, 1
	s_waitcnt vmcnt(1)
	v_subrev_u32_e32 v0, s12, v75
	v_add_u32_e32 v60, v0, v57
	v_ashrrev_i32_e32 v61, 31, v60
	s_waitcnt vmcnt(0)
	v_subrev_u32_e32 v74, s12, v1
	v_lshlrev_b64 v[0:1], 7, v[60:61]
	v_lshl_add_u64 v[62:63], s[10:11], 0, v[0:1]
	v_cmp_lt_i32_e64 s[2:3], v60, v74
	s_cbranch_scc1 .LBB6_25
; %bb.14:
	v_mov_b64_e32 v[58:59], 0
	v_mov_b64_e32 v[64:65], 0
	;; [unrolled: 1-line block ×4, first 2 shown]
	s_and_saveexec_b64 s[6:7], s[2:3]
	s_cbranch_execz .LBB6_24
; %bb.15:
	v_add_u32_e32 v0, v75, v57
	v_subrev_u32_e32 v0, s12, v0
	v_add_u32_e32 v0, 8, v0
	v_max_i32_e32 v0, v0, v74
	v_not_b32_e32 v1, v75
	v_add3_u32 v0, s12, v0, v1
	v_sub_u32_e32 v0, v0, v57
	v_and_b32_e32 v1, 24, v0
	v_cmp_ne_u32_e32 vcc, 24, v1
	v_mov_b64_e32 v[68:69], 0
	v_mov_b64_e32 v[66:67], 0
	v_mov_b64_e32 v[64:65], 0
	v_mov_b64_e32 v[58:59], 0
	v_mov_b32_e32 v70, v60
	v_mov_b64_e32 v[72:73], v[62:63]
	s_and_saveexec_b64 s[10:11], vcc
	s_cbranch_execz .LBB6_19
; %bb.16:
	v_lshrrev_b32_e32 v1, 3, v0
	v_add_u32_e32 v1, 1, v1
	v_and_b32_e32 v1, 3, v1
	v_sub_u32_e32 v1, 0, v1
	v_mov_b64_e32 v[58:59], 0
	s_mov_b64 s[14:15], 0
	s_mov_b64 s[16:17], 0x400
	v_mov_b64_e32 v[72:73], v[62:63]
	v_mov_b32_e32 v70, v60
	v_mov_b64_e32 v[64:65], 0
	v_mov_b64_e32 v[66:67], 0
	;; [unrolled: 1-line block ×3, first 2 shown]
.LBB6_17:                               ; =>This Inner Loop Header: Depth=1
	v_ashrrev_i32_e32 v71, 31, v70
	v_lshl_add_u64 v[34:35], v[70:71], 2, s[8:9]
	global_load_dword v36, v[34:35], off
	global_load_dwordx4 v[2:5], v[72:73], off offset:48
	global_load_dwordx4 v[6:9], v[72:73], off offset:32
	;; [unrolled: 1-line block ×3, first 2 shown]
	global_load_dwordx4 v[14:17], v[72:73], off
	global_load_dwordx4 v[18:21], v[72:73], off offset:112
	global_load_dwordx4 v[22:25], v[72:73], off offset:96
	;; [unrolled: 1-line block ×4, first 2 shown]
	v_add_co_u32_e32 v1, vcc, 1, v1
	v_lshl_add_u64 v[72:73], v[72:73], 0, s[16:17]
	v_add_u32_e32 v70, 8, v70
	s_or_b64 s[14:15], vcc, s[14:15]
	s_waitcnt vmcnt(8)
	v_subrev_u32_e32 v34, s12, v36
	v_lshlrev_b32_e32 v34, 2, v34
	v_ashrrev_i32_e32 v35, 31, v34
	s_waitcnt lgkmcnt(0)
	v_lshl_add_u64 v[42:43], v[34:35], 3, s[4:5]
	global_load_dwordx4 v[34:37], v[42:43], off
	global_load_dwordx4 v[38:41], v[42:43], off offset:16
	s_waitcnt vmcnt(1)
	v_fmac_f64_e32 v[68:69], v[14:15], v[34:35]
	v_fmac_f64_e32 v[66:67], v[6:7], v[34:35]
	;; [unrolled: 1-line block ×8, first 2 shown]
	s_waitcnt vmcnt(0)
	v_fmac_f64_e32 v[68:69], v[10:11], v[38:39]
	v_fmac_f64_e32 v[66:67], v[2:3], v[38:39]
	;; [unrolled: 1-line block ×8, first 2 shown]
	s_andn2_b64 exec, exec, s[14:15]
	s_cbranch_execnz .LBB6_17
; %bb.18:
	s_or_b64 exec, exec, s[14:15]
.LBB6_19:
	s_or_b64 exec, exec, s[10:11]
	v_cmp_lt_u32_e32 vcc, 23, v0
	s_and_saveexec_b64 s[10:11], vcc
	s_cbranch_execz .LBB6_23
; %bb.20:
	s_mov_b64 s[14:15], 0
	s_mov_b64 s[16:17], 0x1000
.LBB6_21:                               ; =>This Inner Loop Header: Depth=1
	v_ashrrev_i32_e32 v71, 31, v70
	v_lshl_add_u64 v[92:93], v[70:71], 2, s[8:9]
	global_load_dwordx4 v[0:3], v[72:73], off offset:48
	global_load_dwordx4 v[8:11], v[72:73], off offset:32
	;; [unrolled: 1-line block ×3, first 2 shown]
	global_load_dwordx4 v[12:15], v[72:73], off
	global_load_dwordx4 v[16:19], v[72:73], off offset:112
	global_load_dwordx4 v[24:27], v[72:73], off offset:96
	;; [unrolled: 1-line block ×13, first 2 shown]
	global_load_dword v61, v[92:93], off
	global_load_dword v71, v[92:93], off offset:32
	global_load_dword v102, v[92:93], off offset:64
	;; [unrolled: 1-line block ×3, first 2 shown]
	v_add_u32_e32 v70, 32, v70
	v_cmp_ge_i32_e32 vcc, v70, v74
	s_or_b64 s[14:15], vcc, s[14:15]
	s_waitcnt vmcnt(3)
	v_subrev_u32_e32 v61, s12, v61
	v_lshlrev_b32_e32 v92, 2, v61
	v_ashrrev_i32_e32 v93, 31, v92
	s_waitcnt lgkmcnt(0)
	v_lshl_add_u64 v[100:101], v[92:93], 3, s[4:5]
	global_load_dwordx4 v[92:95], v[100:101], off
	global_load_dwordx4 v[96:99], v[100:101], off offset:16
	s_waitcnt vmcnt(4)
	v_subrev_u32_e32 v61, s12, v71
	s_waitcnt vmcnt(2)
	v_subrev_u32_e32 v71, s12, v103
	s_waitcnt vmcnt(1)
	v_fmac_f64_e32 v[58:59], v[24:25], v[92:93]
	v_fmac_f64_e32 v[58:59], v[26:27], v[94:95]
	;; [unrolled: 1-line block ×5, first 2 shown]
	s_waitcnt vmcnt(0)
	v_fmac_f64_e32 v[58:59], v[16:17], v[96:97]
	v_lshlrev_b32_e32 v16, 2, v61
	v_fmac_f64_e32 v[68:69], v[14:15], v[94:95]
	v_fmac_f64_e32 v[66:67], v[10:11], v[94:95]
	;; [unrolled: 1-line block ×3, first 2 shown]
	v_ashrrev_i32_e32 v17, 31, v16
	v_fmac_f64_e32 v[68:69], v[4:5], v[96:97]
	v_fmac_f64_e32 v[66:67], v[0:1], v[96:97]
	;; [unrolled: 1-line block ×3, first 2 shown]
	v_lshl_add_u64 v[100:101], v[16:17], 3, s[4:5]
	global_load_dwordx4 v[12:15], v[72:73], off offset:2080
	global_load_dwordx4 v[8:11], v[72:73], off offset:2064
	global_load_dwordx4 v[32:35], v[72:73], off offset:2048
	global_load_dwordx4 v[24:27], v[72:73], off offset:2160
	global_load_dwordx4 v[92:95], v[72:73], off offset:2144
	v_fmac_f64_e32 v[68:69], v[6:7], v[98:99]
	global_load_dwordx4 v[4:7], v[72:73], off offset:2128
	v_fmac_f64_e32 v[66:67], v[2:3], v[98:99]
	global_load_dwordx4 v[0:3], v[72:73], off offset:2112
	v_fmac_f64_e32 v[64:65], v[22:23], v[98:99]
	global_load_dwordx4 v[20:23], v[72:73], off offset:3120
	v_fmac_f64_e32 v[58:59], v[18:19], v[98:99]
	global_load_dwordx4 v[16:19], v[100:101], off
	global_load_dwordx4 v[96:99], v[100:101], off offset:16
	v_subrev_u32_e32 v61, s12, v102
	v_lshlrev_b32_e32 v100, 2, v61
	v_ashrrev_i32_e32 v101, 31, v100
	v_lshl_add_u64 v[100:101], v[100:101], 3, s[4:5]
	s_waitcnt vmcnt(1)
	v_fmac_f64_e32 v[64:65], v[88:89], v[16:17]
	v_fmac_f64_e32 v[68:69], v[44:45], v[16:17]
	;; [unrolled: 1-line block ×8, first 2 shown]
	s_waitcnt vmcnt(0)
	v_fmac_f64_e32 v[64:65], v[84:85], v[96:97]
	v_lshlrev_b32_e32 v84, 2, v71
	v_fmac_f64_e32 v[68:69], v[36:37], v[96:97]
	v_fmac_f64_e32 v[66:67], v[28:29], v[96:97]
	v_ashrrev_i32_e32 v85, 31, v84
	v_fmac_f64_e32 v[58:59], v[76:77], v[96:97]
	global_load_dwordx4 v[44:47], v[72:73], off offset:3104
	global_load_dwordx4 v[40:43], v[72:73], off offset:3088
	;; [unrolled: 1-line block ×5, first 2 shown]
	v_fmac_f64_e32 v[68:69], v[38:39], v[98:99]
	global_load_dwordx4 v[36:39], v[72:73], off offset:3152
	v_fmac_f64_e32 v[66:67], v[30:31], v[98:99]
	global_load_dwordx4 v[28:31], v[72:73], off offset:3136
	v_fmac_f64_e32 v[64:65], v[86:87], v[98:99]
	v_lshl_add_u64 v[102:103], v[84:85], 3, s[4:5]
	v_fmac_f64_e32 v[58:59], v[78:79], v[98:99]
	global_load_dwordx4 v[76:79], v[100:101], off
	global_load_dwordx4 v[84:87], v[100:101], off offset:16
	global_load_dwordx4 v[96:99], v[102:103], off
	v_lshl_add_u64 v[72:73], v[72:73], 0, s[16:17]
	s_waitcnt vmcnt(2)
	v_fmac_f64_e32 v[68:69], v[32:33], v[76:77]
	v_fmac_f64_e32 v[68:69], v[34:35], v[78:79]
	global_load_dwordx4 v[32:35], v[102:103], off offset:16
	v_fmac_f64_e32 v[66:67], v[12:13], v[76:77]
	v_fmac_f64_e32 v[64:65], v[0:1], v[76:77]
	v_fmac_f64_e32 v[58:59], v[92:93], v[76:77]
	v_fmac_f64_e32 v[66:67], v[14:15], v[78:79]
	v_fmac_f64_e32 v[64:65], v[2:3], v[78:79]
	v_fmac_f64_e32 v[58:59], v[94:95], v[78:79]
	s_waitcnt vmcnt(2)
	v_fmac_f64_e32 v[68:69], v[8:9], v[84:85]
	v_fmac_f64_e32 v[66:67], v[48:49], v[84:85]
	v_fmac_f64_e32 v[64:65], v[4:5], v[84:85]
	v_fmac_f64_e32 v[58:59], v[24:25], v[84:85]
	v_fmac_f64_e32 v[68:69], v[10:11], v[86:87]
	v_fmac_f64_e32 v[66:67], v[50:51], v[86:87]
	v_fmac_f64_e32 v[64:65], v[6:7], v[86:87]
	v_fmac_f64_e32 v[58:59], v[26:27], v[86:87]
	s_waitcnt vmcnt(1)
	v_fmac_f64_e32 v[68:69], v[88:89], v[96:97]
	v_fmac_f64_e32 v[66:67], v[44:45], v[96:97]
	;; [unrolled: 9-line block ×3, first 2 shown]
	v_fmac_f64_e32 v[64:65], v[36:37], v[32:33]
	v_fmac_f64_e32 v[58:59], v[16:17], v[32:33]
	;; [unrolled: 1-line block ×6, first 2 shown]
	s_andn2_b64 exec, exec, s[14:15]
	s_cbranch_execnz .LBB6_21
; %bb.22:
	s_or_b64 exec, exec, s[14:15]
.LBB6_23:
	s_or_b64 exec, exec, s[10:11]
.LBB6_24:
	s_or_b64 exec, exec, s[6:7]
	s_cbranch_execz .LBB6_26
	s_branch .LBB6_37
.LBB6_25:
                                        ; implicit-def: $vgpr58_vgpr59
                                        ; implicit-def: $vgpr64_vgpr65
                                        ; implicit-def: $vgpr66_vgpr67
                                        ; implicit-def: $vgpr68_vgpr69
.LBB6_26:
	v_mov_b64_e32 v[58:59], 0
	v_mov_b64_e32 v[64:65], 0
	;; [unrolled: 1-line block ×4, first 2 shown]
	s_and_saveexec_b64 s[6:7], s[2:3]
	s_cbranch_execz .LBB6_36
; %bb.27:
	v_add_u32_e32 v0, v75, v57
	v_subrev_u32_e32 v0, s12, v0
	v_add_u32_e32 v0, 8, v0
	v_max_i32_e32 v0, v0, v74
	v_not_b32_e32 v1, v75
	v_add3_u32 v0, s12, v0, v1
	v_sub_u32_e32 v0, v0, v57
	v_and_b32_e32 v1, 24, v0
	v_cmp_ne_u32_e32 vcc, 24, v1
	v_mov_b64_e32 v[68:69], 0
	v_mov_b64_e32 v[66:67], 0
	;; [unrolled: 1-line block ×4, first 2 shown]
	s_and_saveexec_b64 s[2:3], vcc
	s_cbranch_execz .LBB6_31
; %bb.28:
	v_lshrrev_b32_e32 v1, 3, v0
	v_add_u32_e32 v1, 1, v1
	v_and_b32_e32 v1, 3, v1
	v_sub_u32_e32 v1, 0, v1
	v_mov_b64_e32 v[58:59], 0
	s_mov_b64 s[10:11], 0
	s_mov_b64 s[14:15], 0x400
	v_mov_b64_e32 v[64:65], 0
	v_mov_b64_e32 v[66:67], 0
	;; [unrolled: 1-line block ×3, first 2 shown]
.LBB6_29:                               ; =>This Inner Loop Header: Depth=1
	v_ashrrev_i32_e32 v61, 31, v60
	v_lshl_add_u64 v[26:27], v[60:61], 2, s[8:9]
	global_load_dword v28, v[26:27], off
	global_load_dwordx4 v[2:5], v[62:63], off offset:48
	global_load_dwordx4 v[6:9], v[62:63], off offset:32
	;; [unrolled: 1-line block ×3, first 2 shown]
	global_load_dwordx4 v[14:17], v[62:63], off
	global_load_dwordx4 v[18:21], v[62:63], off offset:80
	global_load_dwordx4 v[22:25], v[62:63], off offset:64
	v_add_co_u32_e32 v1, vcc, 1, v1
	v_add_u32_e32 v60, 8, v60
	s_or_b64 s[10:11], vcc, s[10:11]
	s_waitcnt vmcnt(6)
	v_subrev_u32_e32 v26, s12, v28
	v_lshlrev_b32_e32 v26, 2, v26
	v_ashrrev_i32_e32 v27, 31, v26
	s_waitcnt lgkmcnt(0)
	v_lshl_add_u64 v[42:43], v[26:27], 3, s[4:5]
	global_load_dwordx4 v[26:29], v[42:43], off
	global_load_dwordx4 v[30:33], v[42:43], off offset:16
	global_load_dwordx4 v[34:37], v[62:63], off offset:96
	;; [unrolled: 1-line block ×3, first 2 shown]
	v_lshl_add_u64 v[62:63], v[62:63], 0, s[14:15]
	s_waitcnt vmcnt(3)
	v_fmac_f64_e32 v[68:69], v[14:15], v[26:27]
	v_fmac_f64_e32 v[66:67], v[16:17], v[26:27]
	v_fmac_f64_e32 v[64:65], v[10:11], v[26:27]
	v_fmac_f64_e32 v[58:59], v[12:13], v[26:27]
	v_fmac_f64_e32 v[68:69], v[6:7], v[28:29]
	v_fmac_f64_e32 v[66:67], v[8:9], v[28:29]
	v_fmac_f64_e32 v[64:65], v[2:3], v[28:29]
	v_fmac_f64_e32 v[58:59], v[4:5], v[28:29]
	s_waitcnt vmcnt(2)
	v_fmac_f64_e32 v[68:69], v[22:23], v[30:31]
	v_fmac_f64_e32 v[66:67], v[24:25], v[30:31]
	;; [unrolled: 1-line block ×4, first 2 shown]
	s_waitcnt vmcnt(1)
	v_fmac_f64_e32 v[68:69], v[34:35], v[32:33]
	v_fmac_f64_e32 v[66:67], v[36:37], v[32:33]
	s_waitcnt vmcnt(0)
	v_fmac_f64_e32 v[64:65], v[38:39], v[32:33]
	v_fmac_f64_e32 v[58:59], v[40:41], v[32:33]
	s_andn2_b64 exec, exec, s[10:11]
	s_cbranch_execnz .LBB6_29
; %bb.30:
	s_or_b64 exec, exec, s[10:11]
.LBB6_31:
	s_or_b64 exec, exec, s[2:3]
	v_cmp_lt_u32_e32 vcc, 23, v0
	s_and_saveexec_b64 s[2:3], vcc
	s_cbranch_execz .LBB6_35
; %bb.32:
	s_mov_b64 s[10:11], 0
	s_mov_b64 s[14:15], 0x1000
.LBB6_33:                               ; =>This Inner Loop Header: Depth=1
	v_ashrrev_i32_e32 v61, 31, v60
	v_lshl_add_u64 v[70:71], v[60:61], 2, s[8:9]
	global_load_dwordx4 v[0:3], v[62:63], off offset:48
	global_load_dwordx4 v[4:7], v[62:63], off offset:32
	global_load_dwordx4 v[8:11], v[62:63], off offset:16
	global_load_dwordx4 v[12:15], v[62:63], off
	global_load_dwordx4 v[16:19], v[62:63], off offset:112
	global_load_dwordx4 v[20:23], v[62:63], off offset:96
	;; [unrolled: 1-line block ×9, first 2 shown]
	global_load_dword v61, v[70:71], off
	global_load_dword v75, v[70:71], off offset:32
	global_load_dword v82, v[70:71], off offset:64
	global_load_dword v83, v[70:71], off offset:96
	v_add_u32_e32 v60, 32, v60
	v_cmp_ge_i32_e32 vcc, v60, v74
	s_or_b64 s[10:11], vcc, s[10:11]
	s_waitcnt vmcnt(3)
	v_subrev_u32_e32 v61, s12, v61
	v_lshlrev_b32_e32 v70, 2, v61
	v_ashrrev_i32_e32 v71, 31, v70
	s_waitcnt lgkmcnt(0)
	v_lshl_add_u64 v[80:81], v[70:71], 3, s[4:5]
	global_load_dwordx4 v[70:73], v[80:81], off
	global_load_dwordx4 v[76:79], v[80:81], off offset:16
	s_waitcnt vmcnt(4)
	v_subrev_u32_e32 v61, s12, v75
	s_waitcnt vmcnt(1)
	v_fmac_f64_e32 v[64:65], v[8:9], v[70:71]
	v_fmac_f64_e32 v[64:65], v[0:1], v[72:73]
	s_waitcnt vmcnt(0)
	v_fmac_f64_e32 v[64:65], v[32:33], v[76:77]
	v_fmac_f64_e32 v[68:69], v[12:13], v[70:71]
	;; [unrolled: 1-line block ×5, first 2 shown]
	v_lshlrev_b32_e32 v16, 2, v61
	v_fmac_f64_e32 v[68:69], v[4:5], v[72:73]
	v_fmac_f64_e32 v[66:67], v[6:7], v[72:73]
	;; [unrolled: 1-line block ×3, first 2 shown]
	v_ashrrev_i32_e32 v17, 31, v16
	v_fmac_f64_e32 v[68:69], v[40:41], v[76:77]
	v_fmac_f64_e32 v[66:67], v[42:43], v[76:77]
	;; [unrolled: 1-line block ×3, first 2 shown]
	v_lshl_add_u64 v[80:81], v[16:17], 3, s[4:5]
	global_load_dwordx4 v[12:15], v[62:63], off offset:1120
	global_load_dwordx4 v[8:11], v[62:63], off offset:1104
	;; [unrolled: 1-line block ×7, first 2 shown]
	v_fmac_f64_e32 v[68:69], v[20:21], v[78:79]
	v_fmac_f64_e32 v[66:67], v[22:23], v[78:79]
	global_load_dwordx4 v[20:23], v[62:63], off offset:2160
	v_fmac_f64_e32 v[58:59], v[18:19], v[78:79]
	global_load_dwordx4 v[16:19], v[80:81], off
	global_load_dwordx4 v[76:79], v[80:81], off offset:16
	v_subrev_u32_e32 v61, s12, v82
	s_waitcnt vmcnt(1)
	v_fmac_f64_e32 v[68:69], v[44:45], v[16:17]
	v_fmac_f64_e32 v[66:67], v[46:47], v[16:17]
	;; [unrolled: 1-line block ×8, first 2 shown]
	s_waitcnt vmcnt(0)
	v_fmac_f64_e32 v[68:69], v[4:5], v[76:77]
	v_fmac_f64_e32 v[66:67], v[6:7], v[76:77]
	;; [unrolled: 1-line block ×4, first 2 shown]
	v_lshlrev_b32_e32 v76, 2, v61
	v_ashrrev_i32_e32 v77, 31, v76
	v_lshl_add_u64 v[80:81], v[76:77], 3, s[4:5]
	global_load_dwordx4 v[44:47], v[62:63], off offset:2144
	global_load_dwordx4 v[36:39], v[62:63], off offset:2128
	;; [unrolled: 1-line block ×7, first 2 shown]
	v_fmac_f64_e32 v[68:69], v[12:13], v[78:79]
	v_fmac_f64_e32 v[66:67], v[14:15], v[78:79]
	global_load_dwordx4 v[12:15], v[62:63], off offset:3168
	v_fmac_f64_e32 v[64:65], v[48:49], v[78:79]
	v_fmac_f64_e32 v[58:59], v[50:51], v[78:79]
	global_load_dwordx4 v[48:51], v[80:81], off
	global_load_dwordx4 v[76:79], v[80:81], off offset:16
	s_waitcnt vmcnt(1)
	v_fmac_f64_e32 v[68:69], v[32:33], v[48:49]
	v_fmac_f64_e32 v[66:67], v[34:35], v[48:49]
	;; [unrolled: 1-line block ×4, first 2 shown]
	v_subrev_u32_e32 v48, s12, v83
	v_lshlrev_b32_e32 v48, 2, v48
	v_ashrrev_i32_e32 v49, 31, v48
	v_lshl_add_u64 v[80:81], v[48:49], 3, s[4:5]
	v_fmac_f64_e32 v[68:69], v[70:71], v[50:51]
	v_fmac_f64_e32 v[66:67], v[72:73], v[50:51]
	global_load_dwordx4 v[70:73], v[80:81], off
	global_load_dwordx4 v[32:35], v[62:63], off offset:3152
	global_load_dwordx4 v[40:43], v[62:63], off offset:3136
	v_fmac_f64_e32 v[64:65], v[0:1], v[50:51]
	v_fmac_f64_e32 v[58:59], v[2:3], v[50:51]
	global_load_dwordx4 v[0:3], v[80:81], off offset:16
	global_load_dwordx4 v[48:51], v[62:63], off offset:3184
	s_waitcnt vmcnt(5)
	v_fmac_f64_e32 v[68:69], v[28:29], v[76:77]
	v_fmac_f64_e32 v[66:67], v[30:31], v[76:77]
	;; [unrolled: 1-line block ×8, first 2 shown]
	v_lshl_add_u64 v[62:63], v[62:63], 0, s[14:15]
	s_waitcnt vmcnt(4)
	v_fmac_f64_e32 v[68:69], v[8:9], v[70:71]
	v_fmac_f64_e32 v[66:67], v[10:11], v[70:71]
	v_fmac_f64_e32 v[64:65], v[4:5], v[70:71]
	v_fmac_f64_e32 v[58:59], v[6:7], v[70:71]
	v_fmac_f64_e32 v[68:69], v[24:25], v[72:73]
	v_fmac_f64_e32 v[66:67], v[26:27], v[72:73]
	v_fmac_f64_e32 v[64:65], v[16:17], v[72:73]
	v_fmac_f64_e32 v[58:59], v[18:19], v[72:73]
	s_waitcnt vmcnt(1)
	v_fmac_f64_e32 v[68:69], v[40:41], v[0:1]
	v_fmac_f64_e32 v[66:67], v[42:43], v[0:1]
	;; [unrolled: 1-line block ×6, first 2 shown]
	s_waitcnt vmcnt(0)
	v_fmac_f64_e32 v[64:65], v[48:49], v[2:3]
	v_fmac_f64_e32 v[58:59], v[50:51], v[2:3]
	s_andn2_b64 exec, exec, s[10:11]
	s_cbranch_execnz .LBB6_33
; %bb.34:
	s_or_b64 exec, exec, s[10:11]
.LBB6_35:
	s_or_b64 exec, exec, s[2:3]
.LBB6_36:
	s_or_b64 exec, exec, s[6:7]
.LBB6_37:
	v_mov_b32_dpp v0, v68 row_shr:1 row_mask:0xf bank_mask:0xf
	v_mov_b32_dpp v1, v69 row_shr:1 row_mask:0xf bank_mask:0xf
	;; [unrolled: 1-line block ×8, first 2 shown]
	v_add_f64 v[0:1], v[68:69], v[0:1]
	v_add_f64 v[4:5], v[66:67], v[4:5]
	;; [unrolled: 1-line block ×4, first 2 shown]
	v_mov_b32_dpp v2, v0 row_shr:2 row_mask:0xf bank_mask:0xf
	v_mov_b32_dpp v3, v1 row_shr:2 row_mask:0xf bank_mask:0xf
	;; [unrolled: 1-line block ×8, first 2 shown]
	v_add_f64 v[0:1], v[0:1], v[2:3]
	v_add_f64 v[4:5], v[4:5], v[6:7]
	;; [unrolled: 1-line block ×4, first 2 shown]
	v_mov_b32_dpp v2, v0 row_shr:4 row_mask:0xf bank_mask:0xe
	v_mov_b32_dpp v3, v1 row_shr:4 row_mask:0xf bank_mask:0xe
	v_mov_b32_dpp v6, v4 row_shr:4 row_mask:0xf bank_mask:0xe
	v_mov_b32_dpp v7, v5 row_shr:4 row_mask:0xf bank_mask:0xe
	v_mov_b32_dpp v10, v8 row_shr:4 row_mask:0xf bank_mask:0xe
	v_mov_b32_dpp v11, v9 row_shr:4 row_mask:0xf bank_mask:0xe
	v_mov_b32_dpp v14, v12 row_shr:4 row_mask:0xf bank_mask:0xe
	v_mov_b32_dpp v15, v13 row_shr:4 row_mask:0xf bank_mask:0xe
	v_cmp_eq_u32_e32 vcc, 7, v57
	s_and_b64 exec, exec, vcc
	s_cbranch_execz .LBB6_10
; %bb.38:
	s_load_dwordx2 s[0:1], s[0:1], 0x50
	v_add_f64 v[0:1], v[0:1], v[2:3]
	v_add_f64 v[2:3], v[4:5], v[6:7]
	v_add_f64 v[8:9], v[8:9], v[10:11]
	v_add_f64 v[10:11], v[12:13], v[14:15]
	v_cmp_eq_f64_e32 vcc, 0, v[52:53]
	v_mul_f64 v[4:5], v[54:55], v[0:1]
	v_mul_f64 v[6:7], v[54:55], v[2:3]
	;; [unrolled: 1-line block ×4, first 2 shown]
	v_lshlrev_b32_e32 v8, 2, v56
	s_and_saveexec_b64 s[2:3], vcc
	s_xor_b64 s[2:3], exec, s[2:3]
	s_cbranch_execz .LBB6_40
; %bb.39:
	v_ashrrev_i32_e32 v9, 31, v8
	s_waitcnt lgkmcnt(0)
	v_lshl_add_u64 v[8:9], v[8:9], 3, s[0:1]
	global_store_dwordx4 v[8:9], v[4:7], off
	global_store_dwordx4 v[8:9], v[0:3], off offset:16
                                        ; implicit-def: $vgpr8
                                        ; implicit-def: $vgpr52_vgpr53
                                        ; implicit-def: $vgpr4_vgpr5
                                        ; implicit-def: $vgpr0_vgpr1
.LBB6_40:
	s_andn2_saveexec_b64 s[2:3], s[2:3]
	s_cbranch_execz .LBB6_10
; %bb.41:
	v_ashrrev_i32_e32 v9, 31, v8
	s_waitcnt lgkmcnt(0)
	v_lshl_add_u64 v[16:17], v[8:9], 3, s[0:1]
	global_load_dwordx4 v[8:11], v[16:17], off
	global_load_dwordx4 v[12:15], v[16:17], off offset:16
	s_waitcnt vmcnt(1)
	v_fmac_f64_e32 v[4:5], v[52:53], v[8:9]
	v_fmac_f64_e32 v[6:7], v[52:53], v[10:11]
	s_waitcnt vmcnt(0)
	v_fmac_f64_e32 v[0:1], v[52:53], v[12:13]
	v_fmac_f64_e32 v[2:3], v[52:53], v[14:15]
	global_store_dwordx4 v[16:17], v[4:7], off
	global_store_dwordx4 v[16:17], v[0:3], off offset:16
	s_endpgm
	.section	.rodata,"a",@progbits
	.p2align	6, 0x0
	.amdhsa_kernel _ZN9rocsparseL18bsrxmvn_4x4_kernelILj128ELj8EdiidddEEvT3_20rocsparse_direction_NS_24const_host_device_scalarIT1_EES1_PKS1_PKT2_SA_S7_PKT4_PKT5_S5_PT6_21rocsparse_index_base_b
		.amdhsa_group_segment_fixed_size 0
		.amdhsa_private_segment_fixed_size 0
		.amdhsa_kernarg_size 96
		.amdhsa_user_sgpr_count 2
		.amdhsa_user_sgpr_dispatch_ptr 0
		.amdhsa_user_sgpr_queue_ptr 0
		.amdhsa_user_sgpr_kernarg_segment_ptr 1
		.amdhsa_user_sgpr_dispatch_id 0
		.amdhsa_user_sgpr_kernarg_preload_length 0
		.amdhsa_user_sgpr_kernarg_preload_offset 0
		.amdhsa_user_sgpr_private_segment_size 0
		.amdhsa_uses_dynamic_stack 0
		.amdhsa_enable_private_segment 0
		.amdhsa_system_sgpr_workgroup_id_x 1
		.amdhsa_system_sgpr_workgroup_id_y 0
		.amdhsa_system_sgpr_workgroup_id_z 0
		.amdhsa_system_sgpr_workgroup_info 0
		.amdhsa_system_vgpr_workitem_id 0
		.amdhsa_next_free_vgpr 104
		.amdhsa_next_free_sgpr 18
		.amdhsa_accum_offset 104
		.amdhsa_reserve_vcc 1
		.amdhsa_float_round_mode_32 0
		.amdhsa_float_round_mode_16_64 0
		.amdhsa_float_denorm_mode_32 3
		.amdhsa_float_denorm_mode_16_64 3
		.amdhsa_dx10_clamp 1
		.amdhsa_ieee_mode 1
		.amdhsa_fp16_overflow 0
		.amdhsa_tg_split 0
		.amdhsa_exception_fp_ieee_invalid_op 0
		.amdhsa_exception_fp_denorm_src 0
		.amdhsa_exception_fp_ieee_div_zero 0
		.amdhsa_exception_fp_ieee_overflow 0
		.amdhsa_exception_fp_ieee_underflow 0
		.amdhsa_exception_fp_ieee_inexact 0
		.amdhsa_exception_int_div_zero 0
	.end_amdhsa_kernel
	.section	.text._ZN9rocsparseL18bsrxmvn_4x4_kernelILj128ELj8EdiidddEEvT3_20rocsparse_direction_NS_24const_host_device_scalarIT1_EES1_PKS1_PKT2_SA_S7_PKT4_PKT5_S5_PT6_21rocsparse_index_base_b,"axG",@progbits,_ZN9rocsparseL18bsrxmvn_4x4_kernelILj128ELj8EdiidddEEvT3_20rocsparse_direction_NS_24const_host_device_scalarIT1_EES1_PKS1_PKT2_SA_S7_PKT4_PKT5_S5_PT6_21rocsparse_index_base_b,comdat
.Lfunc_end6:
	.size	_ZN9rocsparseL18bsrxmvn_4x4_kernelILj128ELj8EdiidddEEvT3_20rocsparse_direction_NS_24const_host_device_scalarIT1_EES1_PKS1_PKT2_SA_S7_PKT4_PKT5_S5_PT6_21rocsparse_index_base_b, .Lfunc_end6-_ZN9rocsparseL18bsrxmvn_4x4_kernelILj128ELj8EdiidddEEvT3_20rocsparse_direction_NS_24const_host_device_scalarIT1_EES1_PKS1_PKT2_SA_S7_PKT4_PKT5_S5_PT6_21rocsparse_index_base_b
                                        ; -- End function
	.set _ZN9rocsparseL18bsrxmvn_4x4_kernelILj128ELj8EdiidddEEvT3_20rocsparse_direction_NS_24const_host_device_scalarIT1_EES1_PKS1_PKT2_SA_S7_PKT4_PKT5_S5_PT6_21rocsparse_index_base_b.num_vgpr, 104
	.set _ZN9rocsparseL18bsrxmvn_4x4_kernelILj128ELj8EdiidddEEvT3_20rocsparse_direction_NS_24const_host_device_scalarIT1_EES1_PKS1_PKT2_SA_S7_PKT4_PKT5_S5_PT6_21rocsparse_index_base_b.num_agpr, 0
	.set _ZN9rocsparseL18bsrxmvn_4x4_kernelILj128ELj8EdiidddEEvT3_20rocsparse_direction_NS_24const_host_device_scalarIT1_EES1_PKS1_PKT2_SA_S7_PKT4_PKT5_S5_PT6_21rocsparse_index_base_b.numbered_sgpr, 18
	.set _ZN9rocsparseL18bsrxmvn_4x4_kernelILj128ELj8EdiidddEEvT3_20rocsparse_direction_NS_24const_host_device_scalarIT1_EES1_PKS1_PKT2_SA_S7_PKT4_PKT5_S5_PT6_21rocsparse_index_base_b.num_named_barrier, 0
	.set _ZN9rocsparseL18bsrxmvn_4x4_kernelILj128ELj8EdiidddEEvT3_20rocsparse_direction_NS_24const_host_device_scalarIT1_EES1_PKS1_PKT2_SA_S7_PKT4_PKT5_S5_PT6_21rocsparse_index_base_b.private_seg_size, 0
	.set _ZN9rocsparseL18bsrxmvn_4x4_kernelILj128ELj8EdiidddEEvT3_20rocsparse_direction_NS_24const_host_device_scalarIT1_EES1_PKS1_PKT2_SA_S7_PKT4_PKT5_S5_PT6_21rocsparse_index_base_b.uses_vcc, 1
	.set _ZN9rocsparseL18bsrxmvn_4x4_kernelILj128ELj8EdiidddEEvT3_20rocsparse_direction_NS_24const_host_device_scalarIT1_EES1_PKS1_PKT2_SA_S7_PKT4_PKT5_S5_PT6_21rocsparse_index_base_b.uses_flat_scratch, 0
	.set _ZN9rocsparseL18bsrxmvn_4x4_kernelILj128ELj8EdiidddEEvT3_20rocsparse_direction_NS_24const_host_device_scalarIT1_EES1_PKS1_PKT2_SA_S7_PKT4_PKT5_S5_PT6_21rocsparse_index_base_b.has_dyn_sized_stack, 0
	.set _ZN9rocsparseL18bsrxmvn_4x4_kernelILj128ELj8EdiidddEEvT3_20rocsparse_direction_NS_24const_host_device_scalarIT1_EES1_PKS1_PKT2_SA_S7_PKT4_PKT5_S5_PT6_21rocsparse_index_base_b.has_recursion, 0
	.set _ZN9rocsparseL18bsrxmvn_4x4_kernelILj128ELj8EdiidddEEvT3_20rocsparse_direction_NS_24const_host_device_scalarIT1_EES1_PKS1_PKT2_SA_S7_PKT4_PKT5_S5_PT6_21rocsparse_index_base_b.has_indirect_call, 0
	.section	.AMDGPU.csdata,"",@progbits
; Kernel info:
; codeLenInByte = 3296
; TotalNumSgprs: 24
; NumVgprs: 104
; NumAgprs: 0
; TotalNumVgprs: 104
; ScratchSize: 0
; MemoryBound: 1
; FloatMode: 240
; IeeeMode: 1
; LDSByteSize: 0 bytes/workgroup (compile time only)
; SGPRBlocks: 2
; VGPRBlocks: 12
; NumSGPRsForWavesPerEU: 24
; NumVGPRsForWavesPerEU: 104
; AccumOffset: 104
; Occupancy: 4
; WaveLimiterHint : 1
; COMPUTE_PGM_RSRC2:SCRATCH_EN: 0
; COMPUTE_PGM_RSRC2:USER_SGPR: 2
; COMPUTE_PGM_RSRC2:TRAP_HANDLER: 0
; COMPUTE_PGM_RSRC2:TGID_X_EN: 1
; COMPUTE_PGM_RSRC2:TGID_Y_EN: 0
; COMPUTE_PGM_RSRC2:TGID_Z_EN: 0
; COMPUTE_PGM_RSRC2:TIDIG_COMP_CNT: 0
; COMPUTE_PGM_RSRC3_GFX90A:ACCUM_OFFSET: 25
; COMPUTE_PGM_RSRC3_GFX90A:TG_SPLIT: 0
	.section	.text._ZN9rocsparseL18bsrxmvn_4x4_kernelILj128ELj16EdiidddEEvT3_20rocsparse_direction_NS_24const_host_device_scalarIT1_EES1_PKS1_PKT2_SA_S7_PKT4_PKT5_S5_PT6_21rocsparse_index_base_b,"axG",@progbits,_ZN9rocsparseL18bsrxmvn_4x4_kernelILj128ELj16EdiidddEEvT3_20rocsparse_direction_NS_24const_host_device_scalarIT1_EES1_PKS1_PKT2_SA_S7_PKT4_PKT5_S5_PT6_21rocsparse_index_base_b,comdat
	.globl	_ZN9rocsparseL18bsrxmvn_4x4_kernelILj128ELj16EdiidddEEvT3_20rocsparse_direction_NS_24const_host_device_scalarIT1_EES1_PKS1_PKT2_SA_S7_PKT4_PKT5_S5_PT6_21rocsparse_index_base_b ; -- Begin function _ZN9rocsparseL18bsrxmvn_4x4_kernelILj128ELj16EdiidddEEvT3_20rocsparse_direction_NS_24const_host_device_scalarIT1_EES1_PKS1_PKT2_SA_S7_PKT4_PKT5_S5_PT6_21rocsparse_index_base_b
	.p2align	8
	.type	_ZN9rocsparseL18bsrxmvn_4x4_kernelILj128ELj16EdiidddEEvT3_20rocsparse_direction_NS_24const_host_device_scalarIT1_EES1_PKS1_PKT2_SA_S7_PKT4_PKT5_S5_PT6_21rocsparse_index_base_b,@function
_ZN9rocsparseL18bsrxmvn_4x4_kernelILj128ELj16EdiidddEEvT3_20rocsparse_direction_NS_24const_host_device_scalarIT1_EES1_PKS1_PKT2_SA_S7_PKT4_PKT5_S5_PT6_21rocsparse_index_base_b: ; @_ZN9rocsparseL18bsrxmvn_4x4_kernelILj128ELj16EdiidddEEvT3_20rocsparse_direction_NS_24const_host_device_scalarIT1_EES1_PKS1_PKT2_SA_S7_PKT4_PKT5_S5_PT6_21rocsparse_index_base_b
; %bb.0:
	s_load_dwordx2 s[12:13], s[0:1], 0x58
	s_load_dwordx2 s[8:9], s[0:1], 0x8
	;; [unrolled: 1-line block ×3, first 2 shown]
	s_waitcnt lgkmcnt(0)
	s_bitcmp1_b32 s13, 0
	s_cselect_b64 s[10:11], -1, 0
	s_xor_b64 s[6:7], s[10:11], -1
	s_and_b64 vcc, exec, s[10:11]
	v_mov_b64_e32 v[50:51], s[8:9]
	s_cbranch_vccnz .LBB7_2
; %bb.1:
	v_mov_b64_e32 v[2:3], s[8:9]
	flat_load_dwordx2 v[50:51], v[2:3]
.LBB7_2:
	s_andn2_b64 vcc, exec, s[6:7]
	v_mov_b64_e32 v[48:49], s[4:5]
	s_cbranch_vccnz .LBB7_4
; %bb.3:
	v_mov_b64_e32 v[2:3], s[4:5]
	flat_load_dwordx2 v[48:49], v[2:3]
.LBB7_4:
	s_waitcnt vmcnt(0) lgkmcnt(0)
	v_cmp_neq_f64_e32 vcc, 0, v[50:51]
	v_cmp_neq_f64_e64 s[4:5], 1.0, v[48:49]
	s_mov_b64 s[6:7], 0
	s_or_b64 s[4:5], vcc, s[4:5]
	s_and_saveexec_b64 s[8:9], s[4:5]
	s_cbranch_execz .LBB7_10
; %bb.5:
	s_load_dwordx2 s[4:5], s[0:1], 0x18
	s_load_dwordx2 s[14:15], s[0:1], 0x0
	v_lshrrev_b32_e32 v1, 4, v0
	v_lshl_or_b32 v52, s2, 3, v1
	s_mov_b64 s[2:3], 0
	s_waitcnt lgkmcnt(0)
	s_cmp_lg_u64 s[4:5], 0
	s_cbranch_scc0 .LBB7_11
; %bb.6:
	s_load_dword s6, s[0:1], 0x10
                                        ; implicit-def: $vgpr1
	s_waitcnt lgkmcnt(0)
	v_cmp_gt_i32_e32 vcc, s6, v52
	s_and_saveexec_b64 s[6:7], vcc
	s_xor_b64 s[6:7], exec, s[6:7]
	s_cbranch_execz .LBB7_8
; %bb.7:
	v_ashrrev_i32_e32 v53, 31, v52
	v_lshl_add_u64 v[2:3], v[52:53], 2, s[4:5]
	global_load_dword v1, v[2:3], off
	s_mov_b64 s[2:3], exec
	s_waitcnt vmcnt(0)
	v_subrev_u32_e32 v1, s12, v1
.LBB7_8:
	s_or_b64 exec, exec, s[6:7]
	s_mov_b64 s[6:7], s[2:3]
	s_branch .LBB7_12
.LBB7_9:
	v_cmp_gt_i32_e32 vcc, s14, v52
	s_andn2_b64 s[2:3], s[6:7], exec
	s_and_b64 s[4:5], vcc, exec
	s_or_b64 s[6:7], s[2:3], s[4:5]
	s_and_b64 exec, exec, s[6:7]
	s_cbranch_execnz .LBB7_13
.LBB7_10:
	s_endpgm
.LBB7_11:
                                        ; implicit-def: $vgpr1
	s_cbranch_execnz .LBB7_9
.LBB7_12:
	v_mov_b32_e32 v52, v1
	s_and_b64 exec, exec, s[6:7]
	s_cbranch_execz .LBB7_10
.LBB7_13:
	s_load_dwordx8 s[4:11], s[0:1], 0x20
	v_ashrrev_i32_e32 v53, 31, v52
	v_lshlrev_b64 v[2:3], 2, v[52:53]
	v_and_b32_e32 v53, 15, v0
	s_waitcnt lgkmcnt(0)
	v_lshl_add_u64 v[4:5], s[4:5], 0, v[2:3]
	s_cmp_eq_u64 s[6:7], 0
	global_load_dword v71, v[4:5], off
	v_lshl_add_u64 v[4:5], v[4:5], 0, 4
	v_lshl_add_u64 v[2:3], s[6:7], 0, v[2:3]
	s_cselect_b64 vcc, -1, 0
	v_cndmask_b32_e32 v3, v3, v5, vcc
	v_cndmask_b32_e32 v2, v2, v4, vcc
	global_load_dword v1, v[2:3], off
	s_load_dwordx2 s[4:5], s[0:1], 0x40
	s_cmp_eq_u32 s15, 1
	s_waitcnt vmcnt(1)
	v_subrev_u32_e32 v0, s12, v71
	v_add_u32_e32 v56, v0, v53
	v_ashrrev_i32_e32 v57, 31, v56
	s_waitcnt vmcnt(0)
	v_subrev_u32_e32 v70, s12, v1
	v_lshlrev_b64 v[0:1], 7, v[56:57]
	v_lshl_add_u64 v[58:59], s[10:11], 0, v[0:1]
	v_cmp_lt_i32_e64 s[2:3], v56, v70
	s_cbranch_scc1 .LBB7_25
; %bb.14:
	v_mov_b64_e32 v[54:55], 0
	v_mov_b64_e32 v[60:61], 0
	;; [unrolled: 1-line block ×4, first 2 shown]
	s_and_saveexec_b64 s[6:7], s[2:3]
	s_cbranch_execz .LBB7_24
; %bb.15:
	v_add_u32_e32 v0, v71, v53
	v_subrev_u32_e32 v0, s12, v0
	v_add_u32_e32 v0, 16, v0
	v_max_i32_e32 v0, v0, v70
	v_not_b32_e32 v1, v71
	v_add3_u32 v0, s12, v0, v1
	v_sub_u32_e32 v0, v0, v53
	v_and_b32_e32 v1, 48, v0
	v_cmp_ne_u32_e32 vcc, 48, v1
	v_mov_b64_e32 v[64:65], 0
	v_mov_b64_e32 v[62:63], 0
	;; [unrolled: 1-line block ×4, first 2 shown]
	v_mov_b32_e32 v66, v56
	v_mov_b64_e32 v[68:69], v[58:59]
	s_and_saveexec_b64 s[10:11], vcc
	s_cbranch_execz .LBB7_19
; %bb.16:
	v_lshrrev_b32_e32 v1, 4, v0
	v_add_u32_e32 v1, 1, v1
	v_and_b32_e32 v1, 3, v1
	v_sub_u32_e32 v1, 0, v1
	v_mov_b64_e32 v[54:55], 0
	s_mov_b64 s[14:15], 0
	s_mov_b64 s[16:17], 0x800
	v_mov_b64_e32 v[68:69], v[58:59]
	v_mov_b32_e32 v66, v56
	v_mov_b64_e32 v[60:61], 0
	v_mov_b64_e32 v[62:63], 0
	;; [unrolled: 1-line block ×3, first 2 shown]
.LBB7_17:                               ; =>This Inner Loop Header: Depth=1
	v_ashrrev_i32_e32 v67, 31, v66
	v_lshl_add_u64 v[34:35], v[66:67], 2, s[8:9]
	global_load_dword v36, v[34:35], off
	global_load_dwordx4 v[2:5], v[68:69], off offset:48
	global_load_dwordx4 v[6:9], v[68:69], off offset:32
	global_load_dwordx4 v[10:13], v[68:69], off offset:16
	global_load_dwordx4 v[14:17], v[68:69], off
	global_load_dwordx4 v[18:21], v[68:69], off offset:112
	global_load_dwordx4 v[22:25], v[68:69], off offset:96
	global_load_dwordx4 v[26:29], v[68:69], off offset:80
	global_load_dwordx4 v[30:33], v[68:69], off offset:64
	v_add_co_u32_e32 v1, vcc, 1, v1
	v_lshl_add_u64 v[68:69], v[68:69], 0, s[16:17]
	v_add_u32_e32 v66, 16, v66
	s_or_b64 s[14:15], vcc, s[14:15]
	s_waitcnt vmcnt(8)
	v_subrev_u32_e32 v34, s12, v36
	v_lshlrev_b32_e32 v34, 2, v34
	v_ashrrev_i32_e32 v35, 31, v34
	s_waitcnt lgkmcnt(0)
	v_lshl_add_u64 v[42:43], v[34:35], 3, s[4:5]
	global_load_dwordx4 v[34:37], v[42:43], off
	global_load_dwordx4 v[38:41], v[42:43], off offset:16
	s_waitcnt vmcnt(1)
	v_fmac_f64_e32 v[64:65], v[14:15], v[34:35]
	v_fmac_f64_e32 v[62:63], v[6:7], v[34:35]
	;; [unrolled: 1-line block ×8, first 2 shown]
	s_waitcnt vmcnt(0)
	v_fmac_f64_e32 v[64:65], v[10:11], v[38:39]
	v_fmac_f64_e32 v[62:63], v[2:3], v[38:39]
	v_fmac_f64_e32 v[60:61], v[26:27], v[38:39]
	v_fmac_f64_e32 v[54:55], v[18:19], v[38:39]
	v_fmac_f64_e32 v[64:65], v[12:13], v[40:41]
	v_fmac_f64_e32 v[62:63], v[4:5], v[40:41]
	v_fmac_f64_e32 v[60:61], v[28:29], v[40:41]
	v_fmac_f64_e32 v[54:55], v[20:21], v[40:41]
	s_andn2_b64 exec, exec, s[14:15]
	s_cbranch_execnz .LBB7_17
; %bb.18:
	s_or_b64 exec, exec, s[14:15]
.LBB7_19:
	s_or_b64 exec, exec, s[10:11]
	v_cmp_lt_u32_e32 vcc, 47, v0
	s_and_saveexec_b64 s[10:11], vcc
	s_cbranch_execz .LBB7_23
; %bb.20:
	s_mov_b64 s[14:15], 0
	s_mov_b64 s[16:17], 0x1000
	s_movk_i32 s13, 0x1000
	s_mov_b64 s[18:19], 0x2000
.LBB7_21:                               ; =>This Inner Loop Header: Depth=1
	v_ashrrev_i32_e32 v67, 31, v66
	v_lshl_add_u64 v[88:89], v[66:67], 2, s[8:9]
	global_load_dwordx4 v[0:3], v[68:69], off offset:48
	global_load_dwordx4 v[8:11], v[68:69], off offset:32
	;; [unrolled: 1-line block ×3, first 2 shown]
	global_load_dwordx4 v[12:15], v[68:69], off
	global_load_dwordx4 v[16:19], v[68:69], off offset:112
	global_load_dwordx4 v[28:31], v[68:69], off offset:96
	;; [unrolled: 1-line block ×12, first 2 shown]
	global_load_dword v57, v[88:89], off
	global_load_dword v67, v[88:89], off offset:64
	global_load_dword v102, v[88:89], off offset:128
	;; [unrolled: 1-line block ×3, first 2 shown]
	v_lshl_add_u64 v[100:101], v[68:69], 0, s[16:17]
	v_add_co_u32_e32 v96, vcc, s13, v68
	v_add_u32_e32 v66, 64, v66
	s_nop 0
	v_addc_co_u32_e32 v97, vcc, 0, v69, vcc
	v_cmp_ge_i32_e32 vcc, v66, v70
	v_lshl_add_u64 v[68:69], v[68:69], 0, s[18:19]
	s_or_b64 s[14:15], vcc, s[14:15]
	s_waitcnt vmcnt(3)
	v_subrev_u32_e32 v57, s12, v57
	v_lshlrev_b32_e32 v88, 2, v57
	v_ashrrev_i32_e32 v89, 31, v88
	s_waitcnt lgkmcnt(0)
	v_lshl_add_u64 v[98:99], v[88:89], 3, s[4:5]
	global_load_dwordx4 v[88:91], v[98:99], off
	global_load_dwordx4 v[92:95], v[98:99], off offset:16
	s_waitcnt vmcnt(4)
	v_subrev_u32_e32 v57, s12, v67
	s_waitcnt vmcnt(2)
	v_subrev_u32_e32 v67, s12, v103
	s_waitcnt vmcnt(1)
	v_fmac_f64_e32 v[54:55], v[28:29], v[88:89]
	v_fmac_f64_e32 v[54:55], v[30:31], v[90:91]
	;; [unrolled: 1-line block ×5, first 2 shown]
	s_waitcnt vmcnt(0)
	v_fmac_f64_e32 v[54:55], v[16:17], v[92:93]
	v_lshlrev_b32_e32 v16, 2, v57
	v_fmac_f64_e32 v[64:65], v[14:15], v[90:91]
	v_fmac_f64_e32 v[62:63], v[10:11], v[90:91]
	v_fmac_f64_e32 v[60:61], v[38:39], v[90:91]
	v_ashrrev_i32_e32 v17, 31, v16
	v_fmac_f64_e32 v[64:65], v[4:5], v[92:93]
	v_fmac_f64_e32 v[62:63], v[0:1], v[92:93]
	;; [unrolled: 1-line block ×3, first 2 shown]
	v_lshl_add_u64 v[98:99], v[16:17], 3, s[4:5]
	global_load_dwordx4 v[12:15], v[100:101], off offset:48
	global_load_dwordx4 v[8:11], v[100:101], off offset:32
	;; [unrolled: 1-line block ×5, first 2 shown]
	v_fmac_f64_e32 v[64:65], v[6:7], v[94:95]
	global_load_dwordx4 v[4:7], v[100:101], off offset:80
	v_fmac_f64_e32 v[62:63], v[2:3], v[94:95]
	global_load_dwordx4 v[0:3], v[100:101], off offset:64
	;; [unrolled: 2-line block ×3, first 2 shown]
	v_fmac_f64_e32 v[54:55], v[18:19], v[94:95]
	global_load_dwordx4 v[16:19], v[98:99], off
	global_load_dwordx4 v[92:95], v[98:99], off offset:16
	v_subrev_u32_e32 v57, s12, v102
	s_waitcnt vmcnt(1)
	v_fmac_f64_e32 v[64:65], v[44:45], v[16:17]
	v_fmac_f64_e32 v[62:63], v[40:41], v[16:17]
	;; [unrolled: 1-line block ×6, first 2 shown]
	s_waitcnt vmcnt(0)
	v_fmac_f64_e32 v[64:65], v[32:33], v[92:93]
	v_fmac_f64_e32 v[62:63], v[24:25], v[92:93]
	global_load_dwordx4 v[44:47], v[100:101], off offset:2080
	global_load_dwordx4 v[40:43], v[100:101], off offset:2064
	v_fmac_f64_e32 v[60:61], v[86:87], v[18:19]
	global_load_dwordx4 v[84:87], v[100:101], off offset:2048
	v_fmac_f64_e32 v[54:55], v[78:79], v[18:19]
	global_load_dwordx4 v[16:19], v[96:97], off
	global_load_dwordx4 v[76:79], v[100:101], off offset:2160
	v_fmac_f64_e32 v[64:65], v[34:35], v[94:95]
	global_load_dwordx4 v[32:35], v[100:101], off offset:2112
	v_fmac_f64_e32 v[62:63], v[26:27], v[94:95]
	global_load_dwordx4 v[24:27], v[100:101], off offset:2144
	global_load_dwordx4 v[96:99], v[100:101], off offset:2128
	v_lshlrev_b32_e32 v100, 2, v57
	v_fmac_f64_e32 v[60:61], v[80:81], v[92:93]
	v_lshlrev_b32_e32 v80, 2, v67
	v_ashrrev_i32_e32 v101, 31, v100
	v_ashrrev_i32_e32 v81, 31, v80
	v_lshl_add_u64 v[100:101], v[100:101], 3, s[4:5]
	v_fmac_f64_e32 v[54:55], v[72:73], v[92:93]
	v_fmac_f64_e32 v[60:61], v[82:83], v[94:95]
	v_lshl_add_u64 v[102:103], v[80:81], 3, s[4:5]
	v_fmac_f64_e32 v[54:55], v[74:75], v[94:95]
	global_load_dwordx4 v[72:75], v[100:101], off
	global_load_dwordx4 v[80:83], v[100:101], off offset:16
	global_load_dwordx4 v[92:95], v[102:103], off
	s_waitcnt vmcnt(2)
	v_fmac_f64_e32 v[64:65], v[16:17], v[72:73]
	v_fmac_f64_e32 v[64:65], v[18:19], v[74:75]
	global_load_dwordx4 v[16:19], v[102:103], off offset:16
	v_fmac_f64_e32 v[62:63], v[8:9], v[72:73]
	v_fmac_f64_e32 v[60:61], v[0:1], v[72:73]
	v_fmac_f64_e32 v[54:55], v[88:89], v[72:73]
	v_fmac_f64_e32 v[62:63], v[10:11], v[74:75]
	v_fmac_f64_e32 v[60:61], v[2:3], v[74:75]
	v_fmac_f64_e32 v[54:55], v[90:91], v[74:75]
	s_waitcnt vmcnt(2)
	v_fmac_f64_e32 v[64:65], v[36:37], v[80:81]
	v_fmac_f64_e32 v[62:63], v[12:13], v[80:81]
	v_fmac_f64_e32 v[60:61], v[4:5], v[80:81]
	v_fmac_f64_e32 v[54:55], v[28:29], v[80:81]
	v_fmac_f64_e32 v[64:65], v[38:39], v[82:83]
	v_fmac_f64_e32 v[62:63], v[14:15], v[82:83]
	v_fmac_f64_e32 v[60:61], v[6:7], v[82:83]
	v_fmac_f64_e32 v[54:55], v[30:31], v[82:83]
	s_waitcnt vmcnt(1)
	v_fmac_f64_e32 v[64:65], v[84:85], v[92:93]
	v_fmac_f64_e32 v[62:63], v[44:45], v[92:93]
	;; [unrolled: 9-line block ×3, first 2 shown]
	v_fmac_f64_e32 v[60:61], v[96:97], v[16:17]
	v_fmac_f64_e32 v[54:55], v[76:77], v[16:17]
	;; [unrolled: 1-line block ×6, first 2 shown]
	s_andn2_b64 exec, exec, s[14:15]
	s_cbranch_execnz .LBB7_21
; %bb.22:
	s_or_b64 exec, exec, s[14:15]
.LBB7_23:
	s_or_b64 exec, exec, s[10:11]
.LBB7_24:
	s_or_b64 exec, exec, s[6:7]
	s_cbranch_execz .LBB7_26
	s_branch .LBB7_37
.LBB7_25:
                                        ; implicit-def: $vgpr54_vgpr55
                                        ; implicit-def: $vgpr60_vgpr61
                                        ; implicit-def: $vgpr62_vgpr63
                                        ; implicit-def: $vgpr64_vgpr65
.LBB7_26:
	v_mov_b64_e32 v[54:55], 0
	v_mov_b64_e32 v[60:61], 0
	;; [unrolled: 1-line block ×4, first 2 shown]
	s_and_saveexec_b64 s[6:7], s[2:3]
	s_cbranch_execz .LBB7_36
; %bb.27:
	v_add_u32_e32 v0, v71, v53
	v_subrev_u32_e32 v0, s12, v0
	v_add_u32_e32 v0, 16, v0
	v_max_i32_e32 v0, v0, v70
	v_not_b32_e32 v1, v71
	v_add3_u32 v0, s12, v0, v1
	v_sub_u32_e32 v0, v0, v53
	v_and_b32_e32 v1, 48, v0
	v_cmp_ne_u32_e32 vcc, 48, v1
	v_mov_b64_e32 v[64:65], 0
	v_mov_b64_e32 v[62:63], 0
	v_mov_b64_e32 v[60:61], 0
	v_mov_b64_e32 v[54:55], 0
	s_and_saveexec_b64 s[2:3], vcc
	s_cbranch_execz .LBB7_31
; %bb.28:
	v_lshrrev_b32_e32 v1, 4, v0
	v_add_u32_e32 v1, 1, v1
	v_and_b32_e32 v1, 3, v1
	v_sub_u32_e32 v1, 0, v1
	v_mov_b64_e32 v[54:55], 0
	s_mov_b64 s[10:11], 0
	s_mov_b64 s[14:15], 0x800
	v_mov_b64_e32 v[60:61], 0
	v_mov_b64_e32 v[62:63], 0
	;; [unrolled: 1-line block ×3, first 2 shown]
.LBB7_29:                               ; =>This Inner Loop Header: Depth=1
	v_ashrrev_i32_e32 v57, 31, v56
	v_lshl_add_u64 v[26:27], v[56:57], 2, s[8:9]
	global_load_dword v28, v[26:27], off
	global_load_dwordx4 v[2:5], v[58:59], off offset:48
	global_load_dwordx4 v[6:9], v[58:59], off offset:32
	;; [unrolled: 1-line block ×3, first 2 shown]
	global_load_dwordx4 v[14:17], v[58:59], off
	global_load_dwordx4 v[18:21], v[58:59], off offset:80
	global_load_dwordx4 v[22:25], v[58:59], off offset:64
	v_add_co_u32_e32 v1, vcc, 1, v1
	v_add_u32_e32 v56, 16, v56
	s_or_b64 s[10:11], vcc, s[10:11]
	s_waitcnt vmcnt(6)
	v_subrev_u32_e32 v26, s12, v28
	v_lshlrev_b32_e32 v26, 2, v26
	v_ashrrev_i32_e32 v27, 31, v26
	s_waitcnt lgkmcnt(0)
	v_lshl_add_u64 v[42:43], v[26:27], 3, s[4:5]
	global_load_dwordx4 v[26:29], v[42:43], off
	global_load_dwordx4 v[30:33], v[42:43], off offset:16
	global_load_dwordx4 v[34:37], v[58:59], off offset:96
	;; [unrolled: 1-line block ×3, first 2 shown]
	v_lshl_add_u64 v[58:59], v[58:59], 0, s[14:15]
	s_waitcnt vmcnt(3)
	v_fmac_f64_e32 v[64:65], v[14:15], v[26:27]
	v_fmac_f64_e32 v[62:63], v[16:17], v[26:27]
	;; [unrolled: 1-line block ×8, first 2 shown]
	s_waitcnt vmcnt(2)
	v_fmac_f64_e32 v[64:65], v[22:23], v[30:31]
	v_fmac_f64_e32 v[62:63], v[24:25], v[30:31]
	;; [unrolled: 1-line block ×4, first 2 shown]
	s_waitcnt vmcnt(1)
	v_fmac_f64_e32 v[64:65], v[34:35], v[32:33]
	v_fmac_f64_e32 v[62:63], v[36:37], v[32:33]
	s_waitcnt vmcnt(0)
	v_fmac_f64_e32 v[60:61], v[38:39], v[32:33]
	v_fmac_f64_e32 v[54:55], v[40:41], v[32:33]
	s_andn2_b64 exec, exec, s[10:11]
	s_cbranch_execnz .LBB7_29
; %bb.30:
	s_or_b64 exec, exec, s[10:11]
.LBB7_31:
	s_or_b64 exec, exec, s[2:3]
	v_cmp_lt_u32_e32 vcc, 47, v0
	s_and_saveexec_b64 s[2:3], vcc
	s_cbranch_execz .LBB7_35
; %bb.32:
	s_mov_b64 s[10:11], 0
	s_mov_b64 s[14:15], 0x1000
	s_movk_i32 s13, 0x1000
	s_mov_b64 s[16:17], 0x2000
.LBB7_33:                               ; =>This Inner Loop Header: Depth=1
	v_ashrrev_i32_e32 v57, 31, v56
	v_lshl_add_u64 v[72:73], v[56:57], 2, s[8:9]
	global_load_dwordx4 v[0:3], v[58:59], off offset:48
	global_load_dwordx4 v[4:7], v[58:59], off offset:32
	;; [unrolled: 1-line block ×3, first 2 shown]
	global_load_dwordx4 v[12:15], v[58:59], off
	global_load_dwordx4 v[16:19], v[58:59], off offset:112
	global_load_dwordx4 v[20:23], v[58:59], off offset:96
	;; [unrolled: 1-line block ×9, first 2 shown]
	global_load_dword v57, v[72:73], off
	global_load_dword v71, v[72:73], off offset:64
	global_load_dword v82, v[72:73], off offset:128
	;; [unrolled: 1-line block ×3, first 2 shown]
	v_add_u32_e32 v56, 64, v56
	s_waitcnt vmcnt(3)
	v_subrev_u32_e32 v57, s12, v57
	v_lshlrev_b32_e32 v72, 2, v57
	v_ashrrev_i32_e32 v73, 31, v72
	s_waitcnt lgkmcnt(0)
	v_lshl_add_u64 v[80:81], v[72:73], 3, s[4:5]
	global_load_dwordx4 v[72:75], v[80:81], off
	global_load_dwordx4 v[76:79], v[80:81], off offset:16
	s_waitcnt vmcnt(4)
	v_subrev_u32_e32 v57, s12, v71
	v_lshl_add_u64 v[80:81], v[58:59], 0, s[14:15]
	s_waitcnt vmcnt(1)
	v_fmac_f64_e32 v[64:65], v[12:13], v[72:73]
	v_fmac_f64_e32 v[62:63], v[14:15], v[72:73]
	;; [unrolled: 1-line block ×4, first 2 shown]
	v_lshlrev_b32_e32 v72, 2, v57
	v_fmac_f64_e32 v[64:65], v[4:5], v[74:75]
	v_fmac_f64_e32 v[62:63], v[6:7], v[74:75]
	;; [unrolled: 1-line block ×4, first 2 shown]
	v_add_co_u32_e32 v0, vcc, s13, v58
	v_ashrrev_i32_e32 v73, 31, v72
	s_nop 0
	v_addc_co_u32_e32 v1, vcc, 0, v59, vcc
	s_waitcnt vmcnt(0)
	v_fmac_f64_e32 v[64:65], v[40:41], v[76:77]
	v_fmac_f64_e32 v[62:63], v[42:43], v[76:77]
	;; [unrolled: 1-line block ×4, first 2 shown]
	v_lshl_add_u64 v[76:77], v[72:73], 3, s[4:5]
	global_load_dwordx4 v[12:15], v[58:59], off offset:2144
	global_load_dwordx4 v[8:11], v[58:59], off offset:2128
	;; [unrolled: 1-line block ×5, first 2 shown]
	v_fmac_f64_e32 v[64:65], v[20:21], v[78:79]
	global_load_dwordx4 v[0:3], v[0:1], off
	v_fmac_f64_e32 v[62:63], v[22:23], v[78:79]
	global_load_dwordx4 v[20:23], v[80:81], off offset:16
	v_fmac_f64_e32 v[60:61], v[16:17], v[78:79]
	v_fmac_f64_e32 v[54:55], v[18:19], v[78:79]
	global_load_dwordx4 v[16:19], v[76:77], off
	global_load_dwordx4 v[72:75], v[76:77], off offset:16
	v_subrev_u32_e32 v57, s12, v82
	v_cmp_ge_i32_e32 vcc, v56, v70
	v_lshl_add_u64 v[58:59], v[58:59], 0, s[16:17]
	s_or_b64 s[10:11], vcc, s[10:11]
	s_waitcnt vmcnt(1)
	v_fmac_f64_e32 v[64:65], v[44:45], v[16:17]
	v_fmac_f64_e32 v[62:63], v[46:47], v[16:17]
	v_fmac_f64_e32 v[60:61], v[36:37], v[16:17]
	v_fmac_f64_e32 v[54:55], v[38:39], v[16:17]
	v_fmac_f64_e32 v[64:65], v[28:29], v[18:19]
	v_fmac_f64_e32 v[62:63], v[30:31], v[18:19]
	v_fmac_f64_e32 v[60:61], v[24:25], v[18:19]
	v_fmac_f64_e32 v[54:55], v[26:27], v[18:19]
	s_waitcnt vmcnt(0)
	v_fmac_f64_e32 v[64:65], v[4:5], v[72:73]
	v_fmac_f64_e32 v[62:63], v[6:7], v[72:73]
	;; [unrolled: 1-line block ×4, first 2 shown]
	v_lshlrev_b32_e32 v72, 2, v57
	v_ashrrev_i32_e32 v73, 31, v72
	v_lshl_add_u64 v[82:83], v[72:73], 3, s[4:5]
	global_load_dwordx4 v[44:47], v[80:81], off offset:112
	global_load_dwordx4 v[36:39], v[80:81], off offset:96
	;; [unrolled: 1-line block ×7, first 2 shown]
	v_fmac_f64_e32 v[64:65], v[12:13], v[74:75]
	v_fmac_f64_e32 v[62:63], v[14:15], v[74:75]
	global_load_dwordx4 v[12:15], v[80:81], off offset:2064
	v_fmac_f64_e32 v[60:61], v[66:67], v[74:75]
	v_fmac_f64_e32 v[54:55], v[68:69], v[74:75]
	global_load_dwordx4 v[66:69], v[80:81], off offset:2048
	global_load_dwordx4 v[72:75], v[82:83], off
	global_load_dwordx4 v[76:79], v[82:83], off offset:16
	v_subrev_u32_e32 v57, s12, v84
	s_waitcnt vmcnt(1)
	v_fmac_f64_e32 v[64:65], v[0:1], v[72:73]
	v_fmac_f64_e32 v[64:65], v[32:33], v[74:75]
	v_lshlrev_b32_e32 v32, 2, v57
	v_ashrrev_i32_e32 v33, 31, v32
	v_fmac_f64_e32 v[62:63], v[2:3], v[72:73]
	v_fmac_f64_e32 v[60:61], v[20:21], v[72:73]
	v_fmac_f64_e32 v[54:55], v[22:23], v[72:73]
	v_lshl_add_u64 v[82:83], v[32:33], 3, s[4:5]
	global_load_dwordx4 v[0:3], v[80:81], off offset:2128
	global_load_dwordx4 v[20:23], v[80:81], off offset:2112
	v_fmac_f64_e32 v[62:63], v[34:35], v[74:75]
	v_fmac_f64_e32 v[60:61], v[40:41], v[74:75]
	;; [unrolled: 1-line block ×3, first 2 shown]
	global_load_dwordx4 v[32:35], v[82:83], off
	global_load_dwordx4 v[40:43], v[82:83], off offset:16
	global_load_dwordx4 v[72:75], v[80:81], off offset:2144
	s_waitcnt vmcnt(5)
	v_fmac_f64_e32 v[64:65], v[16:17], v[76:77]
	v_fmac_f64_e32 v[62:63], v[18:19], v[76:77]
	;; [unrolled: 1-line block ×8, first 2 shown]
	s_waitcnt vmcnt(2)
	v_fmac_f64_e32 v[64:65], v[66:67], v[32:33]
	v_fmac_f64_e32 v[62:63], v[68:69], v[32:33]
	v_fmac_f64_e32 v[60:61], v[12:13], v[32:33]
	v_fmac_f64_e32 v[54:55], v[14:15], v[32:33]
	v_fmac_f64_e32 v[64:65], v[4:5], v[34:35]
	v_fmac_f64_e32 v[62:63], v[6:7], v[34:35]
	v_fmac_f64_e32 v[60:61], v[24:25], v[34:35]
	v_fmac_f64_e32 v[54:55], v[26:27], v[34:35]
	s_waitcnt vmcnt(1)
	v_fmac_f64_e32 v[64:65], v[20:21], v[40:41]
	v_fmac_f64_e32 v[62:63], v[22:23], v[40:41]
	;; [unrolled: 1-line block ×4, first 2 shown]
	s_waitcnt vmcnt(0)
	v_fmac_f64_e32 v[64:65], v[72:73], v[42:43]
	v_fmac_f64_e32 v[62:63], v[74:75], v[42:43]
	;; [unrolled: 1-line block ×4, first 2 shown]
	s_andn2_b64 exec, exec, s[10:11]
	s_cbranch_execnz .LBB7_33
; %bb.34:
	s_or_b64 exec, exec, s[10:11]
.LBB7_35:
	s_or_b64 exec, exec, s[2:3]
.LBB7_36:
	s_or_b64 exec, exec, s[6:7]
.LBB7_37:
	v_mov_b32_dpp v0, v64 row_shr:1 row_mask:0xf bank_mask:0xf
	v_mov_b32_dpp v1, v65 row_shr:1 row_mask:0xf bank_mask:0xf
	v_mov_b32_dpp v4, v62 row_shr:1 row_mask:0xf bank_mask:0xf
	v_mov_b32_dpp v5, v63 row_shr:1 row_mask:0xf bank_mask:0xf
	v_mov_b32_dpp v8, v60 row_shr:1 row_mask:0xf bank_mask:0xf
	v_mov_b32_dpp v9, v61 row_shr:1 row_mask:0xf bank_mask:0xf
	v_mov_b32_dpp v12, v54 row_shr:1 row_mask:0xf bank_mask:0xf
	v_mov_b32_dpp v13, v55 row_shr:1 row_mask:0xf bank_mask:0xf
	v_add_f64 v[0:1], v[64:65], v[0:1]
	v_add_f64 v[4:5], v[62:63], v[4:5]
	v_add_f64 v[8:9], v[60:61], v[8:9]
	v_add_f64 v[12:13], v[54:55], v[12:13]
	v_mov_b32_dpp v2, v0 row_shr:2 row_mask:0xf bank_mask:0xf
	v_mov_b32_dpp v3, v1 row_shr:2 row_mask:0xf bank_mask:0xf
	v_mov_b32_dpp v6, v4 row_shr:2 row_mask:0xf bank_mask:0xf
	v_mov_b32_dpp v7, v5 row_shr:2 row_mask:0xf bank_mask:0xf
	v_mov_b32_dpp v10, v8 row_shr:2 row_mask:0xf bank_mask:0xf
	v_mov_b32_dpp v11, v9 row_shr:2 row_mask:0xf bank_mask:0xf
	v_mov_b32_dpp v14, v12 row_shr:2 row_mask:0xf bank_mask:0xf
	v_mov_b32_dpp v15, v13 row_shr:2 row_mask:0xf bank_mask:0xf
	v_add_f64 v[0:1], v[0:1], v[2:3]
	v_add_f64 v[4:5], v[4:5], v[6:7]
	v_add_f64 v[8:9], v[8:9], v[10:11]
	v_add_f64 v[12:13], v[12:13], v[14:15]
	;; [unrolled: 12-line block ×3, first 2 shown]
	v_mov_b32_dpp v2, v0 row_shr:8 row_mask:0xf bank_mask:0xc
	v_mov_b32_dpp v3, v1 row_shr:8 row_mask:0xf bank_mask:0xc
	;; [unrolled: 1-line block ×8, first 2 shown]
	v_cmp_eq_u32_e32 vcc, 15, v53
	s_and_b64 exec, exec, vcc
	s_cbranch_execz .LBB7_10
; %bb.38:
	s_load_dwordx2 s[0:1], s[0:1], 0x50
	v_add_f64 v[0:1], v[0:1], v[2:3]
	v_add_f64 v[2:3], v[4:5], v[6:7]
	;; [unrolled: 1-line block ×4, first 2 shown]
	v_cmp_eq_f64_e32 vcc, 0, v[48:49]
	v_mul_f64 v[4:5], v[50:51], v[0:1]
	v_mul_f64 v[6:7], v[50:51], v[2:3]
	v_mul_f64 v[0:1], v[50:51], v[8:9]
	v_mul_f64 v[2:3], v[50:51], v[10:11]
	v_lshlrev_b32_e32 v8, 2, v52
	s_and_saveexec_b64 s[2:3], vcc
	s_xor_b64 s[2:3], exec, s[2:3]
	s_cbranch_execz .LBB7_40
; %bb.39:
	v_ashrrev_i32_e32 v9, 31, v8
	s_waitcnt lgkmcnt(0)
	v_lshl_add_u64 v[8:9], v[8:9], 3, s[0:1]
	global_store_dwordx4 v[8:9], v[4:7], off
	global_store_dwordx4 v[8:9], v[0:3], off offset:16
                                        ; implicit-def: $vgpr8
                                        ; implicit-def: $vgpr48_vgpr49
                                        ; implicit-def: $vgpr4_vgpr5
                                        ; implicit-def: $vgpr0_vgpr1
.LBB7_40:
	s_andn2_saveexec_b64 s[2:3], s[2:3]
	s_cbranch_execz .LBB7_10
; %bb.41:
	v_ashrrev_i32_e32 v9, 31, v8
	s_waitcnt lgkmcnt(0)
	v_lshl_add_u64 v[16:17], v[8:9], 3, s[0:1]
	global_load_dwordx4 v[8:11], v[16:17], off
	global_load_dwordx4 v[12:15], v[16:17], off offset:16
	s_waitcnt vmcnt(1)
	v_fmac_f64_e32 v[4:5], v[48:49], v[8:9]
	v_fmac_f64_e32 v[6:7], v[48:49], v[10:11]
	s_waitcnt vmcnt(0)
	v_fmac_f64_e32 v[0:1], v[48:49], v[12:13]
	v_fmac_f64_e32 v[2:3], v[48:49], v[14:15]
	global_store_dwordx4 v[16:17], v[4:7], off
	global_store_dwordx4 v[16:17], v[0:3], off offset:16
	s_endpgm
	.section	.rodata,"a",@progbits
	.p2align	6, 0x0
	.amdhsa_kernel _ZN9rocsparseL18bsrxmvn_4x4_kernelILj128ELj16EdiidddEEvT3_20rocsparse_direction_NS_24const_host_device_scalarIT1_EES1_PKS1_PKT2_SA_S7_PKT4_PKT5_S5_PT6_21rocsparse_index_base_b
		.amdhsa_group_segment_fixed_size 0
		.amdhsa_private_segment_fixed_size 0
		.amdhsa_kernarg_size 96
		.amdhsa_user_sgpr_count 2
		.amdhsa_user_sgpr_dispatch_ptr 0
		.amdhsa_user_sgpr_queue_ptr 0
		.amdhsa_user_sgpr_kernarg_segment_ptr 1
		.amdhsa_user_sgpr_dispatch_id 0
		.amdhsa_user_sgpr_kernarg_preload_length 0
		.amdhsa_user_sgpr_kernarg_preload_offset 0
		.amdhsa_user_sgpr_private_segment_size 0
		.amdhsa_uses_dynamic_stack 0
		.amdhsa_enable_private_segment 0
		.amdhsa_system_sgpr_workgroup_id_x 1
		.amdhsa_system_sgpr_workgroup_id_y 0
		.amdhsa_system_sgpr_workgroup_id_z 0
		.amdhsa_system_sgpr_workgroup_info 0
		.amdhsa_system_vgpr_workitem_id 0
		.amdhsa_next_free_vgpr 104
		.amdhsa_next_free_sgpr 20
		.amdhsa_accum_offset 104
		.amdhsa_reserve_vcc 1
		.amdhsa_float_round_mode_32 0
		.amdhsa_float_round_mode_16_64 0
		.amdhsa_float_denorm_mode_32 3
		.amdhsa_float_denorm_mode_16_64 3
		.amdhsa_dx10_clamp 1
		.amdhsa_ieee_mode 1
		.amdhsa_fp16_overflow 0
		.amdhsa_tg_split 0
		.amdhsa_exception_fp_ieee_invalid_op 0
		.amdhsa_exception_fp_denorm_src 0
		.amdhsa_exception_fp_ieee_div_zero 0
		.amdhsa_exception_fp_ieee_overflow 0
		.amdhsa_exception_fp_ieee_underflow 0
		.amdhsa_exception_fp_ieee_inexact 0
		.amdhsa_exception_int_div_zero 0
	.end_amdhsa_kernel
	.section	.text._ZN9rocsparseL18bsrxmvn_4x4_kernelILj128ELj16EdiidddEEvT3_20rocsparse_direction_NS_24const_host_device_scalarIT1_EES1_PKS1_PKT2_SA_S7_PKT4_PKT5_S5_PT6_21rocsparse_index_base_b,"axG",@progbits,_ZN9rocsparseL18bsrxmvn_4x4_kernelILj128ELj16EdiidddEEvT3_20rocsparse_direction_NS_24const_host_device_scalarIT1_EES1_PKS1_PKT2_SA_S7_PKT4_PKT5_S5_PT6_21rocsparse_index_base_b,comdat
.Lfunc_end7:
	.size	_ZN9rocsparseL18bsrxmvn_4x4_kernelILj128ELj16EdiidddEEvT3_20rocsparse_direction_NS_24const_host_device_scalarIT1_EES1_PKS1_PKT2_SA_S7_PKT4_PKT5_S5_PT6_21rocsparse_index_base_b, .Lfunc_end7-_ZN9rocsparseL18bsrxmvn_4x4_kernelILj128ELj16EdiidddEEvT3_20rocsparse_direction_NS_24const_host_device_scalarIT1_EES1_PKS1_PKT2_SA_S7_PKT4_PKT5_S5_PT6_21rocsparse_index_base_b
                                        ; -- End function
	.set _ZN9rocsparseL18bsrxmvn_4x4_kernelILj128ELj16EdiidddEEvT3_20rocsparse_direction_NS_24const_host_device_scalarIT1_EES1_PKS1_PKT2_SA_S7_PKT4_PKT5_S5_PT6_21rocsparse_index_base_b.num_vgpr, 104
	.set _ZN9rocsparseL18bsrxmvn_4x4_kernelILj128ELj16EdiidddEEvT3_20rocsparse_direction_NS_24const_host_device_scalarIT1_EES1_PKS1_PKT2_SA_S7_PKT4_PKT5_S5_PT6_21rocsparse_index_base_b.num_agpr, 0
	.set _ZN9rocsparseL18bsrxmvn_4x4_kernelILj128ELj16EdiidddEEvT3_20rocsparse_direction_NS_24const_host_device_scalarIT1_EES1_PKS1_PKT2_SA_S7_PKT4_PKT5_S5_PT6_21rocsparse_index_base_b.numbered_sgpr, 20
	.set _ZN9rocsparseL18bsrxmvn_4x4_kernelILj128ELj16EdiidddEEvT3_20rocsparse_direction_NS_24const_host_device_scalarIT1_EES1_PKS1_PKT2_SA_S7_PKT4_PKT5_S5_PT6_21rocsparse_index_base_b.num_named_barrier, 0
	.set _ZN9rocsparseL18bsrxmvn_4x4_kernelILj128ELj16EdiidddEEvT3_20rocsparse_direction_NS_24const_host_device_scalarIT1_EES1_PKS1_PKT2_SA_S7_PKT4_PKT5_S5_PT6_21rocsparse_index_base_b.private_seg_size, 0
	.set _ZN9rocsparseL18bsrxmvn_4x4_kernelILj128ELj16EdiidddEEvT3_20rocsparse_direction_NS_24const_host_device_scalarIT1_EES1_PKS1_PKT2_SA_S7_PKT4_PKT5_S5_PT6_21rocsparse_index_base_b.uses_vcc, 1
	.set _ZN9rocsparseL18bsrxmvn_4x4_kernelILj128ELj16EdiidddEEvT3_20rocsparse_direction_NS_24const_host_device_scalarIT1_EES1_PKS1_PKT2_SA_S7_PKT4_PKT5_S5_PT6_21rocsparse_index_base_b.uses_flat_scratch, 0
	.set _ZN9rocsparseL18bsrxmvn_4x4_kernelILj128ELj16EdiidddEEvT3_20rocsparse_direction_NS_24const_host_device_scalarIT1_EES1_PKS1_PKT2_SA_S7_PKT4_PKT5_S5_PT6_21rocsparse_index_base_b.has_dyn_sized_stack, 0
	.set _ZN9rocsparseL18bsrxmvn_4x4_kernelILj128ELj16EdiidddEEvT3_20rocsparse_direction_NS_24const_host_device_scalarIT1_EES1_PKS1_PKT2_SA_S7_PKT4_PKT5_S5_PT6_21rocsparse_index_base_b.has_recursion, 0
	.set _ZN9rocsparseL18bsrxmvn_4x4_kernelILj128ELj16EdiidddEEvT3_20rocsparse_direction_NS_24const_host_device_scalarIT1_EES1_PKS1_PKT2_SA_S7_PKT4_PKT5_S5_PT6_21rocsparse_index_base_b.has_indirect_call, 0
	.section	.AMDGPU.csdata,"",@progbits
; Kernel info:
; codeLenInByte = 3456
; TotalNumSgprs: 26
; NumVgprs: 104
; NumAgprs: 0
; TotalNumVgprs: 104
; ScratchSize: 0
; MemoryBound: 1
; FloatMode: 240
; IeeeMode: 1
; LDSByteSize: 0 bytes/workgroup (compile time only)
; SGPRBlocks: 3
; VGPRBlocks: 12
; NumSGPRsForWavesPerEU: 26
; NumVGPRsForWavesPerEU: 104
; AccumOffset: 104
; Occupancy: 4
; WaveLimiterHint : 1
; COMPUTE_PGM_RSRC2:SCRATCH_EN: 0
; COMPUTE_PGM_RSRC2:USER_SGPR: 2
; COMPUTE_PGM_RSRC2:TRAP_HANDLER: 0
; COMPUTE_PGM_RSRC2:TGID_X_EN: 1
; COMPUTE_PGM_RSRC2:TGID_Y_EN: 0
; COMPUTE_PGM_RSRC2:TGID_Z_EN: 0
; COMPUTE_PGM_RSRC2:TIDIG_COMP_CNT: 0
; COMPUTE_PGM_RSRC3_GFX90A:ACCUM_OFFSET: 25
; COMPUTE_PGM_RSRC3_GFX90A:TG_SPLIT: 0
	.section	.text._ZN9rocsparseL18bsrxmvn_4x4_kernelILj128ELj32EdiidddEEvT3_20rocsparse_direction_NS_24const_host_device_scalarIT1_EES1_PKS1_PKT2_SA_S7_PKT4_PKT5_S5_PT6_21rocsparse_index_base_b,"axG",@progbits,_ZN9rocsparseL18bsrxmvn_4x4_kernelILj128ELj32EdiidddEEvT3_20rocsparse_direction_NS_24const_host_device_scalarIT1_EES1_PKS1_PKT2_SA_S7_PKT4_PKT5_S5_PT6_21rocsparse_index_base_b,comdat
	.globl	_ZN9rocsparseL18bsrxmvn_4x4_kernelILj128ELj32EdiidddEEvT3_20rocsparse_direction_NS_24const_host_device_scalarIT1_EES1_PKS1_PKT2_SA_S7_PKT4_PKT5_S5_PT6_21rocsparse_index_base_b ; -- Begin function _ZN9rocsparseL18bsrxmvn_4x4_kernelILj128ELj32EdiidddEEvT3_20rocsparse_direction_NS_24const_host_device_scalarIT1_EES1_PKS1_PKT2_SA_S7_PKT4_PKT5_S5_PT6_21rocsparse_index_base_b
	.p2align	8
	.type	_ZN9rocsparseL18bsrxmvn_4x4_kernelILj128ELj32EdiidddEEvT3_20rocsparse_direction_NS_24const_host_device_scalarIT1_EES1_PKS1_PKT2_SA_S7_PKT4_PKT5_S5_PT6_21rocsparse_index_base_b,@function
_ZN9rocsparseL18bsrxmvn_4x4_kernelILj128ELj32EdiidddEEvT3_20rocsparse_direction_NS_24const_host_device_scalarIT1_EES1_PKS1_PKT2_SA_S7_PKT4_PKT5_S5_PT6_21rocsparse_index_base_b: ; @_ZN9rocsparseL18bsrxmvn_4x4_kernelILj128ELj32EdiidddEEvT3_20rocsparse_direction_NS_24const_host_device_scalarIT1_EES1_PKS1_PKT2_SA_S7_PKT4_PKT5_S5_PT6_21rocsparse_index_base_b
; %bb.0:
	s_load_dwordx2 s[12:13], s[0:1], 0x58
	s_load_dwordx2 s[8:9], s[0:1], 0x8
	;; [unrolled: 1-line block ×3, first 2 shown]
	s_waitcnt lgkmcnt(0)
	s_bitcmp1_b32 s13, 0
	s_cselect_b64 s[10:11], -1, 0
	s_xor_b64 s[6:7], s[10:11], -1
	s_and_b64 vcc, exec, s[10:11]
	v_mov_b64_e32 v[34:35], s[8:9]
	s_cbranch_vccnz .LBB8_2
; %bb.1:
	v_mov_b64_e32 v[2:3], s[8:9]
	flat_load_dwordx2 v[34:35], v[2:3]
.LBB8_2:
	s_andn2_b64 vcc, exec, s[6:7]
	v_mov_b64_e32 v[32:33], s[4:5]
	s_cbranch_vccnz .LBB8_4
; %bb.3:
	v_mov_b64_e32 v[2:3], s[4:5]
	flat_load_dwordx2 v[32:33], v[2:3]
.LBB8_4:
	s_waitcnt vmcnt(0) lgkmcnt(0)
	v_cmp_neq_f64_e32 vcc, 0, v[34:35]
	v_cmp_neq_f64_e64 s[4:5], 1.0, v[32:33]
	s_mov_b64 s[6:7], 0
	s_or_b64 s[4:5], vcc, s[4:5]
	s_and_saveexec_b64 s[8:9], s[4:5]
	s_cbranch_execz .LBB8_10
; %bb.5:
	s_load_dwordx2 s[4:5], s[0:1], 0x18
	s_load_dwordx2 s[14:15], s[0:1], 0x0
	v_lshrrev_b32_e32 v1, 5, v0
	v_lshl_or_b32 v36, s2, 2, v1
	s_mov_b64 s[2:3], 0
	s_waitcnt lgkmcnt(0)
	s_cmp_lg_u64 s[4:5], 0
	s_cbranch_scc0 .LBB8_11
; %bb.6:
	s_load_dword s6, s[0:1], 0x10
                                        ; implicit-def: $vgpr1
	s_waitcnt lgkmcnt(0)
	v_cmp_gt_i32_e32 vcc, s6, v36
	s_and_saveexec_b64 s[6:7], vcc
	s_xor_b64 s[6:7], exec, s[6:7]
	s_cbranch_execz .LBB8_8
; %bb.7:
	v_ashrrev_i32_e32 v37, 31, v36
	v_lshl_add_u64 v[2:3], v[36:37], 2, s[4:5]
	global_load_dword v1, v[2:3], off
	s_mov_b64 s[2:3], exec
	s_waitcnt vmcnt(0)
	v_subrev_u32_e32 v1, s12, v1
.LBB8_8:
	s_or_b64 exec, exec, s[6:7]
	s_mov_b64 s[6:7], s[2:3]
	s_branch .LBB8_12
.LBB8_9:
	v_cmp_gt_i32_e32 vcc, s14, v36
	s_andn2_b64 s[2:3], s[6:7], exec
	s_and_b64 s[4:5], vcc, exec
	s_or_b64 s[6:7], s[2:3], s[4:5]
	s_and_b64 exec, exec, s[6:7]
	s_cbranch_execnz .LBB8_13
.LBB8_10:
	s_endpgm
.LBB8_11:
                                        ; implicit-def: $vgpr1
	s_cbranch_execnz .LBB8_9
.LBB8_12:
	v_mov_b32_e32 v36, v1
	s_and_b64 exec, exec, s[6:7]
	s_cbranch_execz .LBB8_10
.LBB8_13:
	s_load_dwordx8 s[4:11], s[0:1], 0x20
	v_ashrrev_i32_e32 v37, 31, v36
	v_lshlrev_b64 v[2:3], 2, v[36:37]
	v_and_b32_e32 v37, 31, v0
	s_waitcnt lgkmcnt(0)
	v_lshl_add_u64 v[4:5], s[4:5], 0, v[2:3]
	s_cmp_eq_u64 s[6:7], 0
	global_load_dword v59, v[4:5], off
	v_lshl_add_u64 v[4:5], v[4:5], 0, 4
	v_lshl_add_u64 v[2:3], s[6:7], 0, v[2:3]
	s_cselect_b64 vcc, -1, 0
	v_cndmask_b32_e32 v3, v3, v5, vcc
	v_cndmask_b32_e32 v2, v2, v4, vcc
	global_load_dword v1, v[2:3], off
	s_load_dwordx2 s[4:5], s[0:1], 0x40
	s_cmp_eq_u32 s15, 1
	s_waitcnt vmcnt(1)
	v_subrev_u32_e32 v0, s12, v59
	v_add_u32_e32 v42, v0, v37
	v_ashrrev_i32_e32 v43, 31, v42
	s_waitcnt vmcnt(0)
	v_subrev_u32_e32 v58, s12, v1
	v_lshlrev_b64 v[0:1], 7, v[42:43]
	v_lshl_add_u64 v[44:45], s[10:11], 0, v[0:1]
	v_cmp_lt_i32_e64 s[2:3], v42, v58
	s_cbranch_scc1 .LBB8_25
; %bb.14:
	v_mov_b64_e32 v[38:39], 0
	v_mov_b64_e32 v[40:41], 0
	;; [unrolled: 1-line block ×4, first 2 shown]
	s_and_saveexec_b64 s[6:7], s[2:3]
	s_cbranch_execz .LBB8_24
; %bb.15:
	v_add_u32_e32 v0, v59, v37
	v_subrev_u32_e32 v0, s12, v0
	v_add_u32_e32 v0, 32, v0
	v_max_i32_e32 v0, v0, v58
	v_not_b32_e32 v1, v59
	v_add3_u32 v0, s12, v0, v1
	v_sub_u32_e32 v0, v0, v37
	s_movk_i32 s10, 0x60
	v_and_b32_e32 v1, 0x60, v0
	v_cmp_ne_u32_e32 vcc, s10, v1
	v_mov_b64_e32 v[48:49], 0
	v_mov_b64_e32 v[46:47], 0
	;; [unrolled: 1-line block ×4, first 2 shown]
	v_mov_b32_e32 v50, v42
	v_mov_b64_e32 v[52:53], v[44:45]
	s_and_saveexec_b64 s[10:11], vcc
	s_cbranch_execz .LBB8_19
; %bb.16:
	v_lshrrev_b32_e32 v1, 5, v0
	v_add_u32_e32 v1, 1, v1
	v_and_b32_e32 v1, 3, v1
	v_sub_u32_e32 v1, 0, v1
	v_mov_b64_e32 v[38:39], 0
	s_mov_b64 s[14:15], 0
	s_mov_b64 s[16:17], 0x1000
	v_mov_b64_e32 v[52:53], v[44:45]
	v_mov_b32_e32 v50, v42
	v_mov_b64_e32 v[40:41], 0
	v_mov_b64_e32 v[46:47], 0
	v_mov_b64_e32 v[48:49], 0
.LBB8_17:                               ; =>This Inner Loop Header: Depth=1
	v_ashrrev_i32_e32 v51, 31, v50
	v_lshl_add_u64 v[30:31], v[50:51], 2, s[8:9]
	global_load_dword v43, v[30:31], off
	global_load_dwordx4 v[2:5], v[52:53], off offset:48
	global_load_dwordx4 v[6:9], v[52:53], off offset:32
	;; [unrolled: 1-line block ×3, first 2 shown]
	global_load_dwordx4 v[14:17], v[52:53], off
	global_load_dwordx4 v[18:21], v[52:53], off offset:112
	global_load_dwordx4 v[22:25], v[52:53], off offset:96
	;; [unrolled: 1-line block ×4, first 2 shown]
	v_add_co_u32_e32 v1, vcc, 1, v1
	v_lshl_add_u64 v[52:53], v[52:53], 0, s[16:17]
	v_add_u32_e32 v50, 32, v50
	s_or_b64 s[14:15], vcc, s[14:15]
	s_waitcnt vmcnt(8)
	v_subrev_u32_e32 v30, s12, v43
	v_lshlrev_b32_e32 v30, 2, v30
	v_ashrrev_i32_e32 v31, 31, v30
	s_waitcnt lgkmcnt(0)
	v_lshl_add_u64 v[30:31], v[30:31], 3, s[4:5]
	global_load_dwordx4 v[60:63], v[30:31], off
	global_load_dwordx4 v[64:67], v[30:31], off offset:16
	s_waitcnt vmcnt(1)
	v_fmac_f64_e32 v[48:49], v[14:15], v[60:61]
	v_fmac_f64_e32 v[46:47], v[6:7], v[60:61]
	;; [unrolled: 1-line block ×8, first 2 shown]
	s_waitcnt vmcnt(0)
	v_fmac_f64_e32 v[48:49], v[10:11], v[64:65]
	v_fmac_f64_e32 v[46:47], v[2:3], v[64:65]
	;; [unrolled: 1-line block ×8, first 2 shown]
	s_andn2_b64 exec, exec, s[14:15]
	s_cbranch_execnz .LBB8_17
; %bb.18:
	s_or_b64 exec, exec, s[14:15]
.LBB8_19:
	s_or_b64 exec, exec, s[10:11]
	s_movk_i32 s10, 0x5f
	v_cmp_lt_u32_e32 vcc, s10, v0
	s_and_saveexec_b64 s[10:11], vcc
	s_cbranch_execz .LBB8_23
; %bb.20:
	s_mov_b64 s[14:15], 0
	s_mov_b64 s[16:17], 0x1000
	s_mov_b64 s[18:19], 0x2000
	s_movk_i32 s13, 0x2000
	s_mov_b64 s[20:21], 0x3000
	s_movk_i32 s24, 0x3000
	s_mov_b64 s[22:23], 0x4000
.LBB8_21:                               ; =>This Inner Loop Header: Depth=1
	v_ashrrev_i32_e32 v51, 31, v50
	v_lshl_add_u64 v[54:55], v[52:53], 0, s[16:17]
	global_load_dwordx4 v[0:3], v[52:53], off offset:48
	global_load_dwordx4 v[8:11], v[52:53], off offset:32
	;; [unrolled: 1-line block ×3, first 2 shown]
	global_load_dwordx4 v[12:15], v[52:53], off
	global_load_dwordx4 v[16:19], v[52:53], off offset:112
	global_load_dwordx4 v[24:27], v[52:53], off offset:96
	global_load_dwordx4 v[20:23], v[52:53], off offset:80
	global_load_dwordx4 v[28:31], v[52:53], off offset:64
	v_lshl_add_u64 v[88:89], v[50:51], 2, s[8:9]
	global_load_dwordx4 v[60:63], v[54:55], off offset:32
	global_load_dwordx4 v[64:67], v[54:55], off offset:16
	;; [unrolled: 1-line block ×7, first 2 shown]
	global_load_dword v43, v[88:89], off
	global_load_dword v51, v[88:89], off offset:128
	global_load_dword v104, v[88:89], off offset:256
	;; [unrolled: 1-line block ×3, first 2 shown]
	v_add_co_u32_e32 v96, vcc, s13, v52
	v_lshl_add_u64 v[56:57], v[52:53], 0, s[18:19]
	s_nop 0
	v_addc_co_u32_e32 v97, vcc, 0, v53, vcc
	v_lshl_add_u64 v[100:101], v[52:53], 0, s[20:21]
	v_add_co_u32_e32 v102, vcc, s24, v52
	v_add_u32_e32 v50, 0x80, v50
	s_nop 0
	v_addc_co_u32_e32 v103, vcc, 0, v53, vcc
	v_cmp_ge_i32_e32 vcc, v50, v58
	v_lshl_add_u64 v[52:53], v[52:53], 0, s[22:23]
	s_or_b64 s[14:15], vcc, s[14:15]
	s_waitcnt vmcnt(3)
	v_subrev_u32_e32 v43, s12, v43
	v_lshlrev_b32_e32 v54, 2, v43
	v_ashrrev_i32_e32 v55, 31, v54
	s_waitcnt lgkmcnt(0)
	v_lshl_add_u64 v[54:55], v[54:55], 3, s[4:5]
	global_load_dwordx4 v[88:91], v[54:55], off
	global_load_dwordx4 v[92:95], v[54:55], off offset:16
	s_waitcnt vmcnt(4)
	v_subrev_u32_e32 v43, s12, v51
	s_waitcnt vmcnt(2)
	v_subrev_u32_e32 v51, s12, v105
	s_waitcnt vmcnt(1)
	v_fmac_f64_e32 v[38:39], v[24:25], v[88:89]
	v_fmac_f64_e32 v[48:49], v[12:13], v[88:89]
	;; [unrolled: 1-line block ×8, first 2 shown]
	s_waitcnt vmcnt(0)
	v_fmac_f64_e32 v[38:39], v[16:17], v[92:93]
	v_lshlrev_b32_e32 v16, 2, v43
	v_fmac_f64_e32 v[48:49], v[4:5], v[92:93]
	v_fmac_f64_e32 v[46:47], v[0:1], v[92:93]
	;; [unrolled: 1-line block ×3, first 2 shown]
	v_ashrrev_i32_e32 v17, 31, v16
	global_load_dwordx4 v[12:15], v[56:57], off offset:48
	global_load_dwordx4 v[8:11], v[56:57], off offset:32
	;; [unrolled: 1-line block ×5, first 2 shown]
	v_fmac_f64_e32 v[48:49], v[6:7], v[94:95]
	global_load_dwordx4 v[4:7], v[56:57], off offset:80
	v_fmac_f64_e32 v[46:47], v[2:3], v[94:95]
	global_load_dwordx4 v[0:3], v[56:57], off offset:64
	v_fmac_f64_e32 v[40:41], v[22:23], v[94:95]
	global_load_dwordx4 v[20:23], v[96:97], off offset:-4096
	global_load_dwordx4 v[54:57], v[96:97], off
	v_lshl_add_u64 v[96:97], v[16:17], 3, s[4:5]
	v_fmac_f64_e32 v[38:39], v[18:19], v[94:95]
	global_load_dwordx4 v[16:19], v[96:97], off
	global_load_dwordx4 v[92:95], v[96:97], off offset:16
	v_subrev_u32_e32 v43, s12, v104
	s_waitcnt vmcnt(1)
	v_fmac_f64_e32 v[48:49], v[20:21], v[16:17]
	v_fmac_f64_e32 v[46:47], v[60:61], v[16:17]
	;; [unrolled: 1-line block ×6, first 2 shown]
	s_waitcnt vmcnt(0)
	v_fmac_f64_e32 v[48:49], v[64:65], v[92:93]
	v_fmac_f64_e32 v[46:47], v[80:81], v[92:93]
	global_load_dwordx4 v[20:23], v[100:101], off offset:48
	global_load_dwordx4 v[60:63], v[100:101], off offset:32
	v_fmac_f64_e32 v[40:41], v[86:87], v[18:19]
	global_load_dwordx4 v[84:87], v[100:101], off offset:16
	v_fmac_f64_e32 v[38:39], v[74:75], v[18:19]
	global_load_dwordx4 v[16:19], v[100:101], off offset:96
	global_load_dwordx4 v[72:75], v[100:101], off offset:80
	v_fmac_f64_e32 v[48:49], v[66:67], v[94:95]
	global_load_dwordx4 v[64:67], v[100:101], off offset:64
	v_fmac_f64_e32 v[46:47], v[82:83], v[94:95]
	global_load_dwordx4 v[80:83], v[100:101], off offset:112
	global_load_dwordx4 v[96:99], v[102:103], off
	v_lshlrev_b32_e32 v100, 2, v43
	v_fmac_f64_e32 v[40:41], v[76:77], v[92:93]
	v_lshlrev_b32_e32 v76, 2, v51
	v_ashrrev_i32_e32 v101, 31, v100
	v_ashrrev_i32_e32 v77, 31, v76
	v_lshl_add_u64 v[100:101], v[100:101], 3, s[4:5]
	v_fmac_f64_e32 v[38:39], v[68:69], v[92:93]
	v_fmac_f64_e32 v[40:41], v[78:79], v[94:95]
	v_lshl_add_u64 v[102:103], v[76:77], 3, s[4:5]
	v_fmac_f64_e32 v[38:39], v[70:71], v[94:95]
	global_load_dwordx4 v[68:71], v[100:101], off
	global_load_dwordx4 v[76:79], v[100:101], off offset:16
	global_load_dwordx4 v[92:95], v[102:103], off
	s_waitcnt vmcnt(2)
	v_fmac_f64_e32 v[48:49], v[54:55], v[68:69]
	v_fmac_f64_e32 v[48:49], v[56:57], v[70:71]
	global_load_dwordx4 v[54:57], v[102:103], off offset:16
	v_fmac_f64_e32 v[46:47], v[8:9], v[68:69]
	v_fmac_f64_e32 v[40:41], v[0:1], v[68:69]
	v_fmac_f64_e32 v[38:39], v[88:89], v[68:69]
	v_fmac_f64_e32 v[46:47], v[10:11], v[70:71]
	v_fmac_f64_e32 v[40:41], v[2:3], v[70:71]
	v_fmac_f64_e32 v[38:39], v[90:91], v[70:71]
	s_waitcnt vmcnt(2)
	v_fmac_f64_e32 v[48:49], v[28:29], v[76:77]
	v_fmac_f64_e32 v[46:47], v[12:13], v[76:77]
	v_fmac_f64_e32 v[40:41], v[4:5], v[76:77]
	v_fmac_f64_e32 v[38:39], v[24:25], v[76:77]
	v_fmac_f64_e32 v[48:49], v[30:31], v[78:79]
	v_fmac_f64_e32 v[46:47], v[14:15], v[78:79]
	v_fmac_f64_e32 v[40:41], v[6:7], v[78:79]
	v_fmac_f64_e32 v[38:39], v[26:27], v[78:79]
	s_waitcnt vmcnt(1)
	v_fmac_f64_e32 v[48:49], v[96:97], v[92:93]
	v_fmac_f64_e32 v[46:47], v[60:61], v[92:93]
	;; [unrolled: 9-line block ×3, first 2 shown]
	v_fmac_f64_e32 v[40:41], v[72:73], v[54:55]
	v_fmac_f64_e32 v[38:39], v[80:81], v[54:55]
	;; [unrolled: 1-line block ×6, first 2 shown]
	s_andn2_b64 exec, exec, s[14:15]
	s_cbranch_execnz .LBB8_21
; %bb.22:
	s_or_b64 exec, exec, s[14:15]
.LBB8_23:
	s_or_b64 exec, exec, s[10:11]
.LBB8_24:
	s_or_b64 exec, exec, s[6:7]
	s_cbranch_execz .LBB8_26
	s_branch .LBB8_37
.LBB8_25:
                                        ; implicit-def: $vgpr38_vgpr39
                                        ; implicit-def: $vgpr40_vgpr41
                                        ; implicit-def: $vgpr46_vgpr47
                                        ; implicit-def: $vgpr48_vgpr49
.LBB8_26:
	v_mov_b64_e32 v[38:39], 0
	v_mov_b64_e32 v[40:41], 0
	;; [unrolled: 1-line block ×4, first 2 shown]
	s_and_saveexec_b64 s[6:7], s[2:3]
	s_cbranch_execz .LBB8_36
; %bb.27:
	v_add_u32_e32 v0, v59, v37
	v_subrev_u32_e32 v0, s12, v0
	v_add_u32_e32 v0, 32, v0
	v_max_i32_e32 v0, v0, v58
	v_not_b32_e32 v1, v59
	v_add3_u32 v0, s12, v0, v1
	v_sub_u32_e32 v0, v0, v37
	s_movk_i32 s2, 0x60
	v_and_b32_e32 v1, 0x60, v0
	v_cmp_ne_u32_e32 vcc, s2, v1
	v_mov_b64_e32 v[48:49], 0
	v_mov_b64_e32 v[46:47], 0
	;; [unrolled: 1-line block ×4, first 2 shown]
	s_and_saveexec_b64 s[2:3], vcc
	s_cbranch_execz .LBB8_31
; %bb.28:
	v_lshrrev_b32_e32 v1, 5, v0
	v_add_u32_e32 v1, 1, v1
	v_and_b32_e32 v1, 3, v1
	v_sub_u32_e32 v1, 0, v1
	v_mov_b64_e32 v[38:39], 0
	s_mov_b64 s[10:11], 0
	s_mov_b64 s[14:15], 0x1000
	v_mov_b64_e32 v[40:41], 0
	v_mov_b64_e32 v[46:47], 0
	;; [unrolled: 1-line block ×3, first 2 shown]
.LBB8_29:                               ; =>This Inner Loop Header: Depth=1
	v_ashrrev_i32_e32 v43, 31, v42
	v_lshl_add_u64 v[26:27], v[42:43], 2, s[8:9]
	global_load_dword v28, v[26:27], off
	global_load_dwordx4 v[2:5], v[44:45], off offset:48
	global_load_dwordx4 v[6:9], v[44:45], off offset:32
	;; [unrolled: 1-line block ×3, first 2 shown]
	global_load_dwordx4 v[14:17], v[44:45], off
	global_load_dwordx4 v[18:21], v[44:45], off offset:80
	global_load_dwordx4 v[22:25], v[44:45], off offset:64
	v_add_co_u32_e32 v1, vcc, 1, v1
	v_add_u32_e32 v42, 32, v42
	s_or_b64 s[10:11], vcc, s[10:11]
	s_waitcnt vmcnt(6)
	v_subrev_u32_e32 v26, s12, v28
	v_lshlrev_b32_e32 v26, 2, v26
	v_ashrrev_i32_e32 v27, 31, v26
	s_waitcnt lgkmcnt(0)
	v_lshl_add_u64 v[30:31], v[26:27], 3, s[4:5]
	global_load_dwordx4 v[26:29], v[30:31], off
	global_load_dwordx4 v[50:53], v[30:31], off offset:16
	global_load_dwordx4 v[54:57], v[44:45], off offset:96
	;; [unrolled: 1-line block ×3, first 2 shown]
	v_lshl_add_u64 v[44:45], v[44:45], 0, s[14:15]
	s_waitcnt vmcnt(3)
	v_fmac_f64_e32 v[48:49], v[14:15], v[26:27]
	v_fmac_f64_e32 v[46:47], v[16:17], v[26:27]
	;; [unrolled: 1-line block ×8, first 2 shown]
	s_waitcnt vmcnt(2)
	v_fmac_f64_e32 v[48:49], v[22:23], v[50:51]
	v_fmac_f64_e32 v[46:47], v[24:25], v[50:51]
	;; [unrolled: 1-line block ×4, first 2 shown]
	s_waitcnt vmcnt(1)
	v_fmac_f64_e32 v[48:49], v[54:55], v[52:53]
	v_fmac_f64_e32 v[46:47], v[56:57], v[52:53]
	s_waitcnt vmcnt(0)
	v_fmac_f64_e32 v[40:41], v[60:61], v[52:53]
	v_fmac_f64_e32 v[38:39], v[62:63], v[52:53]
	s_andn2_b64 exec, exec, s[10:11]
	s_cbranch_execnz .LBB8_29
; %bb.30:
	s_or_b64 exec, exec, s[10:11]
.LBB8_31:
	s_or_b64 exec, exec, s[2:3]
	s_movk_i32 s2, 0x5f
	v_cmp_lt_u32_e32 vcc, s2, v0
	s_and_saveexec_b64 s[2:3], vcc
	s_cbranch_execz .LBB8_35
; %bb.32:
	s_mov_b64 s[10:11], 0
	s_mov_b64 s[14:15], 0x1000
	;; [unrolled: 1-line block ×3, first 2 shown]
	s_movk_i32 s13, 0x2000
	s_mov_b64 s[18:19], 0x3000
	s_movk_i32 s22, 0x3000
	s_mov_b64 s[20:21], 0x4000
.LBB8_33:                               ; =>This Inner Loop Header: Depth=1
	v_add_co_u32_e32 v74, vcc, s13, v44
	v_ashrrev_i32_e32 v43, 31, v42
	s_nop 0
	v_addc_co_u32_e32 v75, vcc, 0, v45, vcc
	global_load_dwordx4 v[0:3], v[44:45], off offset:48
	global_load_dwordx4 v[4:7], v[44:45], off offset:32
	;; [unrolled: 1-line block ×3, first 2 shown]
	global_load_dwordx4 v[12:15], v[44:45], off
	global_load_dwordx4 v[16:19], v[44:45], off offset:112
	global_load_dwordx4 v[20:23], v[44:45], off offset:96
	;; [unrolled: 1-line block ×4, first 2 shown]
	v_lshl_add_u64 v[72:73], v[44:45], 0, s[14:15]
	v_lshl_add_u64 v[60:61], v[42:43], 2, s[8:9]
	global_load_dwordx4 v[50:53], v[74:75], off offset:-4096
	global_load_dwordx4 v[54:57], v[72:73], off offset:32
	global_load_dword v43, v[60:61], off
	global_load_dword v59, v[60:61], off offset:128
	global_load_dword v82, v[60:61], off offset:256
	;; [unrolled: 1-line block ×3, first 2 shown]
	v_lshl_add_u64 v[76:77], v[44:45], 0, s[16:17]
	v_add_co_u32_e32 v78, vcc, s22, v44
	v_lshl_add_u64 v[80:81], v[44:45], 0, s[18:19]
	s_nop 0
	v_addc_co_u32_e32 v79, vcc, 0, v45, vcc
	v_add_u32_e32 v42, 0x80, v42
	v_cmp_ge_i32_e32 vcc, v42, v58
	v_lshl_add_u64 v[44:45], v[44:45], 0, s[20:21]
	s_or_b64 s[10:11], vcc, s[10:11]
	s_waitcnt vmcnt(3)
	v_subrev_u32_e32 v43, s12, v43
	v_lshlrev_b32_e32 v60, 2, v43
	v_ashrrev_i32_e32 v61, 31, v60
	s_waitcnt lgkmcnt(0)
	v_lshl_add_u64 v[68:69], v[60:61], 3, s[4:5]
	global_load_dwordx4 v[60:63], v[68:69], off
	global_load_dwordx4 v[64:67], v[68:69], off offset:16
	s_waitcnt vmcnt(4)
	v_subrev_u32_e32 v43, s12, v59
	s_waitcnt vmcnt(1)
	v_fmac_f64_e32 v[48:49], v[12:13], v[60:61]
	v_fmac_f64_e32 v[46:47], v[14:15], v[60:61]
	;; [unrolled: 1-line block ×8, first 2 shown]
	s_waitcnt vmcnt(0)
	v_fmac_f64_e32 v[48:49], v[28:29], v[64:65]
	v_fmac_f64_e32 v[46:47], v[30:31], v[64:65]
	;; [unrolled: 1-line block ×4, first 2 shown]
	v_lshlrev_b32_e32 v64, 2, v43
	v_ashrrev_i32_e32 v65, 31, v64
	global_load_dwordx4 v[12:15], v[72:73], off offset:16
	global_load_dwordx4 v[4:7], v[72:73], off offset:96
	;; [unrolled: 1-line block ×6, first 2 shown]
	v_lshl_add_u64 v[72:73], v[64:65], 3, s[4:5]
	global_load_dwordx4 v[28:31], v[74:75], off
	global_load_dwordx4 v[24:27], v[76:77], off offset:32
	v_fmac_f64_e32 v[48:49], v[20:21], v[66:67]
	v_fmac_f64_e32 v[46:47], v[22:23], v[66:67]
	global_load_dwordx4 v[20:23], v[76:77], off offset:16
	v_fmac_f64_e32 v[40:41], v[16:17], v[66:67]
	v_fmac_f64_e32 v[38:39], v[18:19], v[66:67]
	global_load_dwordx4 v[16:19], v[72:73], off
	global_load_dwordx4 v[64:67], v[72:73], off offset:16
	v_subrev_u32_e32 v43, s12, v82
	s_waitcnt vmcnt(1)
	v_fmac_f64_e32 v[48:49], v[50:51], v[16:17]
	v_fmac_f64_e32 v[46:47], v[52:53], v[16:17]
	;; [unrolled: 1-line block ×8, first 2 shown]
	s_waitcnt vmcnt(0)
	v_fmac_f64_e32 v[48:49], v[68:69], v[64:65]
	v_fmac_f64_e32 v[46:47], v[70:71], v[64:65]
	;; [unrolled: 1-line block ×4, first 2 shown]
	v_lshlrev_b32_e32 v64, 2, v43
	v_ashrrev_i32_e32 v65, 31, v64
	v_lshl_add_u64 v[82:83], v[64:65], 3, s[4:5]
	global_load_dwordx4 v[50:53], v[76:77], off offset:112
	global_load_dwordx4 v[12:15], v[76:77], off offset:96
	;; [unrolled: 1-line block ×5, first 2 shown]
	global_load_dwordx4 v[72:75], v[78:79], off
	global_load_dwordx4 v[68:71], v[80:81], off offset:48
	global_load_dwordx4 v[0:3], v[80:81], off offset:32
	v_fmac_f64_e32 v[48:49], v[4:5], v[66:67]
	v_fmac_f64_e32 v[46:47], v[6:7], v[66:67]
	global_load_dwordx4 v[4:7], v[80:81], off offset:16
	v_fmac_f64_e32 v[40:41], v[8:9], v[66:67]
	v_fmac_f64_e32 v[38:39], v[10:11], v[66:67]
	global_load_dwordx4 v[8:11], v[80:81], off offset:96
	global_load_dwordx4 v[64:67], v[82:83], off
	global_load_dwordx4 v[76:79], v[82:83], off offset:16
	v_subrev_u32_e32 v43, s12, v84
	s_waitcnt vmcnt(1)
	v_fmac_f64_e32 v[48:49], v[28:29], v[64:65]
	v_fmac_f64_e32 v[48:49], v[24:25], v[66:67]
	v_lshlrev_b32_e32 v24, 2, v43
	v_ashrrev_i32_e32 v25, 31, v24
	v_fmac_f64_e32 v[46:47], v[30:31], v[64:65]
	v_fmac_f64_e32 v[40:41], v[20:21], v[64:65]
	;; [unrolled: 1-line block ×3, first 2 shown]
	v_lshl_add_u64 v[82:83], v[24:25], 3, s[4:5]
	global_load_dwordx4 v[28:31], v[80:81], off offset:80
	global_load_dwordx4 v[20:23], v[80:81], off offset:64
	v_fmac_f64_e32 v[46:47], v[26:27], v[66:67]
	v_fmac_f64_e32 v[40:41], v[16:17], v[66:67]
	;; [unrolled: 1-line block ×3, first 2 shown]
	global_load_dwordx4 v[16:19], v[82:83], off
	global_load_dwordx4 v[24:27], v[82:83], off offset:16
	global_load_dwordx4 v[64:67], v[80:81], off offset:112
	s_waitcnt vmcnt(5)
	v_fmac_f64_e32 v[48:49], v[60:61], v[76:77]
	v_fmac_f64_e32 v[46:47], v[62:63], v[76:77]
	;; [unrolled: 1-line block ×8, first 2 shown]
	s_waitcnt vmcnt(2)
	v_fmac_f64_e32 v[48:49], v[72:73], v[16:17]
	v_fmac_f64_e32 v[46:47], v[74:75], v[16:17]
	;; [unrolled: 1-line block ×8, first 2 shown]
	s_waitcnt vmcnt(1)
	v_fmac_f64_e32 v[48:49], v[20:21], v[24:25]
	v_fmac_f64_e32 v[46:47], v[22:23], v[24:25]
	;; [unrolled: 1-line block ×6, first 2 shown]
	s_waitcnt vmcnt(0)
	v_fmac_f64_e32 v[40:41], v[64:65], v[26:27]
	v_fmac_f64_e32 v[38:39], v[66:67], v[26:27]
	s_andn2_b64 exec, exec, s[10:11]
	s_cbranch_execnz .LBB8_33
; %bb.34:
	s_or_b64 exec, exec, s[10:11]
.LBB8_35:
	s_or_b64 exec, exec, s[2:3]
.LBB8_36:
	s_or_b64 exec, exec, s[6:7]
.LBB8_37:
	v_mov_b32_dpp v0, v48 row_shr:1 row_mask:0xf bank_mask:0xf
	v_mov_b32_dpp v1, v49 row_shr:1 row_mask:0xf bank_mask:0xf
	v_mov_b32_dpp v4, v46 row_shr:1 row_mask:0xf bank_mask:0xf
	v_mov_b32_dpp v5, v47 row_shr:1 row_mask:0xf bank_mask:0xf
	v_mov_b32_dpp v8, v40 row_shr:1 row_mask:0xf bank_mask:0xf
	v_mov_b32_dpp v9, v41 row_shr:1 row_mask:0xf bank_mask:0xf
	v_mov_b32_dpp v12, v38 row_shr:1 row_mask:0xf bank_mask:0xf
	v_mov_b32_dpp v13, v39 row_shr:1 row_mask:0xf bank_mask:0xf
	v_add_f64 v[0:1], v[48:49], v[0:1]
	v_add_f64 v[4:5], v[46:47], v[4:5]
	v_add_f64 v[8:9], v[40:41], v[8:9]
	v_add_f64 v[12:13], v[38:39], v[12:13]
	v_mov_b32_dpp v2, v0 row_shr:2 row_mask:0xf bank_mask:0xf
	v_mov_b32_dpp v3, v1 row_shr:2 row_mask:0xf bank_mask:0xf
	v_mov_b32_dpp v6, v4 row_shr:2 row_mask:0xf bank_mask:0xf
	v_mov_b32_dpp v7, v5 row_shr:2 row_mask:0xf bank_mask:0xf
	v_mov_b32_dpp v10, v8 row_shr:2 row_mask:0xf bank_mask:0xf
	v_mov_b32_dpp v11, v9 row_shr:2 row_mask:0xf bank_mask:0xf
	v_mov_b32_dpp v14, v12 row_shr:2 row_mask:0xf bank_mask:0xf
	v_mov_b32_dpp v15, v13 row_shr:2 row_mask:0xf bank_mask:0xf
	v_add_f64 v[0:1], v[0:1], v[2:3]
	v_add_f64 v[4:5], v[4:5], v[6:7]
	v_add_f64 v[8:9], v[8:9], v[10:11]
	v_add_f64 v[12:13], v[12:13], v[14:15]
	;; [unrolled: 12-line block ×4, first 2 shown]
	v_mov_b32_dpp v2, v0 row_bcast:15 row_mask:0xa bank_mask:0xf
	v_mov_b32_dpp v3, v1 row_bcast:15 row_mask:0xa bank_mask:0xf
	;; [unrolled: 1-line block ×8, first 2 shown]
	v_cmp_eq_u32_e32 vcc, 31, v37
	s_and_b64 exec, exec, vcc
	s_cbranch_execz .LBB8_10
; %bb.38:
	s_load_dwordx2 s[0:1], s[0:1], 0x50
	v_add_f64 v[0:1], v[0:1], v[2:3]
	v_add_f64 v[2:3], v[4:5], v[6:7]
	v_add_f64 v[8:9], v[8:9], v[10:11]
	v_add_f64 v[10:11], v[12:13], v[14:15]
	v_cmp_eq_f64_e32 vcc, 0, v[32:33]
	v_mul_f64 v[4:5], v[34:35], v[0:1]
	v_mul_f64 v[6:7], v[34:35], v[2:3]
	v_mul_f64 v[0:1], v[34:35], v[8:9]
	v_mul_f64 v[2:3], v[34:35], v[10:11]
	v_lshlrev_b32_e32 v8, 2, v36
	s_and_saveexec_b64 s[2:3], vcc
	s_xor_b64 s[2:3], exec, s[2:3]
	s_cbranch_execz .LBB8_40
; %bb.39:
	v_ashrrev_i32_e32 v9, 31, v8
	s_waitcnt lgkmcnt(0)
	v_lshl_add_u64 v[8:9], v[8:9], 3, s[0:1]
	global_store_dwordx4 v[8:9], v[4:7], off
	global_store_dwordx4 v[8:9], v[0:3], off offset:16
                                        ; implicit-def: $vgpr8
                                        ; implicit-def: $vgpr32_vgpr33
                                        ; implicit-def: $vgpr4_vgpr5
                                        ; implicit-def: $vgpr0_vgpr1
.LBB8_40:
	s_andn2_saveexec_b64 s[2:3], s[2:3]
	s_cbranch_execz .LBB8_10
; %bb.41:
	v_ashrrev_i32_e32 v9, 31, v8
	s_waitcnt lgkmcnt(0)
	v_lshl_add_u64 v[16:17], v[8:9], 3, s[0:1]
	global_load_dwordx4 v[8:11], v[16:17], off
	global_load_dwordx4 v[12:15], v[16:17], off offset:16
	s_waitcnt vmcnt(1)
	v_fmac_f64_e32 v[4:5], v[32:33], v[8:9]
	v_fmac_f64_e32 v[6:7], v[32:33], v[10:11]
	s_waitcnt vmcnt(0)
	v_fmac_f64_e32 v[0:1], v[32:33], v[12:13]
	v_fmac_f64_e32 v[2:3], v[32:33], v[14:15]
	global_store_dwordx4 v[16:17], v[4:7], off
	global_store_dwordx4 v[16:17], v[0:3], off offset:16
	s_endpgm
	.section	.rodata,"a",@progbits
	.p2align	6, 0x0
	.amdhsa_kernel _ZN9rocsparseL18bsrxmvn_4x4_kernelILj128ELj32EdiidddEEvT3_20rocsparse_direction_NS_24const_host_device_scalarIT1_EES1_PKS1_PKT2_SA_S7_PKT4_PKT5_S5_PT6_21rocsparse_index_base_b
		.amdhsa_group_segment_fixed_size 0
		.amdhsa_private_segment_fixed_size 0
		.amdhsa_kernarg_size 96
		.amdhsa_user_sgpr_count 2
		.amdhsa_user_sgpr_dispatch_ptr 0
		.amdhsa_user_sgpr_queue_ptr 0
		.amdhsa_user_sgpr_kernarg_segment_ptr 1
		.amdhsa_user_sgpr_dispatch_id 0
		.amdhsa_user_sgpr_kernarg_preload_length 0
		.amdhsa_user_sgpr_kernarg_preload_offset 0
		.amdhsa_user_sgpr_private_segment_size 0
		.amdhsa_uses_dynamic_stack 0
		.amdhsa_enable_private_segment 0
		.amdhsa_system_sgpr_workgroup_id_x 1
		.amdhsa_system_sgpr_workgroup_id_y 0
		.amdhsa_system_sgpr_workgroup_id_z 0
		.amdhsa_system_sgpr_workgroup_info 0
		.amdhsa_system_vgpr_workitem_id 0
		.amdhsa_next_free_vgpr 106
		.amdhsa_next_free_sgpr 25
		.amdhsa_accum_offset 108
		.amdhsa_reserve_vcc 1
		.amdhsa_float_round_mode_32 0
		.amdhsa_float_round_mode_16_64 0
		.amdhsa_float_denorm_mode_32 3
		.amdhsa_float_denorm_mode_16_64 3
		.amdhsa_dx10_clamp 1
		.amdhsa_ieee_mode 1
		.amdhsa_fp16_overflow 0
		.amdhsa_tg_split 0
		.amdhsa_exception_fp_ieee_invalid_op 0
		.amdhsa_exception_fp_denorm_src 0
		.amdhsa_exception_fp_ieee_div_zero 0
		.amdhsa_exception_fp_ieee_overflow 0
		.amdhsa_exception_fp_ieee_underflow 0
		.amdhsa_exception_fp_ieee_inexact 0
		.amdhsa_exception_int_div_zero 0
	.end_amdhsa_kernel
	.section	.text._ZN9rocsparseL18bsrxmvn_4x4_kernelILj128ELj32EdiidddEEvT3_20rocsparse_direction_NS_24const_host_device_scalarIT1_EES1_PKS1_PKT2_SA_S7_PKT4_PKT5_S5_PT6_21rocsparse_index_base_b,"axG",@progbits,_ZN9rocsparseL18bsrxmvn_4x4_kernelILj128ELj32EdiidddEEvT3_20rocsparse_direction_NS_24const_host_device_scalarIT1_EES1_PKS1_PKT2_SA_S7_PKT4_PKT5_S5_PT6_21rocsparse_index_base_b,comdat
.Lfunc_end8:
	.size	_ZN9rocsparseL18bsrxmvn_4x4_kernelILj128ELj32EdiidddEEvT3_20rocsparse_direction_NS_24const_host_device_scalarIT1_EES1_PKS1_PKT2_SA_S7_PKT4_PKT5_S5_PT6_21rocsparse_index_base_b, .Lfunc_end8-_ZN9rocsparseL18bsrxmvn_4x4_kernelILj128ELj32EdiidddEEvT3_20rocsparse_direction_NS_24const_host_device_scalarIT1_EES1_PKS1_PKT2_SA_S7_PKT4_PKT5_S5_PT6_21rocsparse_index_base_b
                                        ; -- End function
	.set _ZN9rocsparseL18bsrxmvn_4x4_kernelILj128ELj32EdiidddEEvT3_20rocsparse_direction_NS_24const_host_device_scalarIT1_EES1_PKS1_PKT2_SA_S7_PKT4_PKT5_S5_PT6_21rocsparse_index_base_b.num_vgpr, 106
	.set _ZN9rocsparseL18bsrxmvn_4x4_kernelILj128ELj32EdiidddEEvT3_20rocsparse_direction_NS_24const_host_device_scalarIT1_EES1_PKS1_PKT2_SA_S7_PKT4_PKT5_S5_PT6_21rocsparse_index_base_b.num_agpr, 0
	.set _ZN9rocsparseL18bsrxmvn_4x4_kernelILj128ELj32EdiidddEEvT3_20rocsparse_direction_NS_24const_host_device_scalarIT1_EES1_PKS1_PKT2_SA_S7_PKT4_PKT5_S5_PT6_21rocsparse_index_base_b.numbered_sgpr, 25
	.set _ZN9rocsparseL18bsrxmvn_4x4_kernelILj128ELj32EdiidddEEvT3_20rocsparse_direction_NS_24const_host_device_scalarIT1_EES1_PKS1_PKT2_SA_S7_PKT4_PKT5_S5_PT6_21rocsparse_index_base_b.num_named_barrier, 0
	.set _ZN9rocsparseL18bsrxmvn_4x4_kernelILj128ELj32EdiidddEEvT3_20rocsparse_direction_NS_24const_host_device_scalarIT1_EES1_PKS1_PKT2_SA_S7_PKT4_PKT5_S5_PT6_21rocsparse_index_base_b.private_seg_size, 0
	.set _ZN9rocsparseL18bsrxmvn_4x4_kernelILj128ELj32EdiidddEEvT3_20rocsparse_direction_NS_24const_host_device_scalarIT1_EES1_PKS1_PKT2_SA_S7_PKT4_PKT5_S5_PT6_21rocsparse_index_base_b.uses_vcc, 1
	.set _ZN9rocsparseL18bsrxmvn_4x4_kernelILj128ELj32EdiidddEEvT3_20rocsparse_direction_NS_24const_host_device_scalarIT1_EES1_PKS1_PKT2_SA_S7_PKT4_PKT5_S5_PT6_21rocsparse_index_base_b.uses_flat_scratch, 0
	.set _ZN9rocsparseL18bsrxmvn_4x4_kernelILj128ELj32EdiidddEEvT3_20rocsparse_direction_NS_24const_host_device_scalarIT1_EES1_PKS1_PKT2_SA_S7_PKT4_PKT5_S5_PT6_21rocsparse_index_base_b.has_dyn_sized_stack, 0
	.set _ZN9rocsparseL18bsrxmvn_4x4_kernelILj128ELj32EdiidddEEvT3_20rocsparse_direction_NS_24const_host_device_scalarIT1_EES1_PKS1_PKT2_SA_S7_PKT4_PKT5_S5_PT6_21rocsparse_index_base_b.has_recursion, 0
	.set _ZN9rocsparseL18bsrxmvn_4x4_kernelILj128ELj32EdiidddEEvT3_20rocsparse_direction_NS_24const_host_device_scalarIT1_EES1_PKS1_PKT2_SA_S7_PKT4_PKT5_S5_PT6_21rocsparse_index_base_b.has_indirect_call, 0
	.section	.AMDGPU.csdata,"",@progbits
; Kernel info:
; codeLenInByte = 3680
; TotalNumSgprs: 31
; NumVgprs: 106
; NumAgprs: 0
; TotalNumVgprs: 106
; ScratchSize: 0
; MemoryBound: 1
; FloatMode: 240
; IeeeMode: 1
; LDSByteSize: 0 bytes/workgroup (compile time only)
; SGPRBlocks: 3
; VGPRBlocks: 13
; NumSGPRsForWavesPerEU: 31
; NumVGPRsForWavesPerEU: 106
; AccumOffset: 108
; Occupancy: 4
; WaveLimiterHint : 1
; COMPUTE_PGM_RSRC2:SCRATCH_EN: 0
; COMPUTE_PGM_RSRC2:USER_SGPR: 2
; COMPUTE_PGM_RSRC2:TRAP_HANDLER: 0
; COMPUTE_PGM_RSRC2:TGID_X_EN: 1
; COMPUTE_PGM_RSRC2:TGID_Y_EN: 0
; COMPUTE_PGM_RSRC2:TGID_Z_EN: 0
; COMPUTE_PGM_RSRC2:TIDIG_COMP_CNT: 0
; COMPUTE_PGM_RSRC3_GFX90A:ACCUM_OFFSET: 26
; COMPUTE_PGM_RSRC3_GFX90A:TG_SPLIT: 0
	.section	.text._ZN9rocsparseL18bsrxmvn_4x4_kernelILj128ELj64EdiidddEEvT3_20rocsparse_direction_NS_24const_host_device_scalarIT1_EES1_PKS1_PKT2_SA_S7_PKT4_PKT5_S5_PT6_21rocsparse_index_base_b,"axG",@progbits,_ZN9rocsparseL18bsrxmvn_4x4_kernelILj128ELj64EdiidddEEvT3_20rocsparse_direction_NS_24const_host_device_scalarIT1_EES1_PKS1_PKT2_SA_S7_PKT4_PKT5_S5_PT6_21rocsparse_index_base_b,comdat
	.globl	_ZN9rocsparseL18bsrxmvn_4x4_kernelILj128ELj64EdiidddEEvT3_20rocsparse_direction_NS_24const_host_device_scalarIT1_EES1_PKS1_PKT2_SA_S7_PKT4_PKT5_S5_PT6_21rocsparse_index_base_b ; -- Begin function _ZN9rocsparseL18bsrxmvn_4x4_kernelILj128ELj64EdiidddEEvT3_20rocsparse_direction_NS_24const_host_device_scalarIT1_EES1_PKS1_PKT2_SA_S7_PKT4_PKT5_S5_PT6_21rocsparse_index_base_b
	.p2align	8
	.type	_ZN9rocsparseL18bsrxmvn_4x4_kernelILj128ELj64EdiidddEEvT3_20rocsparse_direction_NS_24const_host_device_scalarIT1_EES1_PKS1_PKT2_SA_S7_PKT4_PKT5_S5_PT6_21rocsparse_index_base_b,@function
_ZN9rocsparseL18bsrxmvn_4x4_kernelILj128ELj64EdiidddEEvT3_20rocsparse_direction_NS_24const_host_device_scalarIT1_EES1_PKS1_PKT2_SA_S7_PKT4_PKT5_S5_PT6_21rocsparse_index_base_b: ; @_ZN9rocsparseL18bsrxmvn_4x4_kernelILj128ELj64EdiidddEEvT3_20rocsparse_direction_NS_24const_host_device_scalarIT1_EES1_PKS1_PKT2_SA_S7_PKT4_PKT5_S5_PT6_21rocsparse_index_base_b
; %bb.0:
	s_load_dwordx2 s[12:13], s[0:1], 0x58
	s_load_dwordx2 s[8:9], s[0:1], 0x8
	;; [unrolled: 1-line block ×3, first 2 shown]
	s_waitcnt lgkmcnt(0)
	s_bitcmp1_b32 s13, 0
	s_cselect_b64 s[10:11], -1, 0
	s_xor_b64 s[6:7], s[10:11], -1
	s_and_b64 vcc, exec, s[10:11]
	v_mov_b64_e32 v[34:35], s[8:9]
	s_cbranch_vccnz .LBB9_2
; %bb.1:
	v_mov_b64_e32 v[2:3], s[8:9]
	flat_load_dwordx2 v[34:35], v[2:3]
.LBB9_2:
	s_andn2_b64 vcc, exec, s[6:7]
	v_mov_b64_e32 v[32:33], s[4:5]
	s_cbranch_vccnz .LBB9_4
; %bb.3:
	v_mov_b64_e32 v[2:3], s[4:5]
	flat_load_dwordx2 v[32:33], v[2:3]
.LBB9_4:
	s_waitcnt vmcnt(0) lgkmcnt(0)
	v_cmp_neq_f64_e32 vcc, 0, v[34:35]
	v_cmp_neq_f64_e64 s[4:5], 1.0, v[32:33]
	s_mov_b64 s[6:7], 0
	s_or_b64 s[4:5], vcc, s[4:5]
	s_and_saveexec_b64 s[8:9], s[4:5]
	s_cbranch_execz .LBB9_10
; %bb.5:
	s_load_dwordx2 s[4:5], s[0:1], 0x18
	s_load_dwordx2 s[14:15], s[0:1], 0x0
	v_lshrrev_b32_e32 v1, 6, v0
	v_lshl_or_b32 v36, s2, 1, v1
	s_mov_b64 s[2:3], 0
	s_waitcnt lgkmcnt(0)
	s_cmp_lg_u64 s[4:5], 0
	s_cbranch_scc0 .LBB9_11
; %bb.6:
	s_load_dword s6, s[0:1], 0x10
                                        ; implicit-def: $vgpr1
	s_waitcnt lgkmcnt(0)
	v_cmp_gt_i32_e32 vcc, s6, v36
	s_and_saveexec_b64 s[6:7], vcc
	s_xor_b64 s[6:7], exec, s[6:7]
	s_cbranch_execz .LBB9_8
; %bb.7:
	v_ashrrev_i32_e32 v37, 31, v36
	v_lshl_add_u64 v[2:3], v[36:37], 2, s[4:5]
	global_load_dword v1, v[2:3], off
	s_mov_b64 s[2:3], exec
	s_waitcnt vmcnt(0)
	v_subrev_u32_e32 v1, s12, v1
.LBB9_8:
	s_or_b64 exec, exec, s[6:7]
	s_mov_b64 s[6:7], s[2:3]
	s_branch .LBB9_12
.LBB9_9:
	v_cmp_gt_i32_e32 vcc, s14, v36
	s_andn2_b64 s[2:3], s[6:7], exec
	s_and_b64 s[4:5], vcc, exec
	s_or_b64 s[6:7], s[2:3], s[4:5]
	s_and_b64 exec, exec, s[6:7]
	s_cbranch_execnz .LBB9_13
.LBB9_10:
	s_endpgm
.LBB9_11:
                                        ; implicit-def: $vgpr1
	s_cbranch_execnz .LBB9_9
.LBB9_12:
	v_mov_b32_e32 v36, v1
	s_and_b64 exec, exec, s[6:7]
	s_cbranch_execz .LBB9_10
.LBB9_13:
	s_load_dwordx8 s[4:11], s[0:1], 0x20
	v_ashrrev_i32_e32 v37, 31, v36
	v_lshlrev_b64 v[2:3], 2, v[36:37]
	v_and_b32_e32 v37, 63, v0
	s_waitcnt lgkmcnt(0)
	v_lshl_add_u64 v[4:5], s[4:5], 0, v[2:3]
	s_cmp_eq_u64 s[6:7], 0
	global_load_dword v59, v[4:5], off
	v_lshl_add_u64 v[4:5], v[4:5], 0, 4
	v_lshl_add_u64 v[2:3], s[6:7], 0, v[2:3]
	s_cselect_b64 vcc, -1, 0
	v_cndmask_b32_e32 v3, v3, v5, vcc
	v_cndmask_b32_e32 v2, v2, v4, vcc
	global_load_dword v1, v[2:3], off
	s_load_dwordx2 s[4:5], s[0:1], 0x40
	s_cmp_eq_u32 s15, 1
	s_waitcnt vmcnt(1)
	v_subrev_u32_e32 v0, s12, v59
	v_add_u32_e32 v42, v0, v37
	v_ashrrev_i32_e32 v43, 31, v42
	s_waitcnt vmcnt(0)
	v_subrev_u32_e32 v58, s12, v1
	v_lshlrev_b64 v[0:1], 7, v[42:43]
	v_lshl_add_u64 v[44:45], s[10:11], 0, v[0:1]
	v_cmp_lt_i32_e64 s[2:3], v42, v58
	s_cbranch_scc1 .LBB9_25
; %bb.14:
	v_mov_b64_e32 v[38:39], 0
	v_mov_b64_e32 v[40:41], 0
	;; [unrolled: 1-line block ×4, first 2 shown]
	s_and_saveexec_b64 s[6:7], s[2:3]
	s_cbranch_execz .LBB9_24
; %bb.15:
	v_add_u32_e32 v0, v59, v37
	v_subrev_u32_e32 v0, s12, v0
	v_add_u32_e32 v0, 64, v0
	v_max_i32_e32 v0, v0, v58
	v_not_b32_e32 v1, v59
	v_add3_u32 v0, s12, v0, v1
	v_sub_u32_e32 v0, v0, v37
	s_movk_i32 s10, 0xc0
	v_and_b32_e32 v1, 0xc0, v0
	v_cmp_ne_u32_e32 vcc, s10, v1
	v_mov_b64_e32 v[48:49], 0
	v_mov_b64_e32 v[46:47], 0
	;; [unrolled: 1-line block ×4, first 2 shown]
	v_mov_b32_e32 v50, v42
	v_mov_b64_e32 v[52:53], v[44:45]
	s_and_saveexec_b64 s[10:11], vcc
	s_cbranch_execz .LBB9_19
; %bb.16:
	v_lshrrev_b32_e32 v1, 6, v0
	v_add_u32_e32 v1, 1, v1
	v_and_b32_e32 v1, 3, v1
	v_sub_u32_e32 v1, 0, v1
	v_mov_b64_e32 v[38:39], 0
	s_mov_b64 s[14:15], 0
	s_mov_b64 s[16:17], 0x2000
	v_mov_b64_e32 v[52:53], v[44:45]
	v_mov_b32_e32 v50, v42
	v_mov_b64_e32 v[40:41], 0
	v_mov_b64_e32 v[46:47], 0
	;; [unrolled: 1-line block ×3, first 2 shown]
.LBB9_17:                               ; =>This Inner Loop Header: Depth=1
	v_ashrrev_i32_e32 v51, 31, v50
	v_lshl_add_u64 v[30:31], v[50:51], 2, s[8:9]
	global_load_dword v43, v[30:31], off
	global_load_dwordx4 v[2:5], v[52:53], off offset:48
	global_load_dwordx4 v[6:9], v[52:53], off offset:32
	;; [unrolled: 1-line block ×3, first 2 shown]
	global_load_dwordx4 v[14:17], v[52:53], off
	global_load_dwordx4 v[18:21], v[52:53], off offset:112
	global_load_dwordx4 v[22:25], v[52:53], off offset:96
	;; [unrolled: 1-line block ×4, first 2 shown]
	v_add_co_u32_e32 v1, vcc, 1, v1
	v_lshl_add_u64 v[52:53], v[52:53], 0, s[16:17]
	v_add_u32_e32 v50, 64, v50
	s_or_b64 s[14:15], vcc, s[14:15]
	s_waitcnt vmcnt(8)
	v_subrev_u32_e32 v30, s12, v43
	v_lshlrev_b32_e32 v30, 2, v30
	v_ashrrev_i32_e32 v31, 31, v30
	s_waitcnt lgkmcnt(0)
	v_lshl_add_u64 v[30:31], v[30:31], 3, s[4:5]
	global_load_dwordx4 v[60:63], v[30:31], off
	global_load_dwordx4 v[64:67], v[30:31], off offset:16
	s_waitcnt vmcnt(1)
	v_fmac_f64_e32 v[48:49], v[14:15], v[60:61]
	v_fmac_f64_e32 v[46:47], v[6:7], v[60:61]
	;; [unrolled: 1-line block ×8, first 2 shown]
	s_waitcnt vmcnt(0)
	v_fmac_f64_e32 v[48:49], v[10:11], v[64:65]
	v_fmac_f64_e32 v[46:47], v[2:3], v[64:65]
	;; [unrolled: 1-line block ×8, first 2 shown]
	s_andn2_b64 exec, exec, s[14:15]
	s_cbranch_execnz .LBB9_17
; %bb.18:
	s_or_b64 exec, exec, s[14:15]
.LBB9_19:
	s_or_b64 exec, exec, s[10:11]
	s_movk_i32 s10, 0xbf
	v_cmp_lt_u32_e32 vcc, s10, v0
	s_and_saveexec_b64 s[10:11], vcc
	s_cbranch_execz .LBB9_23
; %bb.20:
	s_mov_b64 s[14:15], 0
	s_mov_b64 s[16:17], 0x2000
	s_movk_i32 s13, 0x2000
	s_mov_b64 s[18:19], 0x4000
	s_movk_i32 s24, 0x4000
	;; [unrolled: 2-line block ×3, first 2 shown]
	s_mov_b64 s[22:23], 0x8000
.LBB9_21:                               ; =>This Inner Loop Header: Depth=1
	v_ashrrev_i32_e32 v51, 31, v50
	v_lshl_add_u64 v[54:55], v[52:53], 0, s[16:17]
	global_load_dwordx4 v[0:3], v[52:53], off offset:48
	global_load_dwordx4 v[8:11], v[52:53], off offset:32
	;; [unrolled: 1-line block ×3, first 2 shown]
	global_load_dwordx4 v[12:15], v[52:53], off
	global_load_dwordx4 v[16:19], v[52:53], off offset:112
	global_load_dwordx4 v[24:27], v[52:53], off offset:96
	;; [unrolled: 1-line block ×4, first 2 shown]
	v_lshl_add_u64 v[84:85], v[50:51], 2, s[8:9]
	global_load_dwordx4 v[60:63], v[54:55], off offset:32
	global_load_dwordx4 v[64:67], v[54:55], off offset:16
	;; [unrolled: 1-line block ×6, first 2 shown]
	global_load_dword v43, v[84:85], off
	global_load_dword v51, v[84:85], off offset:256
	global_load_dword v106, v[84:85], off offset:512
	;; [unrolled: 1-line block ×3, first 2 shown]
	v_lshl_add_u64 v[56:57], v[52:53], 0, s[18:19]
	v_add_co_u32_e32 v96, vcc, s13, v52
	v_lshl_add_u64 v[100:101], v[52:53], 0, s[20:21]
	s_nop 0
	v_addc_co_u32_e32 v97, vcc, 0, v53, vcc
	v_add_co_u32_e32 v102, vcc, s24, v52
	v_add_u32_e32 v50, 0x100, v50
	s_nop 0
	v_addc_co_u32_e32 v103, vcc, 0, v53, vcc
	v_add_co_u32_e32 v104, vcc, s25, v52
	s_waitcnt vmcnt(3)
	v_subrev_u32_e32 v43, s12, v43
	v_lshlrev_b32_e32 v84, 2, v43
	v_ashrrev_i32_e32 v85, 31, v84
	s_waitcnt lgkmcnt(0)
	v_lshl_add_u64 v[92:93], v[84:85], 3, s[4:5]
	global_load_dwordx4 v[84:87], v[92:93], off
	global_load_dwordx4 v[88:91], v[92:93], off offset:16
	s_waitcnt vmcnt(4)
	v_subrev_u32_e32 v43, s12, v51
	v_addc_co_u32_e32 v105, vcc, 0, v53, vcc
	s_waitcnt vmcnt(2)
	v_subrev_u32_e32 v51, s12, v107
	v_cmp_ge_i32_e32 vcc, v50, v58
	v_lshl_add_u64 v[52:53], v[52:53], 0, s[22:23]
	s_or_b64 s[14:15], vcc, s[14:15]
	s_waitcnt vmcnt(1)
	v_fmac_f64_e32 v[38:39], v[24:25], v[84:85]
	v_fmac_f64_e32 v[38:39], v[26:27], v[86:87]
	;; [unrolled: 1-line block ×5, first 2 shown]
	s_waitcnt vmcnt(0)
	v_fmac_f64_e32 v[38:39], v[16:17], v[88:89]
	v_lshlrev_b32_e32 v16, 2, v43
	v_fmac_f64_e32 v[48:49], v[14:15], v[86:87]
	v_fmac_f64_e32 v[46:47], v[10:11], v[86:87]
	;; [unrolled: 1-line block ×3, first 2 shown]
	v_ashrrev_i32_e32 v17, 31, v16
	global_load_dwordx4 v[12:15], v[56:57], off offset:48
	global_load_dwordx4 v[8:11], v[56:57], off offset:32
	;; [unrolled: 1-line block ×3, first 2 shown]
	global_load_dwordx4 v[92:95], v[96:97], off
	v_fmac_f64_e32 v[48:49], v[4:5], v[88:89]
	v_fmac_f64_e32 v[46:47], v[0:1], v[88:89]
	;; [unrolled: 1-line block ×3, first 2 shown]
	v_lshl_add_u64 v[54:55], v[16:17], 3, s[4:5]
	global_load_dwordx4 v[24:27], v[56:57], off offset:16
	global_load_dwordx4 v[84:87], v[56:57], off offset:96
	v_fmac_f64_e32 v[48:49], v[6:7], v[90:91]
	global_load_dwordx4 v[4:7], v[56:57], off offset:80
	v_fmac_f64_e32 v[46:47], v[2:3], v[90:91]
	;; [unrolled: 2-line block ×4, first 2 shown]
	global_load_dwordx4 v[16:19], v[54:55], off
	global_load_dwordx4 v[88:91], v[54:55], off offset:16
	v_subrev_u32_e32 v43, s12, v106
	s_waitcnt vmcnt(1)
	v_fmac_f64_e32 v[48:49], v[92:93], v[16:17]
	v_fmac_f64_e32 v[46:47], v[60:61], v[16:17]
	;; [unrolled: 1-line block ×6, first 2 shown]
	s_waitcnt vmcnt(0)
	v_fmac_f64_e32 v[48:49], v[64:65], v[88:89]
	v_fmac_f64_e32 v[46:47], v[76:77], v[88:89]
	global_load_dwordx4 v[92:95], v[100:101], off offset:32
	global_load_dwordx4 v[60:63], v[100:101], off offset:16
	v_fmac_f64_e32 v[40:41], v[82:83], v[18:19]
	global_load_dwordx4 v[80:83], v[56:57], off offset:112
	global_load_dwordx4 v[96:99], v[102:103], off
	v_fmac_f64_e32 v[38:39], v[70:71], v[18:19]
	global_load_dwordx4 v[16:19], v[100:101], off offset:96
	global_load_dwordx4 v[54:57], v[100:101], off offset:80
	v_fmac_f64_e32 v[48:49], v[66:67], v[90:91]
	global_load_dwordx4 v[64:67], v[100:101], off offset:64
	v_fmac_f64_e32 v[46:47], v[78:79], v[90:91]
	global_load_dwordx4 v[68:71], v[100:101], off offset:112
	global_load_dwordx4 v[76:79], v[104:105], off
	v_lshlrev_b32_e32 v100, 2, v43
	v_fmac_f64_e32 v[40:41], v[72:73], v[88:89]
	v_lshlrev_b32_e32 v72, 2, v51
	v_ashrrev_i32_e32 v101, 31, v100
	v_ashrrev_i32_e32 v73, 31, v72
	v_lshl_add_u64 v[100:101], v[100:101], 3, s[4:5]
	v_fmac_f64_e32 v[38:39], v[28:29], v[88:89]
	v_fmac_f64_e32 v[40:41], v[74:75], v[90:91]
	v_lshl_add_u64 v[102:103], v[72:73], 3, s[4:5]
	v_fmac_f64_e32 v[38:39], v[30:31], v[90:91]
	global_load_dwordx4 v[28:31], v[100:101], off
	global_load_dwordx4 v[72:75], v[100:101], off offset:16
	global_load_dwordx4 v[88:91], v[102:103], off
	s_waitcnt vmcnt(2)
	v_fmac_f64_e32 v[48:49], v[96:97], v[28:29]
	v_fmac_f64_e32 v[48:49], v[98:99], v[30:31]
	global_load_dwordx4 v[96:99], v[102:103], off offset:16
	v_fmac_f64_e32 v[46:47], v[8:9], v[28:29]
	v_fmac_f64_e32 v[40:41], v[0:1], v[28:29]
	v_fmac_f64_e32 v[38:39], v[84:85], v[28:29]
	v_fmac_f64_e32 v[46:47], v[10:11], v[30:31]
	v_fmac_f64_e32 v[40:41], v[2:3], v[30:31]
	v_fmac_f64_e32 v[38:39], v[86:87], v[30:31]
	s_waitcnt vmcnt(2)
	v_fmac_f64_e32 v[48:49], v[24:25], v[72:73]
	v_fmac_f64_e32 v[46:47], v[12:13], v[72:73]
	v_fmac_f64_e32 v[40:41], v[4:5], v[72:73]
	v_fmac_f64_e32 v[38:39], v[80:81], v[72:73]
	v_fmac_f64_e32 v[48:49], v[26:27], v[74:75]
	v_fmac_f64_e32 v[46:47], v[14:15], v[74:75]
	v_fmac_f64_e32 v[40:41], v[6:7], v[74:75]
	v_fmac_f64_e32 v[38:39], v[82:83], v[74:75]
	s_waitcnt vmcnt(1)
	v_fmac_f64_e32 v[48:49], v[76:77], v[88:89]
	v_fmac_f64_e32 v[46:47], v[92:93], v[88:89]
	;; [unrolled: 9-line block ×3, first 2 shown]
	v_fmac_f64_e32 v[40:41], v[54:55], v[96:97]
	v_fmac_f64_e32 v[38:39], v[68:69], v[96:97]
	;; [unrolled: 1-line block ×6, first 2 shown]
	s_andn2_b64 exec, exec, s[14:15]
	s_cbranch_execnz .LBB9_21
; %bb.22:
	s_or_b64 exec, exec, s[14:15]
.LBB9_23:
	s_or_b64 exec, exec, s[10:11]
.LBB9_24:
	s_or_b64 exec, exec, s[6:7]
	s_cbranch_execz .LBB9_26
	s_branch .LBB9_37
.LBB9_25:
                                        ; implicit-def: $vgpr38_vgpr39
                                        ; implicit-def: $vgpr40_vgpr41
                                        ; implicit-def: $vgpr46_vgpr47
                                        ; implicit-def: $vgpr48_vgpr49
.LBB9_26:
	v_mov_b64_e32 v[38:39], 0
	v_mov_b64_e32 v[40:41], 0
	;; [unrolled: 1-line block ×4, first 2 shown]
	s_and_saveexec_b64 s[6:7], s[2:3]
	s_cbranch_execz .LBB9_36
; %bb.27:
	v_add_u32_e32 v0, v59, v37
	v_subrev_u32_e32 v0, s12, v0
	v_add_u32_e32 v0, 64, v0
	v_max_i32_e32 v0, v0, v58
	v_not_b32_e32 v1, v59
	v_add3_u32 v0, s12, v0, v1
	v_sub_u32_e32 v0, v0, v37
	s_movk_i32 s2, 0xc0
	v_and_b32_e32 v1, 0xc0, v0
	v_cmp_ne_u32_e32 vcc, s2, v1
	v_mov_b64_e32 v[48:49], 0
	v_mov_b64_e32 v[46:47], 0
	;; [unrolled: 1-line block ×4, first 2 shown]
	s_and_saveexec_b64 s[2:3], vcc
	s_cbranch_execz .LBB9_31
; %bb.28:
	v_lshrrev_b32_e32 v1, 6, v0
	v_add_u32_e32 v1, 1, v1
	v_and_b32_e32 v1, 3, v1
	v_sub_u32_e32 v1, 0, v1
	v_mov_b64_e32 v[38:39], 0
	s_mov_b64 s[10:11], 0
	s_mov_b64 s[14:15], 0x2000
	v_mov_b64_e32 v[40:41], 0
	v_mov_b64_e32 v[46:47], 0
	;; [unrolled: 1-line block ×3, first 2 shown]
.LBB9_29:                               ; =>This Inner Loop Header: Depth=1
	v_ashrrev_i32_e32 v43, 31, v42
	v_lshl_add_u64 v[26:27], v[42:43], 2, s[8:9]
	global_load_dword v28, v[26:27], off
	global_load_dwordx4 v[2:5], v[44:45], off offset:48
	global_load_dwordx4 v[6:9], v[44:45], off offset:32
	;; [unrolled: 1-line block ×3, first 2 shown]
	global_load_dwordx4 v[14:17], v[44:45], off
	global_load_dwordx4 v[18:21], v[44:45], off offset:80
	global_load_dwordx4 v[22:25], v[44:45], off offset:64
	v_add_co_u32_e32 v1, vcc, 1, v1
	v_add_u32_e32 v42, 64, v42
	s_or_b64 s[10:11], vcc, s[10:11]
	s_waitcnt vmcnt(6)
	v_subrev_u32_e32 v26, s12, v28
	v_lshlrev_b32_e32 v26, 2, v26
	v_ashrrev_i32_e32 v27, 31, v26
	s_waitcnt lgkmcnt(0)
	v_lshl_add_u64 v[30:31], v[26:27], 3, s[4:5]
	global_load_dwordx4 v[26:29], v[30:31], off
	global_load_dwordx4 v[50:53], v[30:31], off offset:16
	global_load_dwordx4 v[54:57], v[44:45], off offset:96
	;; [unrolled: 1-line block ×3, first 2 shown]
	v_lshl_add_u64 v[44:45], v[44:45], 0, s[14:15]
	s_waitcnt vmcnt(3)
	v_fmac_f64_e32 v[48:49], v[14:15], v[26:27]
	v_fmac_f64_e32 v[46:47], v[16:17], v[26:27]
	;; [unrolled: 1-line block ×8, first 2 shown]
	s_waitcnt vmcnt(2)
	v_fmac_f64_e32 v[48:49], v[22:23], v[50:51]
	v_fmac_f64_e32 v[46:47], v[24:25], v[50:51]
	;; [unrolled: 1-line block ×4, first 2 shown]
	s_waitcnt vmcnt(1)
	v_fmac_f64_e32 v[48:49], v[54:55], v[52:53]
	v_fmac_f64_e32 v[46:47], v[56:57], v[52:53]
	s_waitcnt vmcnt(0)
	v_fmac_f64_e32 v[40:41], v[60:61], v[52:53]
	v_fmac_f64_e32 v[38:39], v[62:63], v[52:53]
	s_andn2_b64 exec, exec, s[10:11]
	s_cbranch_execnz .LBB9_29
; %bb.30:
	s_or_b64 exec, exec, s[10:11]
.LBB9_31:
	s_or_b64 exec, exec, s[2:3]
	s_movk_i32 s2, 0xbf
	v_cmp_lt_u32_e32 vcc, s2, v0
	s_and_saveexec_b64 s[2:3], vcc
	s_cbranch_execz .LBB9_35
; %bb.32:
	s_mov_b64 s[10:11], 0
	s_mov_b64 s[14:15], 0x2000
	s_movk_i32 s13, 0x2000
	s_mov_b64 s[16:17], 0x4000
	s_movk_i32 s22, 0x4000
	;; [unrolled: 2-line block ×3, first 2 shown]
	s_mov_b64 s[20:21], 0x8000
.LBB9_33:                               ; =>This Inner Loop Header: Depth=1
	v_add_co_u32_e32 v60, vcc, s13, v44
	v_ashrrev_i32_e32 v43, 31, v42
	s_nop 0
	v_addc_co_u32_e32 v61, vcc, 0, v45, vcc
	global_load_dwordx4 v[0:3], v[44:45], off offset:48
	global_load_dwordx4 v[4:7], v[44:45], off offset:32
	;; [unrolled: 1-line block ×3, first 2 shown]
	global_load_dwordx4 v[12:15], v[44:45], off
	global_load_dwordx4 v[16:19], v[44:45], off offset:112
	global_load_dwordx4 v[20:23], v[44:45], off offset:96
	;; [unrolled: 1-line block ×4, first 2 shown]
	v_lshl_add_u64 v[72:73], v[44:45], 0, s[14:15]
	v_lshl_add_u64 v[62:63], v[42:43], 2, s[8:9]
	global_load_dwordx4 v[50:53], v[60:61], off
	global_load_dwordx4 v[54:57], v[72:73], off offset:32
	global_load_dword v43, v[62:63], off
	global_load_dword v59, v[62:63], off offset:256
	global_load_dword v82, v[62:63], off offset:512
	;; [unrolled: 1-line block ×3, first 2 shown]
	v_add_co_u32_e32 v74, vcc, s22, v44
	v_lshl_add_u64 v[76:77], v[44:45], 0, s[16:17]
	s_nop 0
	v_addc_co_u32_e32 v75, vcc, 0, v45, vcc
	v_add_co_u32_e32 v78, vcc, s23, v44
	v_lshl_add_u64 v[80:81], v[44:45], 0, s[18:19]
	s_nop 0
	v_addc_co_u32_e32 v79, vcc, 0, v45, vcc
	v_add_u32_e32 v42, 0x100, v42
	v_cmp_ge_i32_e32 vcc, v42, v58
	v_lshl_add_u64 v[44:45], v[44:45], 0, s[20:21]
	s_or_b64 s[10:11], vcc, s[10:11]
	s_waitcnt vmcnt(3)
	v_subrev_u32_e32 v43, s12, v43
	v_lshlrev_b32_e32 v60, 2, v43
	v_ashrrev_i32_e32 v61, 31, v60
	s_waitcnt lgkmcnt(0)
	v_lshl_add_u64 v[68:69], v[60:61], 3, s[4:5]
	global_load_dwordx4 v[60:63], v[68:69], off
	global_load_dwordx4 v[64:67], v[68:69], off offset:16
	s_waitcnt vmcnt(4)
	v_subrev_u32_e32 v43, s12, v59
	s_waitcnt vmcnt(1)
	v_fmac_f64_e32 v[48:49], v[12:13], v[60:61]
	v_fmac_f64_e32 v[46:47], v[14:15], v[60:61]
	v_fmac_f64_e32 v[40:41], v[8:9], v[60:61]
	v_fmac_f64_e32 v[38:39], v[10:11], v[60:61]
	v_fmac_f64_e32 v[48:49], v[4:5], v[62:63]
	v_fmac_f64_e32 v[46:47], v[6:7], v[62:63]
	v_fmac_f64_e32 v[40:41], v[0:1], v[62:63]
	v_fmac_f64_e32 v[38:39], v[2:3], v[62:63]
	s_waitcnt vmcnt(0)
	v_fmac_f64_e32 v[48:49], v[28:29], v[64:65]
	v_fmac_f64_e32 v[46:47], v[30:31], v[64:65]
	;; [unrolled: 1-line block ×4, first 2 shown]
	v_lshlrev_b32_e32 v64, 2, v43
	v_ashrrev_i32_e32 v65, 31, v64
	global_load_dwordx4 v[12:15], v[72:73], off offset:16
	global_load_dwordx4 v[4:7], v[72:73], off offset:96
	;; [unrolled: 1-line block ×6, first 2 shown]
	v_lshl_add_u64 v[72:73], v[64:65], 3, s[4:5]
	global_load_dwordx4 v[28:31], v[74:75], off
	global_load_dwordx4 v[24:27], v[76:77], off offset:32
	v_fmac_f64_e32 v[48:49], v[20:21], v[66:67]
	v_fmac_f64_e32 v[46:47], v[22:23], v[66:67]
	global_load_dwordx4 v[20:23], v[76:77], off offset:16
	v_fmac_f64_e32 v[40:41], v[16:17], v[66:67]
	v_fmac_f64_e32 v[38:39], v[18:19], v[66:67]
	global_load_dwordx4 v[16:19], v[72:73], off
	global_load_dwordx4 v[64:67], v[72:73], off offset:16
	v_subrev_u32_e32 v43, s12, v82
	s_waitcnt vmcnt(1)
	v_fmac_f64_e32 v[48:49], v[50:51], v[16:17]
	v_fmac_f64_e32 v[46:47], v[52:53], v[16:17]
	;; [unrolled: 1-line block ×8, first 2 shown]
	s_waitcnt vmcnt(0)
	v_fmac_f64_e32 v[48:49], v[68:69], v[64:65]
	v_fmac_f64_e32 v[46:47], v[70:71], v[64:65]
	;; [unrolled: 1-line block ×4, first 2 shown]
	v_lshlrev_b32_e32 v64, 2, v43
	v_ashrrev_i32_e32 v65, 31, v64
	v_lshl_add_u64 v[82:83], v[64:65], 3, s[4:5]
	global_load_dwordx4 v[50:53], v[76:77], off offset:112
	global_load_dwordx4 v[12:15], v[76:77], off offset:96
	;; [unrolled: 1-line block ×5, first 2 shown]
	global_load_dwordx4 v[72:75], v[78:79], off
	global_load_dwordx4 v[68:71], v[80:81], off offset:48
	global_load_dwordx4 v[0:3], v[80:81], off offset:32
	v_fmac_f64_e32 v[48:49], v[4:5], v[66:67]
	v_fmac_f64_e32 v[46:47], v[6:7], v[66:67]
	global_load_dwordx4 v[4:7], v[80:81], off offset:16
	v_fmac_f64_e32 v[40:41], v[8:9], v[66:67]
	v_fmac_f64_e32 v[38:39], v[10:11], v[66:67]
	global_load_dwordx4 v[8:11], v[80:81], off offset:96
	global_load_dwordx4 v[64:67], v[82:83], off
	global_load_dwordx4 v[76:79], v[82:83], off offset:16
	v_subrev_u32_e32 v43, s12, v84
	s_waitcnt vmcnt(1)
	v_fmac_f64_e32 v[48:49], v[28:29], v[64:65]
	v_fmac_f64_e32 v[48:49], v[24:25], v[66:67]
	v_lshlrev_b32_e32 v24, 2, v43
	v_ashrrev_i32_e32 v25, 31, v24
	v_fmac_f64_e32 v[46:47], v[30:31], v[64:65]
	v_fmac_f64_e32 v[40:41], v[20:21], v[64:65]
	;; [unrolled: 1-line block ×3, first 2 shown]
	v_lshl_add_u64 v[82:83], v[24:25], 3, s[4:5]
	global_load_dwordx4 v[28:31], v[80:81], off offset:80
	global_load_dwordx4 v[20:23], v[80:81], off offset:64
	v_fmac_f64_e32 v[46:47], v[26:27], v[66:67]
	v_fmac_f64_e32 v[40:41], v[16:17], v[66:67]
	;; [unrolled: 1-line block ×3, first 2 shown]
	global_load_dwordx4 v[16:19], v[82:83], off
	global_load_dwordx4 v[24:27], v[82:83], off offset:16
	global_load_dwordx4 v[64:67], v[80:81], off offset:112
	s_waitcnt vmcnt(5)
	v_fmac_f64_e32 v[48:49], v[60:61], v[76:77]
	v_fmac_f64_e32 v[46:47], v[62:63], v[76:77]
	;; [unrolled: 1-line block ×8, first 2 shown]
	s_waitcnt vmcnt(2)
	v_fmac_f64_e32 v[48:49], v[72:73], v[16:17]
	v_fmac_f64_e32 v[46:47], v[74:75], v[16:17]
	;; [unrolled: 1-line block ×8, first 2 shown]
	s_waitcnt vmcnt(1)
	v_fmac_f64_e32 v[48:49], v[20:21], v[24:25]
	v_fmac_f64_e32 v[46:47], v[22:23], v[24:25]
	;; [unrolled: 1-line block ×6, first 2 shown]
	s_waitcnt vmcnt(0)
	v_fmac_f64_e32 v[40:41], v[64:65], v[26:27]
	v_fmac_f64_e32 v[38:39], v[66:67], v[26:27]
	s_andn2_b64 exec, exec, s[10:11]
	s_cbranch_execnz .LBB9_33
; %bb.34:
	s_or_b64 exec, exec, s[10:11]
.LBB9_35:
	s_or_b64 exec, exec, s[2:3]
.LBB9_36:
	s_or_b64 exec, exec, s[6:7]
.LBB9_37:
	v_mov_b32_dpp v0, v48 row_shr:1 row_mask:0xf bank_mask:0xf
	v_mov_b32_dpp v1, v49 row_shr:1 row_mask:0xf bank_mask:0xf
	v_mov_b32_dpp v4, v46 row_shr:1 row_mask:0xf bank_mask:0xf
	v_mov_b32_dpp v5, v47 row_shr:1 row_mask:0xf bank_mask:0xf
	v_mov_b32_dpp v8, v40 row_shr:1 row_mask:0xf bank_mask:0xf
	v_mov_b32_dpp v9, v41 row_shr:1 row_mask:0xf bank_mask:0xf
	v_mov_b32_dpp v12, v38 row_shr:1 row_mask:0xf bank_mask:0xf
	v_mov_b32_dpp v13, v39 row_shr:1 row_mask:0xf bank_mask:0xf
	v_add_f64 v[0:1], v[48:49], v[0:1]
	v_add_f64 v[4:5], v[46:47], v[4:5]
	v_add_f64 v[8:9], v[40:41], v[8:9]
	v_add_f64 v[12:13], v[38:39], v[12:13]
	v_mov_b32_dpp v2, v0 row_shr:2 row_mask:0xf bank_mask:0xf
	v_mov_b32_dpp v3, v1 row_shr:2 row_mask:0xf bank_mask:0xf
	v_mov_b32_dpp v6, v4 row_shr:2 row_mask:0xf bank_mask:0xf
	v_mov_b32_dpp v7, v5 row_shr:2 row_mask:0xf bank_mask:0xf
	v_mov_b32_dpp v10, v8 row_shr:2 row_mask:0xf bank_mask:0xf
	v_mov_b32_dpp v11, v9 row_shr:2 row_mask:0xf bank_mask:0xf
	v_mov_b32_dpp v14, v12 row_shr:2 row_mask:0xf bank_mask:0xf
	v_mov_b32_dpp v15, v13 row_shr:2 row_mask:0xf bank_mask:0xf
	v_add_f64 v[0:1], v[0:1], v[2:3]
	v_add_f64 v[4:5], v[4:5], v[6:7]
	v_add_f64 v[8:9], v[8:9], v[10:11]
	v_add_f64 v[12:13], v[12:13], v[14:15]
	;; [unrolled: 12-line block ×4, first 2 shown]
	v_mov_b32_dpp v2, v0 row_bcast:15 row_mask:0xa bank_mask:0xf
	v_mov_b32_dpp v3, v1 row_bcast:15 row_mask:0xa bank_mask:0xf
	;; [unrolled: 1-line block ×8, first 2 shown]
	v_add_f64 v[0:1], v[0:1], v[2:3]
	v_add_f64 v[4:5], v[4:5], v[6:7]
	;; [unrolled: 1-line block ×4, first 2 shown]
	v_mov_b32_dpp v2, v0 row_bcast:31 row_mask:0xc bank_mask:0xf
	v_mov_b32_dpp v3, v1 row_bcast:31 row_mask:0xc bank_mask:0xf
	;; [unrolled: 1-line block ×8, first 2 shown]
	v_cmp_eq_u32_e32 vcc, 63, v37
	s_and_b64 exec, exec, vcc
	s_cbranch_execz .LBB9_10
; %bb.38:
	s_load_dwordx2 s[0:1], s[0:1], 0x50
	v_add_f64 v[0:1], v[0:1], v[2:3]
	v_add_f64 v[2:3], v[4:5], v[6:7]
	;; [unrolled: 1-line block ×4, first 2 shown]
	v_cmp_eq_f64_e32 vcc, 0, v[32:33]
	v_mul_f64 v[4:5], v[34:35], v[0:1]
	v_mul_f64 v[6:7], v[34:35], v[2:3]
	;; [unrolled: 1-line block ×4, first 2 shown]
	v_lshlrev_b32_e32 v8, 2, v36
	s_and_saveexec_b64 s[2:3], vcc
	s_xor_b64 s[2:3], exec, s[2:3]
	s_cbranch_execz .LBB9_40
; %bb.39:
	v_ashrrev_i32_e32 v9, 31, v8
	s_waitcnt lgkmcnt(0)
	v_lshl_add_u64 v[8:9], v[8:9], 3, s[0:1]
	global_store_dwordx4 v[8:9], v[4:7], off
	global_store_dwordx4 v[8:9], v[0:3], off offset:16
                                        ; implicit-def: $vgpr8
                                        ; implicit-def: $vgpr32_vgpr33
                                        ; implicit-def: $vgpr4_vgpr5
                                        ; implicit-def: $vgpr0_vgpr1
.LBB9_40:
	s_andn2_saveexec_b64 s[2:3], s[2:3]
	s_cbranch_execz .LBB9_10
; %bb.41:
	v_ashrrev_i32_e32 v9, 31, v8
	s_waitcnt lgkmcnt(0)
	v_lshl_add_u64 v[16:17], v[8:9], 3, s[0:1]
	global_load_dwordx4 v[8:11], v[16:17], off
	global_load_dwordx4 v[12:15], v[16:17], off offset:16
	s_waitcnt vmcnt(1)
	v_fmac_f64_e32 v[4:5], v[32:33], v[8:9]
	v_fmac_f64_e32 v[6:7], v[32:33], v[10:11]
	s_waitcnt vmcnt(0)
	v_fmac_f64_e32 v[0:1], v[32:33], v[12:13]
	v_fmac_f64_e32 v[2:3], v[32:33], v[14:15]
	global_store_dwordx4 v[16:17], v[4:7], off
	global_store_dwordx4 v[16:17], v[0:3], off offset:16
	s_endpgm
	.section	.rodata,"a",@progbits
	.p2align	6, 0x0
	.amdhsa_kernel _ZN9rocsparseL18bsrxmvn_4x4_kernelILj128ELj64EdiidddEEvT3_20rocsparse_direction_NS_24const_host_device_scalarIT1_EES1_PKS1_PKT2_SA_S7_PKT4_PKT5_S5_PT6_21rocsparse_index_base_b
		.amdhsa_group_segment_fixed_size 0
		.amdhsa_private_segment_fixed_size 0
		.amdhsa_kernarg_size 96
		.amdhsa_user_sgpr_count 2
		.amdhsa_user_sgpr_dispatch_ptr 0
		.amdhsa_user_sgpr_queue_ptr 0
		.amdhsa_user_sgpr_kernarg_segment_ptr 1
		.amdhsa_user_sgpr_dispatch_id 0
		.amdhsa_user_sgpr_kernarg_preload_length 0
		.amdhsa_user_sgpr_kernarg_preload_offset 0
		.amdhsa_user_sgpr_private_segment_size 0
		.amdhsa_uses_dynamic_stack 0
		.amdhsa_enable_private_segment 0
		.amdhsa_system_sgpr_workgroup_id_x 1
		.amdhsa_system_sgpr_workgroup_id_y 0
		.amdhsa_system_sgpr_workgroup_id_z 0
		.amdhsa_system_sgpr_workgroup_info 0
		.amdhsa_system_vgpr_workitem_id 0
		.amdhsa_next_free_vgpr 108
		.amdhsa_next_free_sgpr 26
		.amdhsa_accum_offset 108
		.amdhsa_reserve_vcc 1
		.amdhsa_float_round_mode_32 0
		.amdhsa_float_round_mode_16_64 0
		.amdhsa_float_denorm_mode_32 3
		.amdhsa_float_denorm_mode_16_64 3
		.amdhsa_dx10_clamp 1
		.amdhsa_ieee_mode 1
		.amdhsa_fp16_overflow 0
		.amdhsa_tg_split 0
		.amdhsa_exception_fp_ieee_invalid_op 0
		.amdhsa_exception_fp_denorm_src 0
		.amdhsa_exception_fp_ieee_div_zero 0
		.amdhsa_exception_fp_ieee_overflow 0
		.amdhsa_exception_fp_ieee_underflow 0
		.amdhsa_exception_fp_ieee_inexact 0
		.amdhsa_exception_int_div_zero 0
	.end_amdhsa_kernel
	.section	.text._ZN9rocsparseL18bsrxmvn_4x4_kernelILj128ELj64EdiidddEEvT3_20rocsparse_direction_NS_24const_host_device_scalarIT1_EES1_PKS1_PKT2_SA_S7_PKT4_PKT5_S5_PT6_21rocsparse_index_base_b,"axG",@progbits,_ZN9rocsparseL18bsrxmvn_4x4_kernelILj128ELj64EdiidddEEvT3_20rocsparse_direction_NS_24const_host_device_scalarIT1_EES1_PKS1_PKT2_SA_S7_PKT4_PKT5_S5_PT6_21rocsparse_index_base_b,comdat
.Lfunc_end9:
	.size	_ZN9rocsparseL18bsrxmvn_4x4_kernelILj128ELj64EdiidddEEvT3_20rocsparse_direction_NS_24const_host_device_scalarIT1_EES1_PKS1_PKT2_SA_S7_PKT4_PKT5_S5_PT6_21rocsparse_index_base_b, .Lfunc_end9-_ZN9rocsparseL18bsrxmvn_4x4_kernelILj128ELj64EdiidddEEvT3_20rocsparse_direction_NS_24const_host_device_scalarIT1_EES1_PKS1_PKT2_SA_S7_PKT4_PKT5_S5_PT6_21rocsparse_index_base_b
                                        ; -- End function
	.set _ZN9rocsparseL18bsrxmvn_4x4_kernelILj128ELj64EdiidddEEvT3_20rocsparse_direction_NS_24const_host_device_scalarIT1_EES1_PKS1_PKT2_SA_S7_PKT4_PKT5_S5_PT6_21rocsparse_index_base_b.num_vgpr, 108
	.set _ZN9rocsparseL18bsrxmvn_4x4_kernelILj128ELj64EdiidddEEvT3_20rocsparse_direction_NS_24const_host_device_scalarIT1_EES1_PKS1_PKT2_SA_S7_PKT4_PKT5_S5_PT6_21rocsparse_index_base_b.num_agpr, 0
	.set _ZN9rocsparseL18bsrxmvn_4x4_kernelILj128ELj64EdiidddEEvT3_20rocsparse_direction_NS_24const_host_device_scalarIT1_EES1_PKS1_PKT2_SA_S7_PKT4_PKT5_S5_PT6_21rocsparse_index_base_b.numbered_sgpr, 26
	.set _ZN9rocsparseL18bsrxmvn_4x4_kernelILj128ELj64EdiidddEEvT3_20rocsparse_direction_NS_24const_host_device_scalarIT1_EES1_PKS1_PKT2_SA_S7_PKT4_PKT5_S5_PT6_21rocsparse_index_base_b.num_named_barrier, 0
	.set _ZN9rocsparseL18bsrxmvn_4x4_kernelILj128ELj64EdiidddEEvT3_20rocsparse_direction_NS_24const_host_device_scalarIT1_EES1_PKS1_PKT2_SA_S7_PKT4_PKT5_S5_PT6_21rocsparse_index_base_b.private_seg_size, 0
	.set _ZN9rocsparseL18bsrxmvn_4x4_kernelILj128ELj64EdiidddEEvT3_20rocsparse_direction_NS_24const_host_device_scalarIT1_EES1_PKS1_PKT2_SA_S7_PKT4_PKT5_S5_PT6_21rocsparse_index_base_b.uses_vcc, 1
	.set _ZN9rocsparseL18bsrxmvn_4x4_kernelILj128ELj64EdiidddEEvT3_20rocsparse_direction_NS_24const_host_device_scalarIT1_EES1_PKS1_PKT2_SA_S7_PKT4_PKT5_S5_PT6_21rocsparse_index_base_b.uses_flat_scratch, 0
	.set _ZN9rocsparseL18bsrxmvn_4x4_kernelILj128ELj64EdiidddEEvT3_20rocsparse_direction_NS_24const_host_device_scalarIT1_EES1_PKS1_PKT2_SA_S7_PKT4_PKT5_S5_PT6_21rocsparse_index_base_b.has_dyn_sized_stack, 0
	.set _ZN9rocsparseL18bsrxmvn_4x4_kernelILj128ELj64EdiidddEEvT3_20rocsparse_direction_NS_24const_host_device_scalarIT1_EES1_PKS1_PKT2_SA_S7_PKT4_PKT5_S5_PT6_21rocsparse_index_base_b.has_recursion, 0
	.set _ZN9rocsparseL18bsrxmvn_4x4_kernelILj128ELj64EdiidddEEvT3_20rocsparse_direction_NS_24const_host_device_scalarIT1_EES1_PKS1_PKT2_SA_S7_PKT4_PKT5_S5_PT6_21rocsparse_index_base_b.has_indirect_call, 0
	.section	.AMDGPU.csdata,"",@progbits
; Kernel info:
; codeLenInByte = 3804
; TotalNumSgprs: 32
; NumVgprs: 108
; NumAgprs: 0
; TotalNumVgprs: 108
; ScratchSize: 0
; MemoryBound: 1
; FloatMode: 240
; IeeeMode: 1
; LDSByteSize: 0 bytes/workgroup (compile time only)
; SGPRBlocks: 3
; VGPRBlocks: 13
; NumSGPRsForWavesPerEU: 32
; NumVGPRsForWavesPerEU: 108
; AccumOffset: 108
; Occupancy: 4
; WaveLimiterHint : 1
; COMPUTE_PGM_RSRC2:SCRATCH_EN: 0
; COMPUTE_PGM_RSRC2:USER_SGPR: 2
; COMPUTE_PGM_RSRC2:TRAP_HANDLER: 0
; COMPUTE_PGM_RSRC2:TGID_X_EN: 1
; COMPUTE_PGM_RSRC2:TGID_Y_EN: 0
; COMPUTE_PGM_RSRC2:TGID_Z_EN: 0
; COMPUTE_PGM_RSRC2:TIDIG_COMP_CNT: 0
; COMPUTE_PGM_RSRC3_GFX90A:ACCUM_OFFSET: 26
; COMPUTE_PGM_RSRC3_GFX90A:TG_SPLIT: 0
	.section	.text._ZN9rocsparseL18bsrxmvn_4x4_kernelILj128ELj4E21rocsparse_complex_numIfEiiS2_S2_S2_EEvT3_20rocsparse_direction_NS_24const_host_device_scalarIT1_EES3_PKS3_PKT2_SC_S9_PKT4_PKT5_S7_PT6_21rocsparse_index_base_b,"axG",@progbits,_ZN9rocsparseL18bsrxmvn_4x4_kernelILj128ELj4E21rocsparse_complex_numIfEiiS2_S2_S2_EEvT3_20rocsparse_direction_NS_24const_host_device_scalarIT1_EES3_PKS3_PKT2_SC_S9_PKT4_PKT5_S7_PT6_21rocsparse_index_base_b,comdat
	.globl	_ZN9rocsparseL18bsrxmvn_4x4_kernelILj128ELj4E21rocsparse_complex_numIfEiiS2_S2_S2_EEvT3_20rocsparse_direction_NS_24const_host_device_scalarIT1_EES3_PKS3_PKT2_SC_S9_PKT4_PKT5_S7_PT6_21rocsparse_index_base_b ; -- Begin function _ZN9rocsparseL18bsrxmvn_4x4_kernelILj128ELj4E21rocsparse_complex_numIfEiiS2_S2_S2_EEvT3_20rocsparse_direction_NS_24const_host_device_scalarIT1_EES3_PKS3_PKT2_SC_S9_PKT4_PKT5_S7_PT6_21rocsparse_index_base_b
	.p2align	8
	.type	_ZN9rocsparseL18bsrxmvn_4x4_kernelILj128ELj4E21rocsparse_complex_numIfEiiS2_S2_S2_EEvT3_20rocsparse_direction_NS_24const_host_device_scalarIT1_EES3_PKS3_PKT2_SC_S9_PKT4_PKT5_S7_PT6_21rocsparse_index_base_b,@function
_ZN9rocsparseL18bsrxmvn_4x4_kernelILj128ELj4E21rocsparse_complex_numIfEiiS2_S2_S2_EEvT3_20rocsparse_direction_NS_24const_host_device_scalarIT1_EES3_PKS3_PKT2_SC_S9_PKT4_PKT5_S7_PT6_21rocsparse_index_base_b: ; @_ZN9rocsparseL18bsrxmvn_4x4_kernelILj128ELj4E21rocsparse_complex_numIfEiiS2_S2_S2_EEvT3_20rocsparse_direction_NS_24const_host_device_scalarIT1_EES3_PKS3_PKT2_SC_S9_PKT4_PKT5_S7_PT6_21rocsparse_index_base_b
; %bb.0:
	s_load_dwordx2 s[4:5], s[0:1], 0x8
	s_load_dwordx2 s[16:17], s[0:1], 0x58
	s_add_u32 s3, s0, 8
	s_addc_u32 s8, s1, 0
	s_load_dwordx2 s[6:7], s[0:1], 0x48
	s_add_u32 s9, s0, 0x48
	s_addc_u32 s10, s1, 0
	s_waitcnt lgkmcnt(0)
	s_bitcmp1_b32 s17, 0
	s_cselect_b32 s3, s3, s4
	s_cselect_b32 s5, s8, s5
	v_mov_b32_e32 v2, s3
	s_cselect_b32 s3, s10, s7
	s_cselect_b32 s4, s9, s6
	v_mov_b32_e32 v3, s5
	v_mov_b32_e32 v4, s4
	;; [unrolled: 1-line block ×3, first 2 shown]
	flat_load_dwordx2 v[68:69], v[2:3]
	flat_load_dwordx2 v[70:71], v[4:5]
	s_waitcnt vmcnt(0) lgkmcnt(0)
	v_cmp_neq_f32_e32 vcc, 0, v68
	v_cmp_neq_f32_e64 s[4:5], 0, v69
	v_cmp_neq_f32_e64 s[8:9], 1.0, v70
	v_cmp_neq_f32_e64 s[6:7], 0, v71
	s_or_b64 s[4:5], vcc, s[4:5]
	s_or_b64 s[8:9], s[8:9], s[6:7]
	s_or_b64 s[4:5], s[4:5], s[8:9]
	s_and_saveexec_b64 s[8:9], s[4:5]
	s_cbranch_execz .LBB10_6
; %bb.1:
	s_load_dwordx2 s[8:9], s[0:1], 0x18
	s_load_dwordx2 s[4:5], s[0:1], 0x0
	v_lshrrev_b32_e32 v1, 2, v0
	v_lshl_or_b32 v72, s2, 5, v1
	s_mov_b64 s[2:3], 0
	s_waitcnt lgkmcnt(0)
	s_cmp_lg_u64 s[8:9], 0
	s_cbranch_scc0 .LBB10_7
; %bb.2:
	s_load_dword s10, s[0:1], 0x10
                                        ; implicit-def: $vgpr1
	s_waitcnt lgkmcnt(0)
	v_cmp_gt_i32_e32 vcc, s10, v72
	s_and_saveexec_b64 s[10:11], vcc
	s_xor_b64 s[10:11], exec, s[10:11]
	s_cbranch_execz .LBB10_4
; %bb.3:
	v_ashrrev_i32_e32 v73, 31, v72
	v_lshl_add_u64 v[2:3], v[72:73], 2, s[8:9]
	global_load_dword v1, v[2:3], off
	s_mov_b64 s[2:3], exec
	s_waitcnt vmcnt(0)
	v_subrev_u32_e32 v1, s16, v1
.LBB10_4:
	s_or_b64 exec, exec, s[10:11]
	s_branch .LBB10_8
.LBB10_5:
	v_cmp_gt_i32_e32 vcc, s4, v72
	s_andn2_b64 s[2:3], s[2:3], exec
	s_and_b64 s[8:9], vcc, exec
	s_or_b64 s[2:3], s[2:3], s[8:9]
	s_and_b64 exec, exec, s[2:3]
	s_cbranch_execnz .LBB10_9
.LBB10_6:
	s_endpgm
.LBB10_7:
                                        ; implicit-def: $vgpr1
	s_cbranch_execnz .LBB10_5
.LBB10_8:
	v_mov_b32_e32 v72, v1
	s_and_b64 exec, exec, s[2:3]
	s_cbranch_execz .LBB10_6
.LBB10_9:
	s_load_dwordx8 s[8:15], s[0:1], 0x20
	v_ashrrev_i32_e32 v73, 31, v72
	v_lshlrev_b64 v[2:3], 2, v[72:73]
	s_load_dwordx2 s[2:3], s[0:1], 0x40
	v_and_b32_e32 v73, 3, v0
	s_waitcnt lgkmcnt(0)
	v_lshl_add_u64 v[4:5], s[8:9], 0, v[2:3]
	s_cmp_eq_u64 s[10:11], 0
	global_load_dword v93, v[4:5], off
	v_lshl_add_u64 v[4:5], v[4:5], 0, 4
	v_lshl_add_u64 v[2:3], s[10:11], 0, v[2:3]
	s_cselect_b64 vcc, -1, 0
	v_cndmask_b32_e32 v3, v3, v5, vcc
	v_cndmask_b32_e32 v2, v2, v4, vcc
	global_load_dword v1, v[2:3], off
	s_cmp_eq_u32 s5, 1
	s_waitcnt vmcnt(1)
	v_subrev_u32_e32 v0, s16, v93
	v_add_u32_e32 v74, v0, v73
	v_ashrrev_i32_e32 v75, 31, v74
	s_waitcnt vmcnt(0)
	v_subrev_u32_e32 v92, s16, v1
	v_lshlrev_b64 v[0:1], 7, v[74:75]
	v_lshl_add_u64 v[76:77], s[14:15], 0, v[0:1]
	v_cmp_lt_i32_e64 s[4:5], v74, v92
	s_cbranch_scc1 .LBB10_21
; %bb.10:
	v_mov_b32_e32 v89, 0
	v_mov_b32_e32 v88, 0
	;; [unrolled: 1-line block ×8, first 2 shown]
	s_and_saveexec_b64 s[8:9], s[4:5]
	s_cbranch_execz .LBB10_20
; %bb.11:
	v_add_u32_e32 v0, v93, v73
	v_subrev_u32_e32 v0, s16, v0
	v_add_u32_e32 v0, 4, v0
	v_max_i32_e32 v0, v0, v92
	v_not_b32_e32 v1, v93
	v_add3_u32 v0, s16, v0, v1
	v_sub_u32_e32 v0, v0, v73
	v_mov_b32_e32 v78, 0
	v_and_b32_e32 v1, 12, v0
	v_mov_b32_e32 v79, v78
	v_cmp_ne_u32_e32 vcc, 12, v1
	v_mov_b64_e32 v[88:89], v[78:79]
	v_mov_b64_e32 v[80:81], v[78:79]
	;; [unrolled: 1-line block ×4, first 2 shown]
	v_mov_b32_e32 v84, v74
	s_and_saveexec_b64 s[10:11], vcc
	s_cbranch_execz .LBB10_15
; %bb.12:
	v_lshrrev_b32_e32 v1, 2, v0
	v_add_u32_e32 v1, 1, v1
	v_and_b32_e32 v1, 3, v1
	v_sub_u32_e32 v1, 0, v1
	s_mov_b64 s[14:15], 0
	s_mov_b64 s[18:19], 0x200
	v_mov_b32_e32 v84, v74
	v_mov_b64_e32 v[86:87], v[76:77]
	v_mov_b32_e32 v79, v78
	v_mov_b32_e32 v82, v78
	;; [unrolled: 1-line block ×7, first 2 shown]
.LBB10_13:                              ; =>This Inner Loop Header: Depth=1
	v_ashrrev_i32_e32 v85, 31, v84
	v_lshl_add_u64 v[34:35], v[84:85], 2, s[12:13]
	global_load_dword v36, v[34:35], off
	global_load_dwordx4 v[2:5], v[86:87], off
	global_load_dwordx4 v[6:9], v[86:87], off offset:16
	global_load_dwordx4 v[10:13], v[86:87], off offset:32
	global_load_dwordx4 v[14:17], v[86:87], off offset:48
	global_load_dwordx4 v[18:21], v[86:87], off offset:64
	global_load_dwordx4 v[22:25], v[86:87], off offset:80
	global_load_dwordx4 v[26:29], v[86:87], off offset:112
	global_load_dwordx4 v[30:33], v[86:87], off offset:96
	v_add_co_u32_e32 v1, vcc, 1, v1
	v_lshl_add_u64 v[86:87], v[86:87], 0, s[18:19]
	v_add_u32_e32 v84, 4, v84
	s_or_b64 s[14:15], vcc, s[14:15]
	s_waitcnt vmcnt(8)
	v_subrev_u32_e32 v34, s16, v36
	v_lshlrev_b32_e32 v34, 2, v34
	v_ashrrev_i32_e32 v35, 31, v34
	v_lshl_add_u64 v[42:43], v[34:35], 3, s[2:3]
	global_load_dwordx4 v[34:37], v[42:43], off
	global_load_dwordx4 v[38:41], v[42:43], off offset:16
	s_waitcnt vmcnt(9)
	v_xor_b32_e32 v42, 0x80000000, v5
	v_mov_b32_e32 v43, v4
	s_waitcnt vmcnt(7)
	v_xor_b32_e32 v46, 0x80000000, v13
	v_mov_b32_e32 v47, v12
	;; [unrolled: 3-line block ×4, first 2 shown]
	v_xor_b32_e32 v44, 0x80000000, v9
	v_mov_b32_e32 v45, v8
	v_xor_b32_e32 v48, 0x80000000, v17
	v_mov_b32_e32 v49, v16
	;; [unrolled: 2-line block ×4, first 2 shown]
	s_waitcnt vmcnt(1)
	v_pk_fma_f32 v[58:59], v[2:3], v[34:35], v[88:89] op_sel_hi:[1,0,1]
	v_pk_fma_f32 v[60:61], v[10:11], v[34:35], v[78:79] op_sel_hi:[1,0,1]
	;; [unrolled: 1-line block ×4, first 2 shown]
	v_pk_fma_f32 v[2:3], v[2:3], v[34:35], v[58:59] op_sel:[1,1,0] op_sel_hi:[0,1,1] neg_lo:[1,0,0]
	v_pk_fma_f32 v[10:11], v[10:11], v[34:35], v[60:61] op_sel:[1,1,0] op_sel_hi:[0,1,1] neg_lo:[1,0,0]
	;; [unrolled: 1-line block ×4, first 2 shown]
	v_mov_b32_e32 v64, v37
	v_pk_fma_f32 v[2:3], v[4:5], v[36:37], v[2:3] op_sel_hi:[1,0,1]
	v_pk_fma_f32 v[4:5], v[12:13], v[36:37], v[10:11] op_sel_hi:[1,0,1]
	;; [unrolled: 1-line block ×8, first 2 shown]
	s_waitcnt vmcnt(0)
	v_pk_fma_f32 v[2:3], v[6:7], v[38:39], v[2:3] op_sel_hi:[1,0,1]
	v_pk_fma_f32 v[4:5], v[14:15], v[38:39], v[4:5] op_sel_hi:[1,0,1]
	;; [unrolled: 1-line block ×4, first 2 shown]
	v_pk_fma_f32 v[2:3], v[6:7], v[38:39], v[2:3] op_sel:[1,1,0] op_sel_hi:[0,1,1] neg_lo:[1,0,0]
	v_pk_fma_f32 v[4:5], v[14:15], v[38:39], v[4:5] op_sel:[1,1,0] op_sel_hi:[0,1,1] neg_lo:[1,0,0]
	;; [unrolled: 1-line block ×4, first 2 shown]
	v_mov_b32_e32 v80, v41
	v_pk_fma_f32 v[2:3], v[8:9], v[40:41], v[2:3] op_sel_hi:[1,0,1]
	v_pk_fma_f32 v[4:5], v[16:17], v[40:41], v[4:5] op_sel_hi:[1,0,1]
	;; [unrolled: 1-line block ×8, first 2 shown]
	s_andn2_b64 exec, exec, s[14:15]
	s_cbranch_execnz .LBB10_13
; %bb.14:
	s_or_b64 exec, exec, s[14:15]
.LBB10_15:
	s_or_b64 exec, exec, s[10:11]
	v_cmp_lt_u32_e32 vcc, 11, v0
	s_and_saveexec_b64 s[10:11], vcc
	s_cbranch_execz .LBB10_19
; %bb.16:
	s_mov_b64 s[14:15], 0
	s_mov_b64 s[18:19], 0x800
.LBB10_17:                              ; =>This Inner Loop Header: Depth=1
	v_ashrrev_i32_e32 v85, 31, v84
	v_lshl_add_u64 v[90:91], v[84:85], 2, s[12:13]
	global_load_dwordx4 v[4:7], v[86:87], off offset:48
	global_load_dwordx4 v[0:3], v[86:87], off offset:32
	;; [unrolled: 1-line block ×3, first 2 shown]
	global_load_dwordx4 v[44:47], v[86:87], off
	global_load_dwordx4 v[20:23], v[86:87], off offset:112
	global_load_dwordx4 v[16:19], v[86:87], off offset:96
	;; [unrolled: 1-line block ×11, first 2 shown]
	global_load_dword v52, v[90:91], off
	global_load_dwordx4 v[94:97], v[86:87], off offset:576
	v_add_u32_e32 v84, 16, v84
	v_cmp_ge_i32_e32 vcc, v84, v92
	s_or_b64 s[14:15], vcc, s[14:15]
	s_waitcnt vmcnt(13)
	v_xor_b32_e32 v64, 0x80000000, v47
	v_mov_b32_e32 v65, v46
	s_waitcnt vmcnt(11)
	v_xor_b32_e32 v98, 0x80000000, v19
	v_mov_b32_e32 v99, v18
	s_waitcnt vmcnt(1)
	v_subrev_u32_e32 v52, s16, v52
	v_lshlrev_b32_e32 v52, 2, v52
	v_ashrrev_i32_e32 v53, 31, v52
	v_lshl_add_u64 v[66:67], v[52:53], 3, s[2:3]
	global_load_dwordx4 v[52:55], v[66:67], off
	s_waitcnt vmcnt(0)
	v_pk_fma_f32 v[88:89], v[44:45], v[52:53], v[88:89] op_sel_hi:[1,0,1]
	s_nop 0
	v_pk_fma_f32 v[44:45], v[44:45], v[52:53], v[88:89] op_sel:[1,1,0] op_sel_hi:[0,1,1] neg_lo:[1,0,0]
	v_pk_fma_f32 v[44:45], v[46:47], v[54:55], v[44:45] op_sel_hi:[1,0,1]
	v_mov_b32_e32 v100, v55
	v_pk_fma_f32 v[44:45], v[64:65], v[100:101], v[44:45] op_sel_hi:[1,0,1]
	global_load_dwordx4 v[64:67], v[66:67], off offset:16
	v_pk_fma_f32 v[78:79], v[0:1], v[52:53], v[78:79] op_sel_hi:[1,0,1]
	v_xor_b32_e32 v46, 0x80000000, v3
	v_pk_fma_f32 v[0:1], v[0:1], v[52:53], v[78:79] op_sel:[1,1,0] op_sel_hi:[0,1,1] neg_lo:[1,0,0]
	v_pk_fma_f32 v[78:79], v[2:3], v[54:55], v[0:1] op_sel_hi:[1,0,1]
	v_pk_fma_f32 v[0:1], v[40:41], v[52:53], v[82:83] op_sel_hi:[1,0,1]
	v_mov_b32_e32 v47, v2
	v_pk_fma_f32 v[0:1], v[40:41], v[52:53], v[0:1] op_sel:[1,1,0] op_sel_hi:[0,1,1] neg_lo:[1,0,0]
	v_xor_b32_e32 v88, 0x80000000, v43
	v_mov_b32_e32 v89, v42
	v_pk_fma_f32 v[82:83], v[42:43], v[54:55], v[0:1] op_sel_hi:[1,0,1]
	v_pk_fma_f32 v[40:41], v[16:17], v[52:53], v[80:81] op_sel_hi:[1,0,1]
	v_pk_fma_f32 v[46:47], v[46:47], v[100:101], v[78:79] op_sel_hi:[1,0,1]
	v_pk_fma_f32 v[16:17], v[16:17], v[52:53], v[40:41] op_sel:[1,1,0] op_sel_hi:[0,1,1] neg_lo:[1,0,0]
	v_pk_fma_f32 v[78:79], v[88:89], v[100:101], v[82:83] op_sel_hi:[1,0,1]
	v_pk_fma_f32 v[80:81], v[18:19], v[54:55], v[16:17] op_sel_hi:[1,0,1]
	v_xor_b32_e32 v82, 0x80000000, v11
	v_pk_fma_f32 v[80:81], v[98:99], v[100:101], v[80:81] op_sel_hi:[1,0,1]
	v_mov_b32_e32 v83, v10
	v_mov_b32_e32 v101, v22
	v_xor_b32_e32 v100, 0x80000000, v23
	v_xor_b32_e32 v98, 0x80000000, v31
	v_mov_b32_e32 v99, v30
	global_load_dwordx4 v[52:55], v[86:87], off offset:1024
	v_xor_b32_e32 v102, 0x80000000, v97
	v_mov_b32_e32 v103, v96
	global_load_dwordx4 v[0:3], v[86:87], off offset:1072
	global_load_dwordx4 v[40:43], v[86:87], off offset:1056
	;; [unrolled: 1-line block ×3, first 2 shown]
	s_waitcnt vmcnt(4)
	v_pk_fma_f32 v[44:45], v[8:9], v[64:65], v[44:45] op_sel_hi:[1,0,1]
	s_nop 0
	v_pk_fma_f32 v[8:9], v[8:9], v[64:65], v[44:45] op_sel:[1,1,0] op_sel_hi:[0,1,1] neg_lo:[1,0,0]
	v_pk_fma_f32 v[44:45], v[4:5], v[64:65], v[46:47] op_sel_hi:[1,0,1]
	v_pk_fma_f32 v[8:9], v[10:11], v[66:67], v[8:9] op_sel_hi:[1,0,1]
	v_pk_fma_f32 v[4:5], v[4:5], v[64:65], v[44:45] op_sel:[1,1,0] op_sel_hi:[0,1,1] neg_lo:[1,0,0]
	v_pk_fma_f32 v[44:45], v[28:29], v[64:65], v[78:79] op_sel_hi:[1,0,1]
	v_xor_b32_e32 v10, 0x80000000, v7
	v_pk_fma_f32 v[28:29], v[28:29], v[64:65], v[44:45] op_sel:[1,1,0] op_sel_hi:[0,1,1] neg_lo:[1,0,0]
	v_pk_fma_f32 v[78:79], v[30:31], v[66:67], v[28:29] op_sel_hi:[1,0,1]
	v_pk_fma_f32 v[28:29], v[20:21], v[64:65], v[80:81] op_sel_hi:[1,0,1]
	v_mov_b32_e32 v11, v6
	v_pk_fma_f32 v[20:21], v[20:21], v[64:65], v[28:29] op_sel:[1,1,0] op_sel_hi:[0,1,1] neg_lo:[1,0,0]
	v_pk_fma_f32 v[20:21], v[22:23], v[66:67], v[20:21] op_sel_hi:[1,0,1]
	v_mov_b32_e32 v22, v67
	v_pk_fma_f32 v[8:9], v[82:83], v[22:23], v[8:9] op_sel_hi:[1,0,1]
	global_load_dword v23, v[90:91], off offset:16
	v_pk_fma_f32 v[88:89], v[6:7], v[66:67], v[4:5] op_sel_hi:[1,0,1]
	v_xor_b32_e32 v82, 0x80000000, v35
	v_mov_b32_e32 v83, v34
	global_load_dwordx4 v[4:7], v[86:87], off offset:1136
	global_load_dwordx4 v[44:47], v[86:87], off offset:1120
	;; [unrolled: 1-line block ×3, first 2 shown]
	s_waitcnt vmcnt(3)
	v_pk_fma_f32 v[10:11], v[10:11], v[22:23], v[88:89] op_sel_hi:[1,0,1]
	v_subrev_u32_e32 v23, s16, v23
	v_lshlrev_b32_e32 v64, 2, v23
	v_ashrrev_i32_e32 v65, 31, v64
	v_lshl_add_u64 v[88:89], v[64:65], 3, s[2:3]
	v_pk_fma_f32 v[98:99], v[98:99], v[22:23], v[78:79] op_sel_hi:[1,0,1]
	global_load_dwordx4 v[78:81], v[88:89], off
	v_pk_fma_f32 v[20:21], v[100:101], v[22:23], v[20:21] op_sel_hi:[1,0,1]
	global_load_dwordx4 v[64:67], v[86:87], off offset:1088
	s_waitcnt vmcnt(1)
	v_pk_fma_f32 v[8:9], v[32:33], v[78:79], v[8:9] op_sel_hi:[1,0,1]
	s_nop 0
	v_pk_fma_f32 v[8:9], v[32:33], v[78:79], v[8:9] op_sel:[1,1,0] op_sel_hi:[0,1,1] neg_lo:[1,0,0]
	v_pk_fma_f32 v[32:33], v[34:35], v[80:81], v[8:9] op_sel_hi:[1,0,1]
	v_pk_fma_f32 v[8:9], v[12:13], v[78:79], v[10:11] op_sel_hi:[1,0,1]
	v_xor_b32_e32 v34, 0x80000000, v15
	v_pk_fma_f32 v[8:9], v[12:13], v[78:79], v[8:9] op_sel:[1,1,0] op_sel_hi:[0,1,1] neg_lo:[1,0,0]
	v_pk_fma_f32 v[100:101], v[14:15], v[80:81], v[8:9] op_sel_hi:[1,0,1]
	v_pk_fma_f32 v[8:9], v[94:95], v[78:79], v[98:99] op_sel_hi:[1,0,1]
	;; [unrolled: 1-line block ×3, first 2 shown]
	v_pk_fma_f32 v[8:9], v[94:95], v[78:79], v[8:9] op_sel:[1,1,0] op_sel_hi:[0,1,1] neg_lo:[1,0,0]
	v_pk_fma_f32 v[12:13], v[60:61], v[78:79], v[12:13] op_sel:[1,1,0] op_sel_hi:[0,1,1] neg_lo:[1,0,0]
	v_mov_b32_e32 v35, v14
	v_pk_fma_f32 v[94:95], v[96:97], v[80:81], v[8:9] op_sel_hi:[1,0,1]
	v_xor_b32_e32 v96, 0x80000000, v63
	v_mov_b32_e32 v97, v62
	v_pk_fma_f32 v[60:61], v[62:63], v[80:81], v[12:13] op_sel_hi:[1,0,1]
	v_mov_b32_e32 v62, v81
	v_pk_fma_f32 v[78:79], v[82:83], v[62:63], v[32:33] op_sel_hi:[1,0,1]
	v_pk_fma_f32 v[80:81], v[34:35], v[62:63], v[100:101] op_sel_hi:[1,0,1]
	;; [unrolled: 1-line block ×4, first 2 shown]
	global_load_dwordx4 v[60:63], v[88:89], off offset:16
	global_load_dwordx4 v[8:11], v[86:87], off offset:1584
	;; [unrolled: 1-line block ×5, first 2 shown]
	v_xor_b32_e32 v96, 0x80000000, v39
	v_mov_b32_e32 v97, v38
	v_xor_b32_e32 v88, 0x80000000, v27
	v_mov_b32_e32 v89, v26
	;; [unrolled: 2-line block ×4, first 2 shown]
	s_waitcnt vmcnt(4)
	v_pk_fma_f32 v[78:79], v[36:37], v[60:61], v[78:79] op_sel_hi:[1,0,1]
	s_nop 0
	v_pk_fma_f32 v[36:37], v[36:37], v[60:61], v[78:79] op_sel:[1,1,0] op_sel_hi:[0,1,1] neg_lo:[1,0,0]
	v_pk_fma_f32 v[78:79], v[38:39], v[62:63], v[36:37] op_sel_hi:[1,0,1]
	v_pk_fma_f32 v[36:37], v[24:25], v[60:61], v[80:81] op_sel_hi:[1,0,1]
	s_nop 0
	v_pk_fma_f32 v[24:25], v[24:25], v[60:61], v[36:37] op_sel:[1,1,0] op_sel_hi:[0,1,1] neg_lo:[1,0,0]
	v_pk_fma_f32 v[36:37], v[56:57], v[60:61], v[82:83] op_sel_hi:[1,0,1]
	v_pk_fma_f32 v[80:81], v[26:27], v[62:63], v[24:25] op_sel_hi:[1,0,1]
	v_pk_fma_f32 v[36:37], v[56:57], v[60:61], v[36:37] op_sel:[1,1,0] op_sel_hi:[0,1,1] neg_lo:[1,0,0]
	v_pk_fma_f32 v[56:57], v[58:59], v[62:63], v[36:37] op_sel_hi:[1,0,1]
	v_pk_fma_f32 v[36:37], v[48:49], v[60:61], v[94:95] op_sel_hi:[1,0,1]
	global_load_dwordx4 v[24:27], v[86:87], off offset:1648
	v_pk_fma_f32 v[36:37], v[48:49], v[60:61], v[36:37] op_sel:[1,1,0] op_sel_hi:[0,1,1] neg_lo:[1,0,0]
	v_pk_fma_f32 v[60:61], v[50:51], v[62:63], v[36:37] op_sel_hi:[1,0,1]
	global_load_dwordx4 v[36:39], v[86:87], off offset:1632
	global_load_dword v75, v[90:91], off offset:32
	global_load_dword v85, v[90:91], off offset:48
	v_mov_b32_e32 v62, v63
	v_pk_fma_f32 v[78:79], v[96:97], v[62:63], v[78:79] op_sel_hi:[1,0,1]
	v_xor_b32_e32 v58, 0x80000000, v51
	v_mov_b32_e32 v59, v50
	global_load_dwordx4 v[48:51], v[86:87], off offset:1616
	v_xor_b32_e32 v82, 0x80000000, v55
	v_mov_b32_e32 v83, v54
	v_xor_b32_e32 v96, 0x80000000, v43
	v_mov_b32_e32 v97, v42
	s_waitcnt vmcnt(2)
	v_subrev_u32_e32 v63, s16, v75
	v_pk_fma_f32 v[80:81], v[88:89], v[62:63], v[80:81] op_sel_hi:[1,0,1]
	v_lshlrev_b32_e32 v88, 2, v63
	v_ashrrev_i32_e32 v89, 31, v88
	v_lshl_add_u64 v[88:89], v[88:89], 3, s[2:3]
	v_pk_fma_f32 v[90:91], v[98:99], v[62:63], v[56:57] op_sel_hi:[1,0,1]
	v_pk_fma_f32 v[94:95], v[58:59], v[62:63], v[60:61] op_sel_hi:[1,0,1]
	global_load_dwordx4 v[56:59], v[88:89], off
	v_xor_b32_e32 v98, 0x80000000, v67
	v_mov_b32_e32 v99, v66
	s_waitcnt vmcnt(0)
	v_pk_fma_f32 v[60:61], v[52:53], v[56:57], v[78:79] op_sel_hi:[1,0,1]
	s_nop 0
	v_pk_fma_f32 v[52:53], v[52:53], v[56:57], v[60:61] op_sel:[1,1,0] op_sel_hi:[0,1,1] neg_lo:[1,0,0]
	v_pk_fma_f32 v[60:61], v[40:41], v[56:57], v[80:81] op_sel_hi:[1,0,1]
	v_pk_fma_f32 v[78:79], v[54:55], v[58:59], v[52:53] op_sel_hi:[1,0,1]
	v_pk_fma_f32 v[40:41], v[40:41], v[56:57], v[60:61] op_sel:[1,1,0] op_sel_hi:[0,1,1] neg_lo:[1,0,0]
	v_pk_fma_f32 v[80:81], v[42:43], v[58:59], v[40:41] op_sel_hi:[1,0,1]
	v_subrev_u32_e32 v40, s16, v85
	v_lshlrev_b32_e32 v40, 2, v40
	v_ashrrev_i32_e32 v41, 31, v40
	global_load_dwordx4 v[60:63], v[88:89], off offset:16
	v_lshl_add_u64 v[102:103], v[40:41], 3, s[2:3]
	v_pk_fma_f32 v[40:41], v[64:65], v[56:57], v[90:91] op_sel_hi:[1,0,1]
	global_load_dwordx4 v[52:55], v[86:87], off offset:1600
	v_pk_fma_f32 v[40:41], v[64:65], v[56:57], v[40:41] op_sel:[1,1,0] op_sel_hi:[0,1,1] neg_lo:[1,0,0]
	v_pk_fma_f32 v[64:65], v[66:67], v[58:59], v[40:41] op_sel_hi:[1,0,1]
	v_pk_fma_f32 v[40:41], v[44:45], v[56:57], v[94:95] op_sel_hi:[1,0,1]
	v_xor_b32_e32 v66, 0x80000000, v19
	v_pk_fma_f32 v[40:41], v[44:45], v[56:57], v[40:41] op_sel:[1,1,0] op_sel_hi:[0,1,1] neg_lo:[1,0,0]
	v_pk_fma_f32 v[56:57], v[46:47], v[58:59], v[40:41] op_sel_hi:[1,0,1]
	global_load_dwordx4 v[44:47], v[102:103], off
	global_load_dwordx4 v[40:43], v[102:103], off offset:16
	v_mov_b32_e32 v58, v59
	v_pk_fma_f32 v[78:79], v[82:83], v[58:59], v[78:79] op_sel_hi:[1,0,1]
	v_pk_fma_f32 v[80:81], v[96:97], v[58:59], v[80:81] op_sel_hi:[1,0,1]
	;; [unrolled: 1-line block ×4, first 2 shown]
	v_mov_b32_e32 v67, v18
	v_xor_b32_e32 v82, 0x80000000, v3
	v_mov_b32_e32 v83, v2
	v_xor_b32_e32 v88, 0x80000000, v31
	;; [unrolled: 2-line block ×5, first 2 shown]
	v_mov_b32_e32 v95, v14
	v_lshl_add_u64 v[86:87], v[86:87], 0, s[18:19]
	s_waitcnt vmcnt(3)
	v_pk_fma_f32 v[78:79], v[16:17], v[60:61], v[78:79] op_sel_hi:[1,0,1]
	v_pk_fma_f32 v[80:81], v[0:1], v[60:61], v[80:81] op_sel_hi:[1,0,1]
	;; [unrolled: 1-line block ×4, first 2 shown]
	v_pk_fma_f32 v[16:17], v[16:17], v[60:61], v[78:79] op_sel:[1,1,0] op_sel_hi:[0,1,1] neg_lo:[1,0,0]
	v_pk_fma_f32 v[0:1], v[0:1], v[60:61], v[80:81] op_sel:[1,1,0] op_sel_hi:[0,1,1] neg_lo:[1,0,0]
	;; [unrolled: 1-line block ×4, first 2 shown]
	v_pk_fma_f32 v[16:17], v[18:19], v[62:63], v[16:17] op_sel_hi:[1,0,1]
	v_pk_fma_f32 v[0:1], v[2:3], v[62:63], v[0:1] op_sel_hi:[1,0,1]
	;; [unrolled: 1-line block ×4, first 2 shown]
	v_mov_b32_e32 v6, v63
	v_pk_fma_f32 v[16:17], v[66:67], v[6:7], v[16:17] op_sel_hi:[1,0,1]
	v_pk_fma_f32 v[0:1], v[82:83], v[6:7], v[0:1] op_sel_hi:[1,0,1]
	;; [unrolled: 1-line block ×4, first 2 shown]
	s_waitcnt vmcnt(1)
	v_pk_fma_f32 v[6:7], v[32:33], v[44:45], v[16:17] op_sel_hi:[1,0,1]
	v_pk_fma_f32 v[0:1], v[20:21], v[44:45], v[0:1] op_sel_hi:[1,0,1]
	;; [unrolled: 1-line block ×4, first 2 shown]
	v_pk_fma_f32 v[6:7], v[32:33], v[44:45], v[6:7] op_sel:[1,1,0] op_sel_hi:[0,1,1] neg_lo:[1,0,0]
	v_pk_fma_f32 v[0:1], v[20:21], v[44:45], v[0:1] op_sel:[1,1,0] op_sel_hi:[0,1,1] neg_lo:[1,0,0]
	;; [unrolled: 1-line block ×4, first 2 shown]
	v_xor_b32_e32 v18, 0x80000000, v23
	v_mov_b32_e32 v19, v22
	v_xor_b32_e32 v2, 0x80000000, v55
	v_mov_b32_e32 v3, v54
	;; [unrolled: 2-line block ×3, first 2 shown]
	v_mov_b32_e32 v56, v47
	v_pk_fma_f32 v[6:7], v[34:35], v[46:47], v[6:7] op_sel_hi:[1,0,1]
	v_pk_fma_f32 v[0:1], v[22:23], v[46:47], v[0:1] op_sel_hi:[1,0,1]
	v_pk_fma_f32 v[16:17], v[54:55], v[46:47], v[16:17] op_sel_hi:[1,0,1]
	v_pk_fma_f32 v[4:5], v[38:39], v[46:47], v[4:5] op_sel_hi:[1,0,1]
	v_pk_fma_f32 v[6:7], v[58:59], v[56:57], v[6:7] op_sel_hi:[1,0,1]
	v_pk_fma_f32 v[0:1], v[18:19], v[56:57], v[0:1] op_sel_hi:[1,0,1]
	v_pk_fma_f32 v[2:3], v[2:3], v[56:57], v[16:17] op_sel_hi:[1,0,1]
	v_pk_fma_f32 v[4:5], v[30:31], v[56:57], v[4:5] op_sel_hi:[1,0,1]
	s_waitcnt vmcnt(0)
	v_pk_fma_f32 v[6:7], v[12:13], v[40:41], v[6:7] op_sel_hi:[1,0,1]
	v_pk_fma_f32 v[0:1], v[8:9], v[40:41], v[0:1] op_sel_hi:[1,0,1]
	;; [unrolled: 1-line block ×4, first 2 shown]
	v_pk_fma_f32 v[6:7], v[12:13], v[40:41], v[6:7] op_sel:[1,1,0] op_sel_hi:[0,1,1] neg_lo:[1,0,0]
	v_pk_fma_f32 v[0:1], v[8:9], v[40:41], v[0:1] op_sel:[1,1,0] op_sel_hi:[0,1,1] neg_lo:[1,0,0]
	;; [unrolled: 1-line block ×4, first 2 shown]
	v_xor_b32_e32 v78, 0x80000000, v11
	v_mov_b32_e32 v79, v10
	v_xor_b32_e32 v80, 0x80000000, v51
	v_mov_b32_e32 v81, v50
	;; [unrolled: 2-line block ×3, first 2 shown]
	v_mov_b32_e32 v60, v43
	v_pk_fma_f32 v[6:7], v[14:15], v[42:43], v[6:7] op_sel_hi:[1,0,1]
	v_pk_fma_f32 v[0:1], v[10:11], v[42:43], v[0:1] op_sel_hi:[1,0,1]
	;; [unrolled: 1-line block ×8, first 2 shown]
	s_andn2_b64 exec, exec, s[14:15]
	s_cbranch_execnz .LBB10_17
; %bb.18:
	s_or_b64 exec, exec, s[14:15]
.LBB10_19:
	s_or_b64 exec, exec, s[10:11]
.LBB10_20:
	s_or_b64 exec, exec, s[8:9]
	s_cbranch_execz .LBB10_22
	s_branch .LBB10_33
.LBB10_21:
                                        ; implicit-def: $vgpr89
                                        ; implicit-def: $vgpr81
                                        ; implicit-def: $vgpr83
                                        ; implicit-def: $vgpr79
.LBB10_22:
	v_mov_b32_e32 v89, 0
	v_mov_b32_e32 v88, 0
	;; [unrolled: 1-line block ×8, first 2 shown]
	s_and_saveexec_b64 s[8:9], s[4:5]
	s_cbranch_execz .LBB10_32
; %bb.23:
	v_add_u32_e32 v0, v93, v73
	v_subrev_u32_e32 v0, s16, v0
	v_add_u32_e32 v0, 4, v0
	v_max_i32_e32 v0, v0, v92
	v_not_b32_e32 v1, v93
	v_add3_u32 v0, s16, v0, v1
	v_sub_u32_e32 v0, v0, v73
	v_mov_b32_e32 v78, 0
	v_and_b32_e32 v1, 12, v0
	v_mov_b32_e32 v79, v78
	v_cmp_ne_u32_e32 vcc, 12, v1
	v_mov_b64_e32 v[88:89], v[78:79]
	v_mov_b64_e32 v[80:81], v[78:79]
	;; [unrolled: 1-line block ×3, first 2 shown]
	s_and_saveexec_b64 s[4:5], vcc
	s_cbranch_execz .LBB10_27
; %bb.24:
	v_lshrrev_b32_e32 v1, 2, v0
	v_add_u32_e32 v1, 1, v1
	v_and_b32_e32 v1, 3, v1
	v_sub_u32_e32 v1, 0, v1
	s_mov_b64 s[10:11], 0
	s_mov_b64 s[14:15], 0x200
	v_mov_b32_e32 v79, v78
	v_mov_b32_e32 v82, v78
	;; [unrolled: 1-line block ×7, first 2 shown]
.LBB10_25:                              ; =>This Inner Loop Header: Depth=1
	v_ashrrev_i32_e32 v75, 31, v74
	v_lshl_add_u64 v[30:31], v[74:75], 2, s[12:13]
	global_load_dword v32, v[30:31], off
	global_load_dwordx4 v[2:5], v[76:77], off
	global_load_dwordx4 v[6:9], v[76:77], off offset:32
	global_load_dwordx4 v[10:13], v[76:77], off offset:64
	;; [unrolled: 1-line block ×6, first 2 shown]
	v_add_co_u32_e32 v1, vcc, 1, v1
	v_add_u32_e32 v74, 4, v74
	s_or_b64 s[10:11], vcc, s[10:11]
	s_waitcnt vmcnt(7)
	v_subrev_u32_e32 v30, s16, v32
	v_lshlrev_b32_e32 v30, 2, v30
	v_ashrrev_i32_e32 v31, 31, v30
	v_lshl_add_u64 v[42:43], v[30:31], 3, s[2:3]
	global_load_dwordx4 v[30:33], v[42:43], off
	global_load_dwordx4 v[34:37], v[42:43], off offset:16
	global_load_dwordx4 v[38:41], v[76:77], off offset:112
	s_waitcnt vmcnt(9)
	v_xor_b32_e32 v42, 0x80000000, v5
	v_mov_b32_e32 v43, v4
	s_waitcnt vmcnt(4)
	v_xor_b32_e32 v50, 0x80000000, v25
	v_mov_b32_e32 v51, v24
	v_xor_b32_e32 v44, 0x80000000, v9
	v_mov_b32_e32 v45, v8
	;; [unrolled: 2-line block ×4, first 2 shown]
	s_waitcnt vmcnt(3)
	v_xor_b32_e32 v54, 0x80000000, v29
	v_mov_b32_e32 v55, v28
	v_xor_b32_e32 v48, 0x80000000, v17
	v_mov_b32_e32 v49, v16
	v_lshl_add_u64 v[76:77], v[76:77], 0, s[14:15]
	s_waitcnt vmcnt(2)
	v_pk_fma_f32 v[58:59], v[2:3], v[30:31], v[88:89] op_sel_hi:[1,0,1]
	v_pk_fma_f32 v[4:5], v[4:5], v[30:31], v[78:79] op_sel_hi:[1,0,1]
	;; [unrolled: 1-line block ×4, first 2 shown]
	v_pk_fma_f32 v[2:3], v[2:3], v[30:31], v[58:59] op_sel:[1,1,0] op_sel_hi:[0,1,1] neg_lo:[1,0,0]
	v_pk_fma_f32 v[4:5], v[42:43], v[30:31], v[4:5] op_sel:[0,1,0]
	v_pk_fma_f32 v[22:23], v[22:23], v[30:31], v[64:65] op_sel:[1,1,0] op_sel_hi:[0,1,1] neg_lo:[1,0,0]
	v_pk_fma_f32 v[24:25], v[50:51], v[30:31], v[24:25] op_sel:[0,1,0]
	v_mov_b32_e32 v60, v33
	v_pk_fma_f32 v[2:3], v[6:7], v[32:33], v[2:3] op_sel_hi:[1,0,1]
	v_pk_fma_f32 v[4:5], v[8:9], v[32:33], v[4:5] op_sel_hi:[1,0,1]
	;; [unrolled: 1-line block ×4, first 2 shown]
	v_pk_fma_f32 v[2:3], v[6:7], v[60:61], v[2:3] op_sel:[1,0,0] op_sel_hi:[0,0,1] neg_lo:[1,0,0]
	v_pk_fma_f32 v[4:5], v[44:45], v[60:61], v[4:5] op_sel_hi:[1,0,1]
	v_pk_fma_f32 v[6:7], v[18:19], v[60:61], v[8:9] op_sel:[1,0,0] op_sel_hi:[0,0,1] neg_lo:[1,0,0]
	v_pk_fma_f32 v[8:9], v[52:53], v[60:61], v[20:21] op_sel_hi:[1,0,1]
	s_waitcnt vmcnt(1)
	v_pk_fma_f32 v[2:3], v[10:11], v[34:35], v[2:3] op_sel_hi:[1,0,1]
	v_pk_fma_f32 v[4:5], v[12:13], v[34:35], v[4:5] op_sel_hi:[1,0,1]
	;; [unrolled: 1-line block ×4, first 2 shown]
	v_pk_fma_f32 v[2:3], v[10:11], v[34:35], v[2:3] op_sel:[1,1,0] op_sel_hi:[0,1,1] neg_lo:[1,0,0]
	v_pk_fma_f32 v[4:5], v[46:47], v[34:35], v[4:5] op_sel:[0,1,0]
	v_pk_fma_f32 v[6:7], v[26:27], v[34:35], v[6:7] op_sel:[1,1,0] op_sel_hi:[0,1,1] neg_lo:[1,0,0]
	v_pk_fma_f32 v[8:9], v[54:55], v[34:35], v[8:9] op_sel:[0,1,0]
	s_waitcnt vmcnt(0)
	v_xor_b32_e32 v56, 0x80000000, v41
	v_mov_b32_e32 v57, v40
	v_mov_b32_e32 v62, v37
	v_pk_fma_f32 v[2:3], v[14:15], v[36:37], v[2:3] op_sel_hi:[1,0,1]
	v_pk_fma_f32 v[4:5], v[16:17], v[36:37], v[4:5] op_sel_hi:[1,0,1]
	;; [unrolled: 1-line block ×4, first 2 shown]
	v_pk_fma_f32 v[88:89], v[14:15], v[62:63], v[2:3] op_sel:[1,0,0] op_sel_hi:[0,0,1] neg_lo:[1,0,0]
	v_pk_fma_f32 v[78:79], v[48:49], v[62:63], v[4:5] op_sel_hi:[1,0,1]
	v_pk_fma_f32 v[82:83], v[38:39], v[62:63], v[6:7] op_sel:[1,0,0] op_sel_hi:[0,0,1] neg_lo:[1,0,0]
	v_pk_fma_f32 v[80:81], v[56:57], v[62:63], v[8:9] op_sel_hi:[1,0,1]
	s_andn2_b64 exec, exec, s[10:11]
	s_cbranch_execnz .LBB10_25
; %bb.26:
	s_or_b64 exec, exec, s[10:11]
.LBB10_27:
	s_or_b64 exec, exec, s[4:5]
	v_cmp_lt_u32_e32 vcc, 11, v0
	s_and_saveexec_b64 s[4:5], vcc
	s_cbranch_execz .LBB10_31
; %bb.28:
	s_mov_b64 s[10:11], 0
	s_mov_b64 s[14:15], 0x800
.LBB10_29:                              ; =>This Inner Loop Header: Depth=1
	v_ashrrev_i32_e32 v75, 31, v74
	v_lshl_add_u64 v[56:57], v[74:75], 2, s[12:13]
	global_load_dwordx4 v[24:27], v[76:77], off offset:48
	global_load_dwordx4 v[36:39], v[76:77], off offset:32
	;; [unrolled: 1-line block ×3, first 2 shown]
	global_load_dwordx4 v[32:35], v[76:77], off
	global_load_dwordx4 v[4:7], v[76:77], off offset:112
	global_load_dwordx4 v[8:11], v[76:77], off offset:96
	;; [unrolled: 1-line block ×12, first 2 shown]
	global_load_dword v58, v[56:57], off
	global_load_dword v75, v[56:57], off offset:16
	global_load_dword v93, v[56:57], off offset:32
	;; [unrolled: 1-line block ×3, first 2 shown]
	v_add_u32_e32 v74, 16, v74
	v_cmp_ge_i32_e32 vcc, v74, v92
	s_or_b64 s[10:11], vcc, s[10:11]
	s_waitcnt vmcnt(18)
	v_xor_b32_e32 v90, 0x80000000, v39
	v_mov_b32_e32 v91, v38
	s_waitcnt vmcnt(16)
	v_xor_b32_e32 v56, 0x80000000, v35
	v_mov_b32_e32 v57, v34
	s_waitcnt vmcnt(3)
	v_subrev_u32_e32 v58, s16, v58
	v_lshlrev_b32_e32 v58, 2, v58
	v_ashrrev_i32_e32 v59, 31, v58
	v_lshl_add_u64 v[62:63], v[58:59], 3, s[2:3]
	global_load_dwordx4 v[58:61], v[62:63], off
	global_load_dwordx4 v[94:97], v[62:63], off offset:16
	s_waitcnt vmcnt(1)
	v_pk_fma_f32 v[62:63], v[32:33], v[58:59], v[88:89] op_sel_hi:[1,0,1]
	v_pk_fma_f32 v[78:79], v[34:35], v[58:59], v[78:79] op_sel_hi:[1,0,1]
	v_pk_fma_f32 v[62:63], v[32:33], v[58:59], v[62:63] op_sel:[1,1,0] op_sel_hi:[0,1,1] neg_lo:[1,0,0]
	v_xor_b32_e32 v88, 0x80000000, v55
	v_mov_b32_e32 v89, v54
	v_pk_fma_f32 v[82:83], v[52:53], v[58:59], v[82:83] op_sel_hi:[1,0,1]
	v_pk_fma_f32 v[80:81], v[54:55], v[58:59], v[80:81] op_sel_hi:[1,0,1]
	v_pk_fma_f32 v[82:83], v[52:53], v[58:59], v[82:83] op_sel:[1,1,0] op_sel_hi:[0,1,1] neg_lo:[1,0,0]
	v_pk_fma_f32 v[78:79], v[56:57], v[58:59], v[78:79] op_sel:[0,1,0]
	v_pk_fma_f32 v[80:81], v[88:89], v[58:59], v[80:81] op_sel:[0,1,0]
	v_pk_fma_f32 v[62:63], v[36:37], v[60:61], v[62:63] op_sel_hi:[1,0,1]
	v_mov_b32_e32 v88, v61
	v_pk_fma_f32 v[78:79], v[38:39], v[60:61], v[78:79] op_sel_hi:[1,0,1]
	v_pk_fma_f32 v[82:83], v[24:25], v[60:61], v[82:83] op_sel_hi:[1,0,1]
	;; [unrolled: 1-line block ×3, first 2 shown]
	v_pk_fma_f32 v[36:37], v[36:37], v[88:89], v[62:63] op_sel:[1,0,0] op_sel_hi:[0,0,1] neg_lo:[1,0,0]
	v_xor_b32_e32 v38, 0x80000000, v27
	v_mov_b32_e32 v39, v26
	v_pk_fma_f32 v[82:83], v[24:25], v[88:89], v[82:83] op_sel:[1,0,0] op_sel_hi:[0,0,1] neg_lo:[1,0,0]
	v_pk_fma_f32 v[78:79], v[90:91], v[88:89], v[78:79] op_sel_hi:[1,0,1]
	v_pk_fma_f32 v[80:81], v[38:39], v[88:89], v[80:81] op_sel_hi:[1,0,1]
	s_waitcnt vmcnt(0)
	v_pk_fma_f32 v[36:37], v[40:41], v[94:95], v[36:37] op_sel_hi:[1,0,1]
	v_xor_b32_e32 v88, 0x80000000, v43
	v_mov_b32_e32 v89, v42
	v_pk_fma_f32 v[42:43], v[42:43], v[94:95], v[78:79] op_sel_hi:[1,0,1]
	v_pk_fma_f32 v[78:79], v[40:41], v[94:95], v[36:37] op_sel:[1,1,0] op_sel_hi:[0,1,1] neg_lo:[1,0,0]
	v_xor_b32_e32 v40, 0x80000000, v23
	v_mov_b32_e32 v41, v22
	v_pk_fma_f32 v[82:83], v[20:21], v[94:95], v[82:83] op_sel_hi:[1,0,1]
	v_pk_fma_f32 v[80:81], v[22:23], v[94:95], v[80:81] op_sel_hi:[1,0,1]
	v_pk_fma_f32 v[82:83], v[20:21], v[94:95], v[82:83] op_sel:[1,1,0] op_sel_hi:[0,1,1] neg_lo:[1,0,0]
	v_pk_fma_f32 v[88:89], v[88:89], v[94:95], v[42:43] op_sel:[0,1,0]
	v_pk_fma_f32 v[80:81], v[40:41], v[94:95], v[80:81] op_sel:[0,1,0]
	v_pk_fma_f32 v[88:89], v[10:11], v[96:97], v[88:89] op_sel_hi:[1,0,1]
	v_pk_fma_f32 v[82:83], v[4:5], v[96:97], v[82:83] op_sel_hi:[1,0,1]
	;; [unrolled: 1-line block ×3, first 2 shown]
	v_mov_b32_e32 v94, v97
	v_xor_b32_e32 v80, 0x80000000, v11
	v_mov_b32_e32 v11, v6
	v_subrev_u32_e32 v6, s16, v75
	v_pk_fma_f32 v[82:83], v[4:5], v[94:95], v[82:83] op_sel:[1,0,0] op_sel_hi:[0,0,1] neg_lo:[1,0,0]
	v_lshlrev_b32_e32 v4, 2, v6
	v_ashrrev_i32_e32 v5, 31, v4
	v_pk_fma_f32 v[78:79], v[8:9], v[96:97], v[78:79] op_sel_hi:[1,0,1]
	v_mov_b32_e32 v81, v10
	v_lshl_add_u64 v[4:5], v[4:5], 3, s[2:3]
	v_pk_fma_f32 v[8:9], v[8:9], v[94:95], v[78:79] op_sel:[1,0,0] op_sel_hi:[0,0,1] neg_lo:[1,0,0]
	v_xor_b32_e32 v10, 0x80000000, v7
	v_pk_fma_f32 v[6:7], v[80:81], v[94:95], v[88:89] op_sel_hi:[1,0,1]
	global_load_dwordx4 v[78:81], v[4:5], off
	v_pk_fma_f32 v[10:11], v[10:11], v[94:95], v[90:91] op_sel_hi:[1,0,1]
	global_load_dwordx4 v[88:91], v[4:5], off offset:16
	v_xor_b32_e32 v96, 0x80000000, v47
	v_mov_b32_e32 v97, v46
	v_xor_b32_e32 v94, 0x80000000, v31
	v_mov_b32_e32 v95, v30
	global_load_dwordx4 v[56:59], v[76:77], off offset:1040
	global_load_dwordx4 v[60:63], v[76:77], off offset:1024
	v_subrev_u32_e32 v75, s16, v102
	global_load_dwordx4 v[32:35], v[76:77], off offset:1072
	global_load_dwordx4 v[52:55], v[76:77], off offset:1056
	;; [unrolled: 1-line block ×6, first 2 shown]
	s_waitcnt vmcnt(9)
	v_pk_fma_f32 v[4:5], v[44:45], v[78:79], v[8:9] op_sel_hi:[1,0,1]
	v_pk_fma_f32 v[46:47], v[46:47], v[78:79], v[6:7] op_sel_hi:[1,0,1]
	;; [unrolled: 1-line block ×4, first 2 shown]
	v_pk_fma_f32 v[44:45], v[44:45], v[78:79], v[4:5] op_sel:[1,1,0] op_sel_hi:[0,1,1] neg_lo:[1,0,0]
	v_pk_fma_f32 v[82:83], v[28:29], v[78:79], v[8:9] op_sel:[1,1,0] op_sel_hi:[0,1,1] neg_lo:[1,0,0]
	v_pk_fma_f32 v[46:47], v[96:97], v[78:79], v[46:47] op_sel:[0,1,0]
	v_pk_fma_f32 v[78:79], v[94:95], v[78:79], v[30:31] op_sel:[0,1,0]
	v_pk_fma_f32 v[44:45], v[16:17], v[80:81], v[44:45] op_sel_hi:[1,0,1]
	v_pk_fma_f32 v[46:47], v[18:19], v[80:81], v[46:47] op_sel_hi:[1,0,1]
	;; [unrolled: 1-line block ×4, first 2 shown]
	v_mov_b32_e32 v80, v81
	v_xor_b32_e32 v94, 0x80000000, v19
	v_mov_b32_e32 v95, v18
	v_xor_b32_e32 v96, 0x80000000, v15
	v_mov_b32_e32 v97, v14
	v_pk_fma_f32 v[44:45], v[16:17], v[80:81], v[44:45] op_sel:[1,0,0] op_sel_hi:[0,0,1] neg_lo:[1,0,0]
	v_pk_fma_f32 v[82:83], v[12:13], v[80:81], v[82:83] op_sel:[1,0,0] op_sel_hi:[0,0,1] neg_lo:[1,0,0]
	v_pk_fma_f32 v[46:47], v[94:95], v[80:81], v[46:47] op_sel_hi:[1,0,1]
	v_pk_fma_f32 v[78:79], v[96:97], v[80:81], v[78:79] op_sel_hi:[1,0,1]
	v_xor_b32_e32 v80, 0x80000000, v87
	v_mov_b32_e32 v81, v86
	s_waitcnt vmcnt(8)
	v_pk_fma_f32 v[44:45], v[84:85], v[88:89], v[44:45] op_sel_hi:[1,0,1]
	v_pk_fma_f32 v[86:87], v[86:87], v[88:89], v[46:47] op_sel_hi:[1,0,1]
	v_xor_b32_e32 v94, 0x80000000, v67
	v_mov_b32_e32 v95, v66
	v_pk_fma_f32 v[82:83], v[64:65], v[88:89], v[82:83] op_sel_hi:[1,0,1]
	v_pk_fma_f32 v[78:79], v[66:67], v[88:89], v[78:79] op_sel_hi:[1,0,1]
	v_pk_fma_f32 v[84:85], v[84:85], v[88:89], v[44:45] op_sel:[1,1,0] op_sel_hi:[0,1,1] neg_lo:[1,0,0]
	v_pk_fma_f32 v[96:97], v[64:65], v[88:89], v[82:83] op_sel:[1,1,0] op_sel_hi:[0,1,1] neg_lo:[1,0,0]
	v_pk_fma_f32 v[86:87], v[80:81], v[88:89], v[86:87] op_sel:[0,1,0]
	v_pk_fma_f32 v[78:79], v[94:95], v[88:89], v[78:79] op_sel:[0,1,0]
	v_pk_fma_f32 v[84:85], v[48:49], v[90:91], v[84:85] op_sel_hi:[1,0,1]
	v_pk_fma_f32 v[86:87], v[50:51], v[90:91], v[86:87] op_sel_hi:[1,0,1]
	;; [unrolled: 1-line block ×4, first 2 shown]
	v_mov_b32_e32 v90, v91
	v_pk_fma_f32 v[88:89], v[0:1], v[90:91], v[88:89] op_sel:[1,0,0] op_sel_hi:[0,0,1] neg_lo:[1,0,0]
	v_subrev_u32_e32 v0, s16, v93
	v_lshlrev_b32_e32 v0, 2, v0
	v_ashrrev_i32_e32 v1, 31, v0
	v_pk_fma_f32 v[84:85], v[48:49], v[90:91], v[84:85] op_sel:[1,0,0] op_sel_hi:[0,0,1] neg_lo:[1,0,0]
	v_xor_b32_e32 v48, 0x80000000, v3
	v_mov_b32_e32 v49, v2
	v_lshl_add_u64 v[102:103], v[0:1], 3, s[2:3]
	global_load_dwordx4 v[4:7], v[76:77], off offset:1584
	global_load_dwordx4 v[8:11], v[76:77], off offset:1568
	;; [unrolled: 1-line block ×8, first 2 shown]
	v_xor_b32_e32 v94, 0x80000000, v51
	v_mov_b32_e32 v95, v50
	v_pk_fma_f32 v[78:79], v[48:49], v[90:91], v[78:79] op_sel_hi:[1,0,1]
	global_load_dwordx4 v[0:3], v[102:103], off
	global_load_dwordx4 v[48:51], v[102:103], off offset:16
	v_pk_fma_f32 v[86:87], v[94:95], v[90:91], v[86:87] op_sel_hi:[1,0,1]
	s_waitcnt vmcnt(16)
	v_xor_b32_e32 v96, 0x80000000, v63
	v_mov_b32_e32 v97, v62
	v_xor_b32_e32 v98, 0x80000000, v59
	v_mov_b32_e32 v99, v58
	s_waitcnt vmcnt(14)
	v_xor_b32_e32 v100, 0x80000000, v55
	v_mov_b32_e32 v101, v54
	v_lshl_add_u64 v[76:77], v[76:77], 0, s[14:15]
	s_waitcnt vmcnt(8)
	v_xor_b32_e32 v94, 0x80000000, v11
	v_mov_b32_e32 v95, v10
	s_waitcnt vmcnt(1)
	v_pk_fma_f32 v[84:85], v[60:61], v[0:1], v[84:85] op_sel_hi:[1,0,1]
	s_nop 0
	v_pk_fma_f32 v[84:85], v[60:61], v[0:1], v[84:85] op_sel:[1,1,0] op_sel_hi:[0,1,1] neg_lo:[1,0,0]
	v_lshlrev_b32_e32 v60, 2, v75
	v_ashrrev_i32_e32 v61, 31, v60
	v_lshl_add_u64 v[90:91], v[60:61], 3, s[2:3]
	v_pk_fma_f32 v[60:61], v[56:57], v[0:1], v[88:89] op_sel_hi:[1,0,1]
	v_pk_fma_f32 v[86:87], v[62:63], v[0:1], v[86:87] op_sel_hi:[1,0,1]
	v_pk_fma_f32 v[78:79], v[58:59], v[0:1], v[78:79] op_sel_hi:[1,0,1]
	v_pk_fma_f32 v[88:89], v[56:57], v[0:1], v[60:61] op_sel:[1,1,0] op_sel_hi:[0,1,1] neg_lo:[1,0,0]
	global_load_dwordx4 v[56:59], v[90:91], off
	global_load_dwordx4 v[60:63], v[90:91], off offset:16
	v_pk_fma_f32 v[86:87], v[96:97], v[0:1], v[86:87] op_sel:[0,1,0]
	v_pk_fma_f32 v[0:1], v[98:99], v[0:1], v[78:79] op_sel:[0,1,0]
	v_xor_b32_e32 v90, 0x80000000, v35
	v_mov_b32_e32 v91, v34
	v_pk_fma_f32 v[84:85], v[52:53], v[2:3], v[84:85] op_sel_hi:[1,0,1]
	v_pk_fma_f32 v[54:55], v[54:55], v[2:3], v[86:87] op_sel_hi:[1,0,1]
	;; [unrolled: 1-line block ×4, first 2 shown]
	v_mov_b32_e32 v2, v3
	v_pk_fma_f32 v[52:53], v[52:53], v[2:3], v[84:85] op_sel:[1,0,0] op_sel_hi:[0,0,1] neg_lo:[1,0,0]
	v_pk_fma_f32 v[32:33], v[32:33], v[2:3], v[86:87] op_sel:[1,0,0] op_sel_hi:[0,0,1] neg_lo:[1,0,0]
	v_pk_fma_f32 v[54:55], v[100:101], v[2:3], v[54:55] op_sel_hi:[1,0,1]
	v_pk_fma_f32 v[0:1], v[90:91], v[2:3], v[0:1] op_sel_hi:[1,0,1]
	v_xor_b32_e32 v78, 0x80000000, v43
	v_mov_b32_e32 v79, v42
	v_xor_b32_e32 v84, 0x80000000, v23
	v_mov_b32_e32 v85, v22
	s_waitcnt vmcnt(2)
	v_pk_fma_f32 v[52:53], v[40:41], v[48:49], v[52:53] op_sel_hi:[1,0,1]
	v_pk_fma_f32 v[42:43], v[42:43], v[48:49], v[54:55] op_sel_hi:[1,0,1]
	;; [unrolled: 1-line block ×4, first 2 shown]
	v_pk_fma_f32 v[40:41], v[40:41], v[48:49], v[52:53] op_sel:[1,1,0] op_sel_hi:[0,1,1] neg_lo:[1,0,0]
	v_pk_fma_f32 v[20:21], v[20:21], v[48:49], v[32:33] op_sel:[1,1,0] op_sel_hi:[0,1,1] neg_lo:[1,0,0]
	v_pk_fma_f32 v[42:43], v[78:79], v[48:49], v[42:43] op_sel:[0,1,0]
	v_pk_fma_f32 v[0:1], v[84:85], v[48:49], v[0:1] op_sel:[0,1,0]
	v_xor_b32_e32 v34, 0x80000000, v39
	v_mov_b32_e32 v35, v38
	v_xor_b32_e32 v88, 0x80000000, v27
	v_mov_b32_e32 v89, v26
	v_mov_b32_e32 v32, v51
	v_pk_fma_f32 v[40:41], v[36:37], v[50:51], v[40:41] op_sel_hi:[1,0,1]
	v_pk_fma_f32 v[38:39], v[38:39], v[50:51], v[42:43] op_sel_hi:[1,0,1]
	v_pk_fma_f32 v[20:21], v[24:25], v[50:51], v[20:21] op_sel_hi:[1,0,1]
	v_pk_fma_f32 v[0:1], v[26:27], v[50:51], v[0:1] op_sel_hi:[1,0,1]
	v_pk_fma_f32 v[26:27], v[36:37], v[32:33], v[40:41] op_sel:[1,0,0] op_sel_hi:[0,0,1] neg_lo:[1,0,0]
	v_pk_fma_f32 v[20:21], v[24:25], v[32:33], v[20:21] op_sel:[1,0,0] op_sel_hi:[0,0,1] neg_lo:[1,0,0]
	v_pk_fma_f32 v[24:25], v[34:35], v[32:33], v[38:39] op_sel_hi:[1,0,1]
	v_pk_fma_f32 v[0:1], v[88:89], v[32:33], v[0:1] op_sel_hi:[1,0,1]
	v_xor_b32_e32 v86, 0x80000000, v15
	v_mov_b32_e32 v87, v14
	v_xor_b32_e32 v90, 0x80000000, v31
	v_mov_b32_e32 v91, v30
	;; [unrolled: 2-line block ×7, first 2 shown]
	s_waitcnt vmcnt(1)
	v_pk_fma_f32 v[26:27], v[12:13], v[56:57], v[26:27] op_sel_hi:[1,0,1]
	v_pk_fma_f32 v[14:15], v[14:15], v[56:57], v[24:25] op_sel_hi:[1,0,1]
	;; [unrolled: 1-line block ×4, first 2 shown]
	v_pk_fma_f32 v[12:13], v[12:13], v[56:57], v[26:27] op_sel:[1,1,0] op_sel_hi:[0,1,1] neg_lo:[1,0,0]
	v_pk_fma_f32 v[14:15], v[86:87], v[56:57], v[14:15] op_sel:[0,1,0]
	v_pk_fma_f32 v[20:21], v[28:29], v[56:57], v[20:21] op_sel:[1,1,0] op_sel_hi:[0,1,1] neg_lo:[1,0,0]
	v_pk_fma_f32 v[0:1], v[90:91], v[56:57], v[0:1] op_sel:[0,1,0]
	v_mov_b32_e32 v78, v59
	v_pk_fma_f32 v[12:13], v[8:9], v[58:59], v[12:13] op_sel_hi:[1,0,1]
	v_pk_fma_f32 v[10:11], v[10:11], v[58:59], v[14:15] op_sel_hi:[1,0,1]
	;; [unrolled: 1-line block ×4, first 2 shown]
	v_pk_fma_f32 v[6:7], v[8:9], v[78:79], v[12:13] op_sel:[1,0,0] op_sel_hi:[0,0,1] neg_lo:[1,0,0]
	v_pk_fma_f32 v[8:9], v[94:95], v[78:79], v[10:11] op_sel_hi:[1,0,1]
	v_pk_fma_f32 v[4:5], v[4:5], v[78:79], v[14:15] op_sel:[1,0,0] op_sel_hi:[0,0,1] neg_lo:[1,0,0]
	v_pk_fma_f32 v[0:1], v[52:53], v[78:79], v[0:1] op_sel_hi:[1,0,1]
	s_waitcnt vmcnt(0)
	v_pk_fma_f32 v[6:7], v[64:65], v[60:61], v[6:7] op_sel_hi:[1,0,1]
	v_pk_fma_f32 v[8:9], v[66:67], v[60:61], v[8:9] op_sel_hi:[1,0,1]
	;; [unrolled: 1-line block ×4, first 2 shown]
	v_pk_fma_f32 v[6:7], v[64:65], v[60:61], v[6:7] op_sel:[1,1,0] op_sel_hi:[0,1,1] neg_lo:[1,0,0]
	v_pk_fma_f32 v[8:9], v[96:97], v[60:61], v[8:9] op_sel:[0,1,0]
	v_pk_fma_f32 v[4:5], v[44:45], v[60:61], v[4:5] op_sel:[1,1,0] op_sel_hi:[0,1,1] neg_lo:[1,0,0]
	v_pk_fma_f32 v[0:1], v[54:55], v[60:61], v[0:1] op_sel:[0,1,0]
	v_mov_b32_e32 v48, v63
	v_pk_fma_f32 v[6:7], v[16:17], v[62:63], v[6:7] op_sel_hi:[1,0,1]
	v_pk_fma_f32 v[8:9], v[18:19], v[62:63], v[8:9] op_sel_hi:[1,0,1]
	;; [unrolled: 1-line block ×4, first 2 shown]
	v_pk_fma_f32 v[88:89], v[16:17], v[48:49], v[6:7] op_sel:[1,0,0] op_sel_hi:[0,0,1] neg_lo:[1,0,0]
	v_pk_fma_f32 v[78:79], v[2:3], v[48:49], v[8:9] op_sel_hi:[1,0,1]
	v_pk_fma_f32 v[82:83], v[80:81], v[48:49], v[4:5] op_sel:[1,0,0] op_sel_hi:[0,0,1] neg_lo:[1,0,0]
	v_pk_fma_f32 v[80:81], v[22:23], v[48:49], v[0:1] op_sel_hi:[1,0,1]
	s_andn2_b64 exec, exec, s[10:11]
	s_cbranch_execnz .LBB10_29
; %bb.30:
	s_or_b64 exec, exec, s[10:11]
.LBB10_31:
	s_or_b64 exec, exec, s[4:5]
.LBB10_32:
	s_or_b64 exec, exec, s[8:9]
.LBB10_33:
	v_mov_b32_dpp v6, v79 row_shr:1 row_mask:0xf bank_mask:0xf
	v_add_f32_e32 v7, v79, v6
	v_mov_b32_dpp v0, v88 row_shr:1 row_mask:0xf bank_mask:0xf
	v_mov_b32_dpp v6, v82 row_shr:1 row_mask:0xf bank_mask:0xf
	v_add_f32_e32 v9, v82, v6
	v_mov_b32_dpp v2, v89 row_shr:1 row_mask:0xf bank_mask:0xf
	;; [unrolled: 3-line block ×3, first 2 shown]
	v_mov_b32_dpp v6, v80 row_shr:1 row_mask:0xf bank_mask:0xf
	v_add_f32_e32 v15, v80, v6
	v_add_f32_e32 v0, v88, v0
	v_mov_b32_dpp v6, v81 row_shr:1 row_mask:0xf bank_mask:0xf
	v_add_f32_e32 v2, v89, v2
	v_add_f32_e32 v4, v78, v4
	;; [unrolled: 1-line block ×3, first 2 shown]
	v_mov_b32_dpp v1, v0 row_shr:2 row_mask:0xf bank_mask:0xf
	v_mov_b32_dpp v3, v2 row_shr:2 row_mask:0xf bank_mask:0xf
	;; [unrolled: 1-line block ×8, first 2 shown]
	v_cmp_eq_u32_e32 vcc, 3, v73
	s_and_b64 exec, exec, vcc
	s_cbranch_execz .LBB10_6
; %bb.34:
	s_load_dwordx2 s[0:1], s[0:1], 0x50
	v_cmp_eq_f32_e32 vcc, 0, v70
	s_xor_b64 s[2:3], s[6:7], -1
	v_add_f32_e32 v6, v0, v1
	v_add_f32_e32 v14, v2, v3
	;; [unrolled: 1-line block ×8, first 2 shown]
	s_and_b64 s[2:3], vcc, s[2:3]
	v_lshlrev_b32_e32 v16, 2, v72
	s_and_saveexec_b64 s[4:5], s[2:3]
	s_xor_b64 s[2:3], exec, s[4:5]
	s_cbranch_execz .LBB10_36
; %bb.35:
	v_xor_b32_e32 v18, 0x80000000, v69
	v_mov_b32_e32 v19, v68
	v_pk_mul_f32 v[14:15], v[14:15], v[18:19] op_sel_hi:[0,1]
	v_ashrrev_i32_e32 v17, 31, v16
	v_pk_fma_f32 v[14:15], v[68:69], v[6:7], v[14:15] op_sel_hi:[1,0,1]
	v_pk_mul_f32 v[6:7], v[12:13], v[18:19] op_sel_hi:[0,1]
	s_waitcnt lgkmcnt(0)
	v_lshl_add_u64 v[20:21], v[16:17], 3, s[0:1]
	v_pk_fma_f32 v[16:17], v[68:69], v[4:5], v[6:7] op_sel_hi:[1,0,1]
	v_pk_mul_f32 v[4:5], v[10:11], v[18:19] op_sel_hi:[0,1]
	v_pk_fma_f32 v[2:3], v[68:69], v[2:3], v[4:5] op_sel_hi:[1,0,1]
	v_pk_mul_f32 v[4:5], v[8:9], v[18:19] op_sel_hi:[0,1]
	v_pk_fma_f32 v[4:5], v[68:69], v[0:1], v[4:5] op_sel_hi:[1,0,1]
	global_store_dwordx4 v[20:21], v[14:17], off
	global_store_dwordx4 v[20:21], v[2:5], off offset:16
                                        ; implicit-def: $vgpr6
                                        ; implicit-def: $vgpr14
                                        ; implicit-def: $vgpr4
                                        ; implicit-def: $vgpr12
                                        ; implicit-def: $vgpr2
                                        ; implicit-def: $vgpr10
                                        ; implicit-def: $vgpr0
                                        ; implicit-def: $vgpr8
                                        ; implicit-def: $vgpr68_vgpr69
                                        ; implicit-def: $vgpr70_vgpr71
                                        ; implicit-def: $vgpr16
.LBB10_36:
	s_andn2_saveexec_b64 s[2:3], s[2:3]
	s_cbranch_execz .LBB10_6
; %bb.37:
	v_ashrrev_i32_e32 v17, 31, v16
	s_waitcnt lgkmcnt(0)
	v_lshl_add_u64 v[24:25], v[16:17], 3, s[0:1]
	global_load_dwordx4 v[16:19], v[24:25], off
	global_load_dwordx4 v[20:23], v[24:25], off offset:16
	v_xor_b32_e32 v26, 0x80000000, v69
	v_mov_b32_e32 v27, v68
	v_pk_mul_f32 v[14:15], v[14:15], v[26:27] op_sel_hi:[0,1]
	v_pk_mul_f32 v[12:13], v[12:13], v[26:27] op_sel_hi:[0,1]
	;; [unrolled: 1-line block ×4, first 2 shown]
	v_pk_fma_f32 v[6:7], v[68:69], v[6:7], v[14:15] op_sel_hi:[1,0,1]
	v_pk_fma_f32 v[4:5], v[68:69], v[4:5], v[12:13] op_sel_hi:[1,0,1]
	v_xor_b32_e32 v28, 0x80000000, v71
	v_mov_b32_e32 v29, v70
	v_pk_fma_f32 v[2:3], v[68:69], v[2:3], v[10:11] op_sel_hi:[1,0,1]
	v_pk_fma_f32 v[0:1], v[68:69], v[0:1], v[8:9] op_sel_hi:[1,0,1]
	s_waitcnt vmcnt(1)
	v_pk_fma_f32 v[6:7], v[70:71], v[16:17], v[6:7] op_sel_hi:[1,0,1]
	v_pk_fma_f32 v[4:5], v[70:71], v[18:19], v[4:5] op_sel_hi:[1,0,1]
	v_mov_b32_e32 v8, v19
	s_waitcnt vmcnt(0)
	v_pk_fma_f32 v[10:11], v[70:71], v[20:21], v[2:3] op_sel_hi:[1,0,1]
	v_pk_fma_f32 v[12:13], v[70:71], v[22:23], v[0:1] op_sel_hi:[1,0,1]
	v_mov_b32_e32 v14, v23
	v_pk_fma_f32 v[0:1], v[28:29], v[16:17], v[6:7] op_sel:[0,1,0]
	v_pk_fma_f32 v[2:3], v[28:29], v[8:9], v[4:5] op_sel_hi:[1,0,1]
	v_pk_fma_f32 v[4:5], v[28:29], v[20:21], v[10:11] op_sel:[0,1,0]
	v_pk_fma_f32 v[6:7], v[28:29], v[14:15], v[12:13] op_sel_hi:[1,0,1]
	global_store_dwordx4 v[24:25], v[0:3], off
	global_store_dwordx4 v[24:25], v[4:7], off offset:16
	s_endpgm
	.section	.rodata,"a",@progbits
	.p2align	6, 0x0
	.amdhsa_kernel _ZN9rocsparseL18bsrxmvn_4x4_kernelILj128ELj4E21rocsparse_complex_numIfEiiS2_S2_S2_EEvT3_20rocsparse_direction_NS_24const_host_device_scalarIT1_EES3_PKS3_PKT2_SC_S9_PKT4_PKT5_S7_PT6_21rocsparse_index_base_b
		.amdhsa_group_segment_fixed_size 0
		.amdhsa_private_segment_fixed_size 0
		.amdhsa_kernarg_size 96
		.amdhsa_user_sgpr_count 2
		.amdhsa_user_sgpr_dispatch_ptr 0
		.amdhsa_user_sgpr_queue_ptr 0
		.amdhsa_user_sgpr_kernarg_segment_ptr 1
		.amdhsa_user_sgpr_dispatch_id 0
		.amdhsa_user_sgpr_kernarg_preload_length 0
		.amdhsa_user_sgpr_kernarg_preload_offset 0
		.amdhsa_user_sgpr_private_segment_size 0
		.amdhsa_uses_dynamic_stack 0
		.amdhsa_enable_private_segment 0
		.amdhsa_system_sgpr_workgroup_id_x 1
		.amdhsa_system_sgpr_workgroup_id_y 0
		.amdhsa_system_sgpr_workgroup_id_z 0
		.amdhsa_system_sgpr_workgroup_info 0
		.amdhsa_system_vgpr_workitem_id 0
		.amdhsa_next_free_vgpr 104
		.amdhsa_next_free_sgpr 20
		.amdhsa_accum_offset 104
		.amdhsa_reserve_vcc 1
		.amdhsa_float_round_mode_32 0
		.amdhsa_float_round_mode_16_64 0
		.amdhsa_float_denorm_mode_32 3
		.amdhsa_float_denorm_mode_16_64 3
		.amdhsa_dx10_clamp 1
		.amdhsa_ieee_mode 1
		.amdhsa_fp16_overflow 0
		.amdhsa_tg_split 0
		.amdhsa_exception_fp_ieee_invalid_op 0
		.amdhsa_exception_fp_denorm_src 0
		.amdhsa_exception_fp_ieee_div_zero 0
		.amdhsa_exception_fp_ieee_overflow 0
		.amdhsa_exception_fp_ieee_underflow 0
		.amdhsa_exception_fp_ieee_inexact 0
		.amdhsa_exception_int_div_zero 0
	.end_amdhsa_kernel
	.section	.text._ZN9rocsparseL18bsrxmvn_4x4_kernelILj128ELj4E21rocsparse_complex_numIfEiiS2_S2_S2_EEvT3_20rocsparse_direction_NS_24const_host_device_scalarIT1_EES3_PKS3_PKT2_SC_S9_PKT4_PKT5_S7_PT6_21rocsparse_index_base_b,"axG",@progbits,_ZN9rocsparseL18bsrxmvn_4x4_kernelILj128ELj4E21rocsparse_complex_numIfEiiS2_S2_S2_EEvT3_20rocsparse_direction_NS_24const_host_device_scalarIT1_EES3_PKS3_PKT2_SC_S9_PKT4_PKT5_S7_PT6_21rocsparse_index_base_b,comdat
.Lfunc_end10:
	.size	_ZN9rocsparseL18bsrxmvn_4x4_kernelILj128ELj4E21rocsparse_complex_numIfEiiS2_S2_S2_EEvT3_20rocsparse_direction_NS_24const_host_device_scalarIT1_EES3_PKS3_PKT2_SC_S9_PKT4_PKT5_S7_PT6_21rocsparse_index_base_b, .Lfunc_end10-_ZN9rocsparseL18bsrxmvn_4x4_kernelILj128ELj4E21rocsparse_complex_numIfEiiS2_S2_S2_EEvT3_20rocsparse_direction_NS_24const_host_device_scalarIT1_EES3_PKS3_PKT2_SC_S9_PKT4_PKT5_S7_PT6_21rocsparse_index_base_b
                                        ; -- End function
	.set _ZN9rocsparseL18bsrxmvn_4x4_kernelILj128ELj4E21rocsparse_complex_numIfEiiS2_S2_S2_EEvT3_20rocsparse_direction_NS_24const_host_device_scalarIT1_EES3_PKS3_PKT2_SC_S9_PKT4_PKT5_S7_PT6_21rocsparse_index_base_b.num_vgpr, 104
	.set _ZN9rocsparseL18bsrxmvn_4x4_kernelILj128ELj4E21rocsparse_complex_numIfEiiS2_S2_S2_EEvT3_20rocsparse_direction_NS_24const_host_device_scalarIT1_EES3_PKS3_PKT2_SC_S9_PKT4_PKT5_S7_PT6_21rocsparse_index_base_b.num_agpr, 0
	.set _ZN9rocsparseL18bsrxmvn_4x4_kernelILj128ELj4E21rocsparse_complex_numIfEiiS2_S2_S2_EEvT3_20rocsparse_direction_NS_24const_host_device_scalarIT1_EES3_PKS3_PKT2_SC_S9_PKT4_PKT5_S7_PT6_21rocsparse_index_base_b.numbered_sgpr, 20
	.set _ZN9rocsparseL18bsrxmvn_4x4_kernelILj128ELj4E21rocsparse_complex_numIfEiiS2_S2_S2_EEvT3_20rocsparse_direction_NS_24const_host_device_scalarIT1_EES3_PKS3_PKT2_SC_S9_PKT4_PKT5_S7_PT6_21rocsparse_index_base_b.num_named_barrier, 0
	.set _ZN9rocsparseL18bsrxmvn_4x4_kernelILj128ELj4E21rocsparse_complex_numIfEiiS2_S2_S2_EEvT3_20rocsparse_direction_NS_24const_host_device_scalarIT1_EES3_PKS3_PKT2_SC_S9_PKT4_PKT5_S7_PT6_21rocsparse_index_base_b.private_seg_size, 0
	.set _ZN9rocsparseL18bsrxmvn_4x4_kernelILj128ELj4E21rocsparse_complex_numIfEiiS2_S2_S2_EEvT3_20rocsparse_direction_NS_24const_host_device_scalarIT1_EES3_PKS3_PKT2_SC_S9_PKT4_PKT5_S7_PT6_21rocsparse_index_base_b.uses_vcc, 1
	.set _ZN9rocsparseL18bsrxmvn_4x4_kernelILj128ELj4E21rocsparse_complex_numIfEiiS2_S2_S2_EEvT3_20rocsparse_direction_NS_24const_host_device_scalarIT1_EES3_PKS3_PKT2_SC_S9_PKT4_PKT5_S7_PT6_21rocsparse_index_base_b.uses_flat_scratch, 0
	.set _ZN9rocsparseL18bsrxmvn_4x4_kernelILj128ELj4E21rocsparse_complex_numIfEiiS2_S2_S2_EEvT3_20rocsparse_direction_NS_24const_host_device_scalarIT1_EES3_PKS3_PKT2_SC_S9_PKT4_PKT5_S7_PT6_21rocsparse_index_base_b.has_dyn_sized_stack, 0
	.set _ZN9rocsparseL18bsrxmvn_4x4_kernelILj128ELj4E21rocsparse_complex_numIfEiiS2_S2_S2_EEvT3_20rocsparse_direction_NS_24const_host_device_scalarIT1_EES3_PKS3_PKT2_SC_S9_PKT4_PKT5_S7_PT6_21rocsparse_index_base_b.has_recursion, 0
	.set _ZN9rocsparseL18bsrxmvn_4x4_kernelILj128ELj4E21rocsparse_complex_numIfEiiS2_S2_S2_EEvT3_20rocsparse_direction_NS_24const_host_device_scalarIT1_EES3_PKS3_PKT2_SC_S9_PKT4_PKT5_S7_PT6_21rocsparse_index_base_b.has_indirect_call, 0
	.section	.AMDGPU.csdata,"",@progbits
; Kernel info:
; codeLenInByte = 6504
; TotalNumSgprs: 26
; NumVgprs: 104
; NumAgprs: 0
; TotalNumVgprs: 104
; ScratchSize: 0
; MemoryBound: 0
; FloatMode: 240
; IeeeMode: 1
; LDSByteSize: 0 bytes/workgroup (compile time only)
; SGPRBlocks: 3
; VGPRBlocks: 12
; NumSGPRsForWavesPerEU: 26
; NumVGPRsForWavesPerEU: 104
; AccumOffset: 104
; Occupancy: 4
; WaveLimiterHint : 1
; COMPUTE_PGM_RSRC2:SCRATCH_EN: 0
; COMPUTE_PGM_RSRC2:USER_SGPR: 2
; COMPUTE_PGM_RSRC2:TRAP_HANDLER: 0
; COMPUTE_PGM_RSRC2:TGID_X_EN: 1
; COMPUTE_PGM_RSRC2:TGID_Y_EN: 0
; COMPUTE_PGM_RSRC2:TGID_Z_EN: 0
; COMPUTE_PGM_RSRC2:TIDIG_COMP_CNT: 0
; COMPUTE_PGM_RSRC3_GFX90A:ACCUM_OFFSET: 25
; COMPUTE_PGM_RSRC3_GFX90A:TG_SPLIT: 0
	.section	.text._ZN9rocsparseL18bsrxmvn_4x4_kernelILj128ELj8E21rocsparse_complex_numIfEiiS2_S2_S2_EEvT3_20rocsparse_direction_NS_24const_host_device_scalarIT1_EES3_PKS3_PKT2_SC_S9_PKT4_PKT5_S7_PT6_21rocsparse_index_base_b,"axG",@progbits,_ZN9rocsparseL18bsrxmvn_4x4_kernelILj128ELj8E21rocsparse_complex_numIfEiiS2_S2_S2_EEvT3_20rocsparse_direction_NS_24const_host_device_scalarIT1_EES3_PKS3_PKT2_SC_S9_PKT4_PKT5_S7_PT6_21rocsparse_index_base_b,comdat
	.globl	_ZN9rocsparseL18bsrxmvn_4x4_kernelILj128ELj8E21rocsparse_complex_numIfEiiS2_S2_S2_EEvT3_20rocsparse_direction_NS_24const_host_device_scalarIT1_EES3_PKS3_PKT2_SC_S9_PKT4_PKT5_S7_PT6_21rocsparse_index_base_b ; -- Begin function _ZN9rocsparseL18bsrxmvn_4x4_kernelILj128ELj8E21rocsparse_complex_numIfEiiS2_S2_S2_EEvT3_20rocsparse_direction_NS_24const_host_device_scalarIT1_EES3_PKS3_PKT2_SC_S9_PKT4_PKT5_S7_PT6_21rocsparse_index_base_b
	.p2align	8
	.type	_ZN9rocsparseL18bsrxmvn_4x4_kernelILj128ELj8E21rocsparse_complex_numIfEiiS2_S2_S2_EEvT3_20rocsparse_direction_NS_24const_host_device_scalarIT1_EES3_PKS3_PKT2_SC_S9_PKT4_PKT5_S7_PT6_21rocsparse_index_base_b,@function
_ZN9rocsparseL18bsrxmvn_4x4_kernelILj128ELj8E21rocsparse_complex_numIfEiiS2_S2_S2_EEvT3_20rocsparse_direction_NS_24const_host_device_scalarIT1_EES3_PKS3_PKT2_SC_S9_PKT4_PKT5_S7_PT6_21rocsparse_index_base_b: ; @_ZN9rocsparseL18bsrxmvn_4x4_kernelILj128ELj8E21rocsparse_complex_numIfEiiS2_S2_S2_EEvT3_20rocsparse_direction_NS_24const_host_device_scalarIT1_EES3_PKS3_PKT2_SC_S9_PKT4_PKT5_S7_PT6_21rocsparse_index_base_b
; %bb.0:
	s_load_dwordx2 s[4:5], s[0:1], 0x8
	s_load_dwordx2 s[16:17], s[0:1], 0x58
	s_add_u32 s3, s0, 8
	s_addc_u32 s8, s1, 0
	s_load_dwordx2 s[6:7], s[0:1], 0x48
	s_add_u32 s9, s0, 0x48
	s_addc_u32 s10, s1, 0
	s_waitcnt lgkmcnt(0)
	s_bitcmp1_b32 s17, 0
	s_cselect_b32 s3, s3, s4
	s_cselect_b32 s5, s8, s5
	v_mov_b32_e32 v2, s3
	s_cselect_b32 s3, s10, s7
	s_cselect_b32 s4, s9, s6
	v_mov_b32_e32 v3, s5
	v_mov_b32_e32 v4, s4
	;; [unrolled: 1-line block ×3, first 2 shown]
	flat_load_dwordx2 v[68:69], v[2:3]
	flat_load_dwordx2 v[70:71], v[4:5]
	s_waitcnt vmcnt(0) lgkmcnt(0)
	v_cmp_neq_f32_e32 vcc, 0, v68
	v_cmp_neq_f32_e64 s[4:5], 0, v69
	v_cmp_neq_f32_e64 s[8:9], 1.0, v70
	v_cmp_neq_f32_e64 s[6:7], 0, v71
	s_or_b64 s[4:5], vcc, s[4:5]
	s_or_b64 s[8:9], s[8:9], s[6:7]
	s_or_b64 s[4:5], s[4:5], s[8:9]
	s_and_saveexec_b64 s[8:9], s[4:5]
	s_cbranch_execz .LBB11_6
; %bb.1:
	s_load_dwordx2 s[8:9], s[0:1], 0x18
	s_load_dwordx2 s[4:5], s[0:1], 0x0
	v_lshrrev_b32_e32 v1, 3, v0
	v_lshl_or_b32 v72, s2, 4, v1
	s_mov_b64 s[2:3], 0
	s_waitcnt lgkmcnt(0)
	s_cmp_lg_u64 s[8:9], 0
	s_cbranch_scc0 .LBB11_7
; %bb.2:
	s_load_dword s10, s[0:1], 0x10
                                        ; implicit-def: $vgpr1
	s_waitcnt lgkmcnt(0)
	v_cmp_gt_i32_e32 vcc, s10, v72
	s_and_saveexec_b64 s[10:11], vcc
	s_xor_b64 s[10:11], exec, s[10:11]
	s_cbranch_execz .LBB11_4
; %bb.3:
	v_ashrrev_i32_e32 v73, 31, v72
	v_lshl_add_u64 v[2:3], v[72:73], 2, s[8:9]
	global_load_dword v1, v[2:3], off
	s_mov_b64 s[2:3], exec
	s_waitcnt vmcnt(0)
	v_subrev_u32_e32 v1, s16, v1
.LBB11_4:
	s_or_b64 exec, exec, s[10:11]
	s_branch .LBB11_8
.LBB11_5:
	v_cmp_gt_i32_e32 vcc, s4, v72
	s_andn2_b64 s[2:3], s[2:3], exec
	s_and_b64 s[8:9], vcc, exec
	s_or_b64 s[2:3], s[2:3], s[8:9]
	s_and_b64 exec, exec, s[2:3]
	s_cbranch_execnz .LBB11_9
.LBB11_6:
	s_endpgm
.LBB11_7:
                                        ; implicit-def: $vgpr1
	s_cbranch_execnz .LBB11_5
.LBB11_8:
	v_mov_b32_e32 v72, v1
	s_and_b64 exec, exec, s[2:3]
	s_cbranch_execz .LBB11_6
.LBB11_9:
	s_load_dwordx8 s[8:15], s[0:1], 0x20
	v_ashrrev_i32_e32 v73, 31, v72
	v_lshlrev_b64 v[2:3], 2, v[72:73]
	s_load_dwordx2 s[2:3], s[0:1], 0x40
	v_and_b32_e32 v73, 7, v0
	s_waitcnt lgkmcnt(0)
	v_lshl_add_u64 v[4:5], s[8:9], 0, v[2:3]
	s_cmp_eq_u64 s[10:11], 0
	global_load_dword v93, v[4:5], off
	v_lshl_add_u64 v[4:5], v[4:5], 0, 4
	v_lshl_add_u64 v[2:3], s[10:11], 0, v[2:3]
	s_cselect_b64 vcc, -1, 0
	v_cndmask_b32_e32 v3, v3, v5, vcc
	v_cndmask_b32_e32 v2, v2, v4, vcc
	global_load_dword v1, v[2:3], off
	s_cmp_eq_u32 s5, 1
	s_waitcnt vmcnt(1)
	v_subrev_u32_e32 v0, s16, v93
	v_add_u32_e32 v74, v0, v73
	v_ashrrev_i32_e32 v75, 31, v74
	s_waitcnt vmcnt(0)
	v_subrev_u32_e32 v92, s16, v1
	v_lshlrev_b64 v[0:1], 7, v[74:75]
	v_lshl_add_u64 v[76:77], s[14:15], 0, v[0:1]
	v_cmp_lt_i32_e64 s[4:5], v74, v92
	s_cbranch_scc1 .LBB11_21
; %bb.10:
	v_mov_b32_e32 v89, 0
	v_mov_b32_e32 v88, 0
	v_mov_b32_e32 v79, 0
	v_mov_b32_e32 v78, 0
	v_mov_b32_e32 v83, 0
	v_mov_b32_e32 v82, 0
	v_mov_b32_e32 v81, 0
	v_mov_b32_e32 v80, 0
	s_and_saveexec_b64 s[8:9], s[4:5]
	s_cbranch_execz .LBB11_20
; %bb.11:
	v_add_u32_e32 v0, v93, v73
	v_subrev_u32_e32 v0, s16, v0
	v_add_u32_e32 v0, 8, v0
	v_max_i32_e32 v0, v0, v92
	v_not_b32_e32 v1, v93
	v_add3_u32 v0, s16, v0, v1
	v_sub_u32_e32 v0, v0, v73
	v_mov_b32_e32 v80, 0
	v_and_b32_e32 v1, 24, v0
	v_mov_b32_e32 v81, v80
	v_cmp_ne_u32_e32 vcc, 24, v1
	v_mov_b64_e32 v[88:89], v[80:81]
	v_mov_b64_e32 v[78:79], v[80:81]
	v_mov_b64_e32 v[82:83], v[80:81]
	v_mov_b64_e32 v[86:87], v[76:77]
	v_mov_b32_e32 v84, v74
	s_and_saveexec_b64 s[10:11], vcc
	s_cbranch_execz .LBB11_15
; %bb.12:
	v_lshrrev_b32_e32 v1, 3, v0
	v_add_u32_e32 v1, 1, v1
	v_and_b32_e32 v1, 3, v1
	v_sub_u32_e32 v1, 0, v1
	s_mov_b64 s[14:15], 0
	s_mov_b64 s[18:19], 0x400
	v_mov_b32_e32 v84, v74
	v_mov_b64_e32 v[86:87], v[76:77]
	v_mov_b32_e32 v81, v80
	v_mov_b32_e32 v82, v80
	;; [unrolled: 1-line block ×7, first 2 shown]
.LBB11_13:                              ; =>This Inner Loop Header: Depth=1
	v_ashrrev_i32_e32 v85, 31, v84
	v_lshl_add_u64 v[34:35], v[84:85], 2, s[12:13]
	global_load_dword v36, v[34:35], off
	global_load_dwordx4 v[2:5], v[86:87], off
	global_load_dwordx4 v[6:9], v[86:87], off offset:16
	global_load_dwordx4 v[10:13], v[86:87], off offset:32
	;; [unrolled: 1-line block ×7, first 2 shown]
	v_add_co_u32_e32 v1, vcc, 1, v1
	v_lshl_add_u64 v[86:87], v[86:87], 0, s[18:19]
	v_add_u32_e32 v84, 8, v84
	s_or_b64 s[14:15], vcc, s[14:15]
	s_waitcnt vmcnt(8)
	v_subrev_u32_e32 v34, s16, v36
	v_lshlrev_b32_e32 v34, 2, v34
	v_ashrrev_i32_e32 v35, 31, v34
	v_lshl_add_u64 v[42:43], v[34:35], 3, s[2:3]
	global_load_dwordx4 v[34:37], v[42:43], off
	global_load_dwordx4 v[38:41], v[42:43], off offset:16
	s_waitcnt vmcnt(9)
	v_xor_b32_e32 v42, 0x80000000, v5
	v_mov_b32_e32 v43, v4
	s_waitcnt vmcnt(7)
	v_xor_b32_e32 v46, 0x80000000, v13
	v_mov_b32_e32 v47, v12
	;; [unrolled: 3-line block ×4, first 2 shown]
	v_xor_b32_e32 v44, 0x80000000, v9
	v_mov_b32_e32 v45, v8
	v_xor_b32_e32 v48, 0x80000000, v17
	v_mov_b32_e32 v49, v16
	;; [unrolled: 2-line block ×4, first 2 shown]
	s_waitcnt vmcnt(1)
	v_pk_fma_f32 v[58:59], v[2:3], v[34:35], v[88:89] op_sel_hi:[1,0,1]
	v_pk_fma_f32 v[60:61], v[10:11], v[34:35], v[80:81] op_sel_hi:[1,0,1]
	;; [unrolled: 1-line block ×4, first 2 shown]
	v_pk_fma_f32 v[2:3], v[2:3], v[34:35], v[58:59] op_sel:[1,1,0] op_sel_hi:[0,1,1] neg_lo:[1,0,0]
	v_pk_fma_f32 v[10:11], v[10:11], v[34:35], v[60:61] op_sel:[1,1,0] op_sel_hi:[0,1,1] neg_lo:[1,0,0]
	;; [unrolled: 1-line block ×4, first 2 shown]
	v_mov_b32_e32 v64, v37
	v_pk_fma_f32 v[2:3], v[4:5], v[36:37], v[2:3] op_sel_hi:[1,0,1]
	v_pk_fma_f32 v[4:5], v[12:13], v[36:37], v[10:11] op_sel_hi:[1,0,1]
	;; [unrolled: 1-line block ×8, first 2 shown]
	s_waitcnt vmcnt(0)
	v_pk_fma_f32 v[2:3], v[6:7], v[38:39], v[2:3] op_sel_hi:[1,0,1]
	v_pk_fma_f32 v[4:5], v[14:15], v[38:39], v[4:5] op_sel_hi:[1,0,1]
	;; [unrolled: 1-line block ×4, first 2 shown]
	v_pk_fma_f32 v[2:3], v[6:7], v[38:39], v[2:3] op_sel:[1,1,0] op_sel_hi:[0,1,1] neg_lo:[1,0,0]
	v_pk_fma_f32 v[4:5], v[14:15], v[38:39], v[4:5] op_sel:[1,1,0] op_sel_hi:[0,1,1] neg_lo:[1,0,0]
	;; [unrolled: 1-line block ×4, first 2 shown]
	v_mov_b32_e32 v78, v41
	v_pk_fma_f32 v[2:3], v[8:9], v[40:41], v[2:3] op_sel_hi:[1,0,1]
	v_pk_fma_f32 v[4:5], v[16:17], v[40:41], v[4:5] op_sel_hi:[1,0,1]
	;; [unrolled: 1-line block ×8, first 2 shown]
	s_andn2_b64 exec, exec, s[14:15]
	s_cbranch_execnz .LBB11_13
; %bb.14:
	s_or_b64 exec, exec, s[14:15]
.LBB11_15:
	s_or_b64 exec, exec, s[10:11]
	v_cmp_lt_u32_e32 vcc, 23, v0
	s_and_saveexec_b64 s[10:11], vcc
	s_cbranch_execz .LBB11_19
; %bb.16:
	s_mov_b64 s[14:15], 0
	s_mov_b64 s[18:19], 0x1000
.LBB11_17:                              ; =>This Inner Loop Header: Depth=1
	v_ashrrev_i32_e32 v85, 31, v84
	v_lshl_add_u64 v[90:91], v[84:85], 2, s[12:13]
	global_load_dwordx4 v[4:7], v[86:87], off offset:48
	global_load_dwordx4 v[0:3], v[86:87], off offset:32
	;; [unrolled: 1-line block ×3, first 2 shown]
	global_load_dwordx4 v[44:47], v[86:87], off
	global_load_dwordx4 v[20:23], v[86:87], off offset:112
	global_load_dwordx4 v[16:19], v[86:87], off offset:96
	;; [unrolled: 1-line block ×11, first 2 shown]
	global_load_dword v52, v[90:91], off
	global_load_dwordx4 v[94:97], v[86:87], off offset:1088
	v_add_u32_e32 v84, 32, v84
	v_cmp_ge_i32_e32 vcc, v84, v92
	s_or_b64 s[14:15], vcc, s[14:15]
	s_waitcnt vmcnt(13)
	v_xor_b32_e32 v64, 0x80000000, v47
	v_mov_b32_e32 v65, v46
	s_waitcnt vmcnt(11)
	v_xor_b32_e32 v98, 0x80000000, v19
	v_mov_b32_e32 v99, v18
	s_waitcnt vmcnt(1)
	v_subrev_u32_e32 v52, s16, v52
	v_lshlrev_b32_e32 v52, 2, v52
	v_ashrrev_i32_e32 v53, 31, v52
	v_lshl_add_u64 v[66:67], v[52:53], 3, s[2:3]
	global_load_dwordx4 v[52:55], v[66:67], off
	s_waitcnt vmcnt(0)
	v_pk_fma_f32 v[88:89], v[44:45], v[52:53], v[88:89] op_sel_hi:[1,0,1]
	s_nop 0
	v_pk_fma_f32 v[44:45], v[44:45], v[52:53], v[88:89] op_sel:[1,1,0] op_sel_hi:[0,1,1] neg_lo:[1,0,0]
	v_pk_fma_f32 v[44:45], v[46:47], v[54:55], v[44:45] op_sel_hi:[1,0,1]
	v_mov_b32_e32 v100, v55
	v_pk_fma_f32 v[44:45], v[64:65], v[100:101], v[44:45] op_sel_hi:[1,0,1]
	global_load_dwordx4 v[64:67], v[66:67], off offset:16
	v_pk_fma_f32 v[80:81], v[0:1], v[52:53], v[80:81] op_sel_hi:[1,0,1]
	v_xor_b32_e32 v46, 0x80000000, v3
	v_pk_fma_f32 v[0:1], v[0:1], v[52:53], v[80:81] op_sel:[1,1,0] op_sel_hi:[0,1,1] neg_lo:[1,0,0]
	v_pk_fma_f32 v[80:81], v[2:3], v[54:55], v[0:1] op_sel_hi:[1,0,1]
	v_pk_fma_f32 v[0:1], v[40:41], v[52:53], v[82:83] op_sel_hi:[1,0,1]
	v_mov_b32_e32 v47, v2
	v_pk_fma_f32 v[0:1], v[40:41], v[52:53], v[0:1] op_sel:[1,1,0] op_sel_hi:[0,1,1] neg_lo:[1,0,0]
	v_xor_b32_e32 v88, 0x80000000, v43
	v_mov_b32_e32 v89, v42
	v_pk_fma_f32 v[82:83], v[42:43], v[54:55], v[0:1] op_sel_hi:[1,0,1]
	v_pk_fma_f32 v[40:41], v[16:17], v[52:53], v[78:79] op_sel_hi:[1,0,1]
	v_pk_fma_f32 v[46:47], v[46:47], v[100:101], v[80:81] op_sel_hi:[1,0,1]
	v_pk_fma_f32 v[16:17], v[16:17], v[52:53], v[40:41] op_sel:[1,1,0] op_sel_hi:[0,1,1] neg_lo:[1,0,0]
	v_pk_fma_f32 v[80:81], v[88:89], v[100:101], v[82:83] op_sel_hi:[1,0,1]
	v_pk_fma_f32 v[78:79], v[18:19], v[54:55], v[16:17] op_sel_hi:[1,0,1]
	v_xor_b32_e32 v82, 0x80000000, v11
	v_pk_fma_f32 v[78:79], v[98:99], v[100:101], v[78:79] op_sel_hi:[1,0,1]
	v_mov_b32_e32 v83, v10
	v_mov_b32_e32 v101, v22
	v_xor_b32_e32 v100, 0x80000000, v23
	v_xor_b32_e32 v98, 0x80000000, v31
	v_mov_b32_e32 v99, v30
	global_load_dwordx4 v[52:55], v[86:87], off offset:2048
	v_xor_b32_e32 v102, 0x80000000, v97
	v_mov_b32_e32 v103, v96
	global_load_dwordx4 v[0:3], v[86:87], off offset:2096
	global_load_dwordx4 v[40:43], v[86:87], off offset:2080
	;; [unrolled: 1-line block ×3, first 2 shown]
	s_waitcnt vmcnt(4)
	v_pk_fma_f32 v[44:45], v[8:9], v[64:65], v[44:45] op_sel_hi:[1,0,1]
	s_nop 0
	v_pk_fma_f32 v[8:9], v[8:9], v[64:65], v[44:45] op_sel:[1,1,0] op_sel_hi:[0,1,1] neg_lo:[1,0,0]
	v_pk_fma_f32 v[44:45], v[4:5], v[64:65], v[46:47] op_sel_hi:[1,0,1]
	v_pk_fma_f32 v[8:9], v[10:11], v[66:67], v[8:9] op_sel_hi:[1,0,1]
	v_pk_fma_f32 v[4:5], v[4:5], v[64:65], v[44:45] op_sel:[1,1,0] op_sel_hi:[0,1,1] neg_lo:[1,0,0]
	v_pk_fma_f32 v[44:45], v[28:29], v[64:65], v[80:81] op_sel_hi:[1,0,1]
	v_xor_b32_e32 v10, 0x80000000, v7
	v_pk_fma_f32 v[28:29], v[28:29], v[64:65], v[44:45] op_sel:[1,1,0] op_sel_hi:[0,1,1] neg_lo:[1,0,0]
	v_pk_fma_f32 v[80:81], v[30:31], v[66:67], v[28:29] op_sel_hi:[1,0,1]
	v_pk_fma_f32 v[28:29], v[20:21], v[64:65], v[78:79] op_sel_hi:[1,0,1]
	v_mov_b32_e32 v11, v6
	v_pk_fma_f32 v[20:21], v[20:21], v[64:65], v[28:29] op_sel:[1,1,0] op_sel_hi:[0,1,1] neg_lo:[1,0,0]
	v_pk_fma_f32 v[20:21], v[22:23], v[66:67], v[20:21] op_sel_hi:[1,0,1]
	v_mov_b32_e32 v22, v67
	v_pk_fma_f32 v[8:9], v[82:83], v[22:23], v[8:9] op_sel_hi:[1,0,1]
	global_load_dword v23, v[90:91], off offset:32
	v_pk_fma_f32 v[88:89], v[6:7], v[66:67], v[4:5] op_sel_hi:[1,0,1]
	v_xor_b32_e32 v82, 0x80000000, v35
	v_mov_b32_e32 v83, v34
	global_load_dwordx4 v[4:7], v[86:87], off offset:2160
	global_load_dwordx4 v[44:47], v[86:87], off offset:2144
	;; [unrolled: 1-line block ×3, first 2 shown]
	s_waitcnt vmcnt(3)
	v_pk_fma_f32 v[10:11], v[10:11], v[22:23], v[88:89] op_sel_hi:[1,0,1]
	v_subrev_u32_e32 v23, s16, v23
	v_lshlrev_b32_e32 v64, 2, v23
	v_ashrrev_i32_e32 v65, 31, v64
	v_lshl_add_u64 v[88:89], v[64:65], 3, s[2:3]
	v_pk_fma_f32 v[98:99], v[98:99], v[22:23], v[80:81] op_sel_hi:[1,0,1]
	global_load_dwordx4 v[78:81], v[88:89], off
	v_pk_fma_f32 v[20:21], v[100:101], v[22:23], v[20:21] op_sel_hi:[1,0,1]
	global_load_dwordx4 v[64:67], v[86:87], off offset:2112
	s_waitcnt vmcnt(1)
	v_pk_fma_f32 v[8:9], v[32:33], v[78:79], v[8:9] op_sel_hi:[1,0,1]
	s_nop 0
	v_pk_fma_f32 v[8:9], v[32:33], v[78:79], v[8:9] op_sel:[1,1,0] op_sel_hi:[0,1,1] neg_lo:[1,0,0]
	v_pk_fma_f32 v[32:33], v[34:35], v[80:81], v[8:9] op_sel_hi:[1,0,1]
	v_pk_fma_f32 v[8:9], v[12:13], v[78:79], v[10:11] op_sel_hi:[1,0,1]
	v_xor_b32_e32 v34, 0x80000000, v15
	v_pk_fma_f32 v[8:9], v[12:13], v[78:79], v[8:9] op_sel:[1,1,0] op_sel_hi:[0,1,1] neg_lo:[1,0,0]
	v_pk_fma_f32 v[100:101], v[14:15], v[80:81], v[8:9] op_sel_hi:[1,0,1]
	v_pk_fma_f32 v[8:9], v[94:95], v[78:79], v[98:99] op_sel_hi:[1,0,1]
	;; [unrolled: 1-line block ×3, first 2 shown]
	v_pk_fma_f32 v[8:9], v[94:95], v[78:79], v[8:9] op_sel:[1,1,0] op_sel_hi:[0,1,1] neg_lo:[1,0,0]
	v_pk_fma_f32 v[12:13], v[60:61], v[78:79], v[12:13] op_sel:[1,1,0] op_sel_hi:[0,1,1] neg_lo:[1,0,0]
	v_mov_b32_e32 v35, v14
	v_pk_fma_f32 v[94:95], v[96:97], v[80:81], v[8:9] op_sel_hi:[1,0,1]
	v_xor_b32_e32 v96, 0x80000000, v63
	v_mov_b32_e32 v97, v62
	v_pk_fma_f32 v[60:61], v[62:63], v[80:81], v[12:13] op_sel_hi:[1,0,1]
	v_mov_b32_e32 v62, v81
	v_pk_fma_f32 v[78:79], v[82:83], v[62:63], v[32:33] op_sel_hi:[1,0,1]
	v_pk_fma_f32 v[80:81], v[34:35], v[62:63], v[100:101] op_sel_hi:[1,0,1]
	;; [unrolled: 1-line block ×4, first 2 shown]
	global_load_dwordx4 v[60:63], v[88:89], off offset:16
	global_load_dwordx4 v[8:11], v[86:87], off offset:3120
	;; [unrolled: 1-line block ×5, first 2 shown]
	v_xor_b32_e32 v96, 0x80000000, v39
	v_mov_b32_e32 v97, v38
	v_xor_b32_e32 v88, 0x80000000, v27
	v_mov_b32_e32 v89, v26
	v_xor_b32_e32 v98, 0x80000000, v59
	v_mov_b32_e32 v99, v58
	v_xor_b32_e32 v100, 0x80000000, v47
	v_mov_b32_e32 v101, v46
	s_waitcnt vmcnt(4)
	v_pk_fma_f32 v[78:79], v[36:37], v[60:61], v[78:79] op_sel_hi:[1,0,1]
	s_nop 0
	v_pk_fma_f32 v[36:37], v[36:37], v[60:61], v[78:79] op_sel:[1,1,0] op_sel_hi:[0,1,1] neg_lo:[1,0,0]
	v_pk_fma_f32 v[78:79], v[38:39], v[62:63], v[36:37] op_sel_hi:[1,0,1]
	v_pk_fma_f32 v[36:37], v[24:25], v[60:61], v[80:81] op_sel_hi:[1,0,1]
	s_nop 0
	v_pk_fma_f32 v[24:25], v[24:25], v[60:61], v[36:37] op_sel:[1,1,0] op_sel_hi:[0,1,1] neg_lo:[1,0,0]
	v_pk_fma_f32 v[36:37], v[56:57], v[60:61], v[82:83] op_sel_hi:[1,0,1]
	v_pk_fma_f32 v[80:81], v[26:27], v[62:63], v[24:25] op_sel_hi:[1,0,1]
	v_pk_fma_f32 v[36:37], v[56:57], v[60:61], v[36:37] op_sel:[1,1,0] op_sel_hi:[0,1,1] neg_lo:[1,0,0]
	v_pk_fma_f32 v[56:57], v[58:59], v[62:63], v[36:37] op_sel_hi:[1,0,1]
	v_pk_fma_f32 v[36:37], v[48:49], v[60:61], v[94:95] op_sel_hi:[1,0,1]
	global_load_dwordx4 v[24:27], v[86:87], off offset:3184
	v_pk_fma_f32 v[36:37], v[48:49], v[60:61], v[36:37] op_sel:[1,1,0] op_sel_hi:[0,1,1] neg_lo:[1,0,0]
	v_pk_fma_f32 v[60:61], v[50:51], v[62:63], v[36:37] op_sel_hi:[1,0,1]
	global_load_dwordx4 v[36:39], v[86:87], off offset:3168
	global_load_dword v75, v[90:91], off offset:64
	global_load_dword v85, v[90:91], off offset:96
	v_mov_b32_e32 v62, v63
	v_pk_fma_f32 v[78:79], v[96:97], v[62:63], v[78:79] op_sel_hi:[1,0,1]
	v_xor_b32_e32 v58, 0x80000000, v51
	v_mov_b32_e32 v59, v50
	global_load_dwordx4 v[48:51], v[86:87], off offset:3152
	v_xor_b32_e32 v82, 0x80000000, v55
	v_mov_b32_e32 v83, v54
	v_xor_b32_e32 v96, 0x80000000, v43
	v_mov_b32_e32 v97, v42
	s_waitcnt vmcnt(2)
	v_subrev_u32_e32 v63, s16, v75
	v_pk_fma_f32 v[80:81], v[88:89], v[62:63], v[80:81] op_sel_hi:[1,0,1]
	v_lshlrev_b32_e32 v88, 2, v63
	v_ashrrev_i32_e32 v89, 31, v88
	v_lshl_add_u64 v[88:89], v[88:89], 3, s[2:3]
	v_pk_fma_f32 v[90:91], v[98:99], v[62:63], v[56:57] op_sel_hi:[1,0,1]
	v_pk_fma_f32 v[94:95], v[58:59], v[62:63], v[60:61] op_sel_hi:[1,0,1]
	global_load_dwordx4 v[56:59], v[88:89], off
	v_xor_b32_e32 v98, 0x80000000, v67
	v_mov_b32_e32 v99, v66
	s_waitcnt vmcnt(0)
	v_pk_fma_f32 v[60:61], v[52:53], v[56:57], v[78:79] op_sel_hi:[1,0,1]
	s_nop 0
	v_pk_fma_f32 v[52:53], v[52:53], v[56:57], v[60:61] op_sel:[1,1,0] op_sel_hi:[0,1,1] neg_lo:[1,0,0]
	v_pk_fma_f32 v[60:61], v[40:41], v[56:57], v[80:81] op_sel_hi:[1,0,1]
	v_pk_fma_f32 v[78:79], v[54:55], v[58:59], v[52:53] op_sel_hi:[1,0,1]
	v_pk_fma_f32 v[40:41], v[40:41], v[56:57], v[60:61] op_sel:[1,1,0] op_sel_hi:[0,1,1] neg_lo:[1,0,0]
	v_pk_fma_f32 v[80:81], v[42:43], v[58:59], v[40:41] op_sel_hi:[1,0,1]
	v_subrev_u32_e32 v40, s16, v85
	v_lshlrev_b32_e32 v40, 2, v40
	v_ashrrev_i32_e32 v41, 31, v40
	global_load_dwordx4 v[60:63], v[88:89], off offset:16
	v_lshl_add_u64 v[102:103], v[40:41], 3, s[2:3]
	v_pk_fma_f32 v[40:41], v[64:65], v[56:57], v[90:91] op_sel_hi:[1,0,1]
	global_load_dwordx4 v[52:55], v[86:87], off offset:3136
	v_pk_fma_f32 v[40:41], v[64:65], v[56:57], v[40:41] op_sel:[1,1,0] op_sel_hi:[0,1,1] neg_lo:[1,0,0]
	v_pk_fma_f32 v[64:65], v[66:67], v[58:59], v[40:41] op_sel_hi:[1,0,1]
	v_pk_fma_f32 v[40:41], v[44:45], v[56:57], v[94:95] op_sel_hi:[1,0,1]
	v_xor_b32_e32 v66, 0x80000000, v19
	v_pk_fma_f32 v[40:41], v[44:45], v[56:57], v[40:41] op_sel:[1,1,0] op_sel_hi:[0,1,1] neg_lo:[1,0,0]
	v_pk_fma_f32 v[56:57], v[46:47], v[58:59], v[40:41] op_sel_hi:[1,0,1]
	global_load_dwordx4 v[44:47], v[102:103], off
	global_load_dwordx4 v[40:43], v[102:103], off offset:16
	v_mov_b32_e32 v58, v59
	v_pk_fma_f32 v[78:79], v[82:83], v[58:59], v[78:79] op_sel_hi:[1,0,1]
	v_pk_fma_f32 v[80:81], v[96:97], v[58:59], v[80:81] op_sel_hi:[1,0,1]
	;; [unrolled: 1-line block ×4, first 2 shown]
	v_mov_b32_e32 v67, v18
	v_xor_b32_e32 v82, 0x80000000, v3
	v_mov_b32_e32 v83, v2
	v_xor_b32_e32 v88, 0x80000000, v31
	;; [unrolled: 2-line block ×6, first 2 shown]
	v_mov_b32_e32 v97, v50
	v_lshl_add_u64 v[86:87], v[86:87], 0, s[18:19]
	s_waitcnt vmcnt(3)
	v_pk_fma_f32 v[78:79], v[16:17], v[60:61], v[78:79] op_sel_hi:[1,0,1]
	v_pk_fma_f32 v[80:81], v[0:1], v[60:61], v[80:81] op_sel_hi:[1,0,1]
	;; [unrolled: 1-line block ×4, first 2 shown]
	v_pk_fma_f32 v[16:17], v[16:17], v[60:61], v[78:79] op_sel:[1,1,0] op_sel_hi:[0,1,1] neg_lo:[1,0,0]
	v_pk_fma_f32 v[0:1], v[0:1], v[60:61], v[80:81] op_sel:[1,1,0] op_sel_hi:[0,1,1] neg_lo:[1,0,0]
	;; [unrolled: 1-line block ×4, first 2 shown]
	v_pk_fma_f32 v[16:17], v[18:19], v[62:63], v[16:17] op_sel_hi:[1,0,1]
	v_pk_fma_f32 v[0:1], v[2:3], v[62:63], v[0:1] op_sel_hi:[1,0,1]
	;; [unrolled: 1-line block ×4, first 2 shown]
	v_mov_b32_e32 v6, v63
	v_pk_fma_f32 v[16:17], v[66:67], v[6:7], v[16:17] op_sel_hi:[1,0,1]
	v_pk_fma_f32 v[0:1], v[82:83], v[6:7], v[0:1] op_sel_hi:[1,0,1]
	;; [unrolled: 1-line block ×4, first 2 shown]
	s_waitcnt vmcnt(1)
	v_pk_fma_f32 v[6:7], v[32:33], v[44:45], v[16:17] op_sel_hi:[1,0,1]
	v_pk_fma_f32 v[0:1], v[20:21], v[44:45], v[0:1] op_sel_hi:[1,0,1]
	;; [unrolled: 1-line block ×4, first 2 shown]
	v_pk_fma_f32 v[6:7], v[32:33], v[44:45], v[6:7] op_sel:[1,1,0] op_sel_hi:[0,1,1] neg_lo:[1,0,0]
	v_pk_fma_f32 v[0:1], v[20:21], v[44:45], v[0:1] op_sel:[1,1,0] op_sel_hi:[0,1,1] neg_lo:[1,0,0]
	;; [unrolled: 1-line block ×4, first 2 shown]
	v_xor_b32_e32 v18, 0x80000000, v23
	v_mov_b32_e32 v19, v22
	v_xor_b32_e32 v2, 0x80000000, v55
	v_mov_b32_e32 v3, v54
	;; [unrolled: 2-line block ×3, first 2 shown]
	v_mov_b32_e32 v56, v47
	v_pk_fma_f32 v[6:7], v[34:35], v[46:47], v[6:7] op_sel_hi:[1,0,1]
	v_pk_fma_f32 v[0:1], v[22:23], v[46:47], v[0:1] op_sel_hi:[1,0,1]
	;; [unrolled: 1-line block ×8, first 2 shown]
	s_waitcnt vmcnt(0)
	v_pk_fma_f32 v[6:7], v[12:13], v[40:41], v[6:7] op_sel_hi:[1,0,1]
	v_pk_fma_f32 v[0:1], v[8:9], v[40:41], v[0:1] op_sel_hi:[1,0,1]
	;; [unrolled: 1-line block ×4, first 2 shown]
	v_pk_fma_f32 v[6:7], v[12:13], v[40:41], v[6:7] op_sel:[1,1,0] op_sel_hi:[0,1,1] neg_lo:[1,0,0]
	v_pk_fma_f32 v[0:1], v[8:9], v[40:41], v[0:1] op_sel:[1,1,0] op_sel_hi:[0,1,1] neg_lo:[1,0,0]
	;; [unrolled: 1-line block ×4, first 2 shown]
	v_xor_b32_e32 v78, 0x80000000, v11
	v_mov_b32_e32 v79, v10
	v_xor_b32_e32 v64, 0x80000000, v27
	v_mov_b32_e32 v65, v26
	v_mov_b32_e32 v60, v43
	v_pk_fma_f32 v[6:7], v[14:15], v[42:43], v[6:7] op_sel_hi:[1,0,1]
	v_pk_fma_f32 v[0:1], v[10:11], v[42:43], v[0:1] op_sel_hi:[1,0,1]
	;; [unrolled: 1-line block ×8, first 2 shown]
	s_andn2_b64 exec, exec, s[14:15]
	s_cbranch_execnz .LBB11_17
; %bb.18:
	s_or_b64 exec, exec, s[14:15]
.LBB11_19:
	s_or_b64 exec, exec, s[10:11]
.LBB11_20:
	s_or_b64 exec, exec, s[8:9]
	s_cbranch_execz .LBB11_22
	s_branch .LBB11_33
.LBB11_21:
                                        ; implicit-def: $vgpr89
                                        ; implicit-def: $vgpr79
                                        ; implicit-def: $vgpr83
                                        ; implicit-def: $vgpr81
.LBB11_22:
	v_mov_b32_e32 v89, 0
	v_mov_b32_e32 v88, 0
	;; [unrolled: 1-line block ×8, first 2 shown]
	s_and_saveexec_b64 s[8:9], s[4:5]
	s_cbranch_execz .LBB11_32
; %bb.23:
	v_add_u32_e32 v0, v93, v73
	v_subrev_u32_e32 v0, s16, v0
	v_add_u32_e32 v0, 8, v0
	v_max_i32_e32 v0, v0, v92
	v_not_b32_e32 v1, v93
	v_add3_u32 v0, s16, v0, v1
	v_sub_u32_e32 v0, v0, v73
	v_mov_b32_e32 v80, 0
	v_and_b32_e32 v1, 24, v0
	v_mov_b32_e32 v81, v80
	v_cmp_ne_u32_e32 vcc, 24, v1
	v_mov_b64_e32 v[88:89], v[80:81]
	v_mov_b64_e32 v[78:79], v[80:81]
	;; [unrolled: 1-line block ×3, first 2 shown]
	s_and_saveexec_b64 s[4:5], vcc
	s_cbranch_execz .LBB11_27
; %bb.24:
	v_lshrrev_b32_e32 v1, 3, v0
	v_add_u32_e32 v1, 1, v1
	v_and_b32_e32 v1, 3, v1
	v_sub_u32_e32 v1, 0, v1
	s_mov_b64 s[10:11], 0
	s_mov_b64 s[14:15], 0x400
	v_mov_b32_e32 v81, v80
	v_mov_b32_e32 v82, v80
	;; [unrolled: 1-line block ×7, first 2 shown]
.LBB11_25:                              ; =>This Inner Loop Header: Depth=1
	v_ashrrev_i32_e32 v75, 31, v74
	v_lshl_add_u64 v[30:31], v[74:75], 2, s[12:13]
	global_load_dword v32, v[30:31], off
	global_load_dwordx4 v[2:5], v[76:77], off
	global_load_dwordx4 v[6:9], v[76:77], off offset:32
	global_load_dwordx4 v[10:13], v[76:77], off offset:64
	;; [unrolled: 1-line block ×6, first 2 shown]
	v_add_co_u32_e32 v1, vcc, 1, v1
	v_add_u32_e32 v74, 8, v74
	s_or_b64 s[10:11], vcc, s[10:11]
	s_waitcnt vmcnt(7)
	v_subrev_u32_e32 v30, s16, v32
	v_lshlrev_b32_e32 v30, 2, v30
	v_ashrrev_i32_e32 v31, 31, v30
	v_lshl_add_u64 v[42:43], v[30:31], 3, s[2:3]
	global_load_dwordx4 v[30:33], v[42:43], off
	global_load_dwordx4 v[34:37], v[42:43], off offset:16
	global_load_dwordx4 v[38:41], v[76:77], off offset:112
	s_waitcnt vmcnt(9)
	v_xor_b32_e32 v42, 0x80000000, v5
	v_mov_b32_e32 v43, v4
	s_waitcnt vmcnt(4)
	v_xor_b32_e32 v50, 0x80000000, v25
	v_mov_b32_e32 v51, v24
	v_xor_b32_e32 v44, 0x80000000, v9
	v_mov_b32_e32 v45, v8
	;; [unrolled: 2-line block ×4, first 2 shown]
	s_waitcnt vmcnt(3)
	v_xor_b32_e32 v54, 0x80000000, v29
	v_mov_b32_e32 v55, v28
	v_xor_b32_e32 v48, 0x80000000, v17
	v_mov_b32_e32 v49, v16
	v_lshl_add_u64 v[76:77], v[76:77], 0, s[14:15]
	s_waitcnt vmcnt(2)
	v_pk_fma_f32 v[58:59], v[2:3], v[30:31], v[88:89] op_sel_hi:[1,0,1]
	v_pk_fma_f32 v[4:5], v[4:5], v[30:31], v[80:81] op_sel_hi:[1,0,1]
	;; [unrolled: 1-line block ×4, first 2 shown]
	v_pk_fma_f32 v[2:3], v[2:3], v[30:31], v[58:59] op_sel:[1,1,0] op_sel_hi:[0,1,1] neg_lo:[1,0,0]
	v_pk_fma_f32 v[4:5], v[42:43], v[30:31], v[4:5] op_sel:[0,1,0]
	v_pk_fma_f32 v[22:23], v[22:23], v[30:31], v[64:65] op_sel:[1,1,0] op_sel_hi:[0,1,1] neg_lo:[1,0,0]
	v_pk_fma_f32 v[24:25], v[50:51], v[30:31], v[24:25] op_sel:[0,1,0]
	v_mov_b32_e32 v60, v33
	v_pk_fma_f32 v[2:3], v[6:7], v[32:33], v[2:3] op_sel_hi:[1,0,1]
	v_pk_fma_f32 v[4:5], v[8:9], v[32:33], v[4:5] op_sel_hi:[1,0,1]
	;; [unrolled: 1-line block ×4, first 2 shown]
	v_pk_fma_f32 v[2:3], v[6:7], v[60:61], v[2:3] op_sel:[1,0,0] op_sel_hi:[0,0,1] neg_lo:[1,0,0]
	v_pk_fma_f32 v[4:5], v[44:45], v[60:61], v[4:5] op_sel_hi:[1,0,1]
	v_pk_fma_f32 v[6:7], v[18:19], v[60:61], v[8:9] op_sel:[1,0,0] op_sel_hi:[0,0,1] neg_lo:[1,0,0]
	v_pk_fma_f32 v[8:9], v[52:53], v[60:61], v[20:21] op_sel_hi:[1,0,1]
	s_waitcnt vmcnt(1)
	v_pk_fma_f32 v[2:3], v[10:11], v[34:35], v[2:3] op_sel_hi:[1,0,1]
	v_pk_fma_f32 v[4:5], v[12:13], v[34:35], v[4:5] op_sel_hi:[1,0,1]
	;; [unrolled: 1-line block ×4, first 2 shown]
	v_pk_fma_f32 v[2:3], v[10:11], v[34:35], v[2:3] op_sel:[1,1,0] op_sel_hi:[0,1,1] neg_lo:[1,0,0]
	v_pk_fma_f32 v[4:5], v[46:47], v[34:35], v[4:5] op_sel:[0,1,0]
	v_pk_fma_f32 v[6:7], v[26:27], v[34:35], v[6:7] op_sel:[1,1,0] op_sel_hi:[0,1,1] neg_lo:[1,0,0]
	v_pk_fma_f32 v[8:9], v[54:55], v[34:35], v[8:9] op_sel:[0,1,0]
	s_waitcnt vmcnt(0)
	v_xor_b32_e32 v56, 0x80000000, v41
	v_mov_b32_e32 v57, v40
	v_mov_b32_e32 v62, v37
	v_pk_fma_f32 v[2:3], v[14:15], v[36:37], v[2:3] op_sel_hi:[1,0,1]
	v_pk_fma_f32 v[4:5], v[16:17], v[36:37], v[4:5] op_sel_hi:[1,0,1]
	;; [unrolled: 1-line block ×4, first 2 shown]
	v_pk_fma_f32 v[88:89], v[14:15], v[62:63], v[2:3] op_sel:[1,0,0] op_sel_hi:[0,0,1] neg_lo:[1,0,0]
	v_pk_fma_f32 v[80:81], v[48:49], v[62:63], v[4:5] op_sel_hi:[1,0,1]
	v_pk_fma_f32 v[82:83], v[38:39], v[62:63], v[6:7] op_sel:[1,0,0] op_sel_hi:[0,0,1] neg_lo:[1,0,0]
	v_pk_fma_f32 v[78:79], v[56:57], v[62:63], v[8:9] op_sel_hi:[1,0,1]
	s_andn2_b64 exec, exec, s[10:11]
	s_cbranch_execnz .LBB11_25
; %bb.26:
	s_or_b64 exec, exec, s[10:11]
.LBB11_27:
	s_or_b64 exec, exec, s[4:5]
	v_cmp_lt_u32_e32 vcc, 23, v0
	s_and_saveexec_b64 s[4:5], vcc
	s_cbranch_execz .LBB11_31
; %bb.28:
	s_mov_b64 s[10:11], 0
	s_mov_b64 s[14:15], 0x1000
.LBB11_29:                              ; =>This Inner Loop Header: Depth=1
	v_ashrrev_i32_e32 v75, 31, v74
	v_lshl_add_u64 v[56:57], v[74:75], 2, s[12:13]
	global_load_dwordx4 v[24:27], v[76:77], off offset:48
	global_load_dwordx4 v[36:39], v[76:77], off offset:32
	global_load_dwordx4 v[52:55], v[76:77], off offset:16
	global_load_dwordx4 v[32:35], v[76:77], off
	global_load_dwordx4 v[4:7], v[76:77], off offset:112
	global_load_dwordx4 v[8:11], v[76:77], off offset:96
	;; [unrolled: 1-line block ×12, first 2 shown]
	global_load_dword v58, v[56:57], off
	global_load_dword v75, v[56:57], off offset:32
	global_load_dword v93, v[56:57], off offset:64
	;; [unrolled: 1-line block ×3, first 2 shown]
	v_add_u32_e32 v74, 32, v74
	v_cmp_ge_i32_e32 vcc, v74, v92
	s_or_b64 s[10:11], vcc, s[10:11]
	s_waitcnt vmcnt(18)
	v_xor_b32_e32 v90, 0x80000000, v39
	v_mov_b32_e32 v91, v38
	s_waitcnt vmcnt(16)
	v_xor_b32_e32 v56, 0x80000000, v35
	v_mov_b32_e32 v57, v34
	s_waitcnt vmcnt(3)
	v_subrev_u32_e32 v58, s16, v58
	v_lshlrev_b32_e32 v58, 2, v58
	v_ashrrev_i32_e32 v59, 31, v58
	v_lshl_add_u64 v[62:63], v[58:59], 3, s[2:3]
	global_load_dwordx4 v[58:61], v[62:63], off
	global_load_dwordx4 v[94:97], v[62:63], off offset:16
	s_waitcnt vmcnt(1)
	v_pk_fma_f32 v[62:63], v[32:33], v[58:59], v[88:89] op_sel_hi:[1,0,1]
	v_pk_fma_f32 v[80:81], v[34:35], v[58:59], v[80:81] op_sel_hi:[1,0,1]
	v_pk_fma_f32 v[62:63], v[32:33], v[58:59], v[62:63] op_sel:[1,1,0] op_sel_hi:[0,1,1] neg_lo:[1,0,0]
	v_xor_b32_e32 v88, 0x80000000, v55
	v_mov_b32_e32 v89, v54
	v_pk_fma_f32 v[82:83], v[52:53], v[58:59], v[82:83] op_sel_hi:[1,0,1]
	v_pk_fma_f32 v[78:79], v[54:55], v[58:59], v[78:79] op_sel_hi:[1,0,1]
	v_pk_fma_f32 v[82:83], v[52:53], v[58:59], v[82:83] op_sel:[1,1,0] op_sel_hi:[0,1,1] neg_lo:[1,0,0]
	v_pk_fma_f32 v[80:81], v[56:57], v[58:59], v[80:81] op_sel:[0,1,0]
	v_pk_fma_f32 v[78:79], v[88:89], v[58:59], v[78:79] op_sel:[0,1,0]
	v_pk_fma_f32 v[62:63], v[36:37], v[60:61], v[62:63] op_sel_hi:[1,0,1]
	v_mov_b32_e32 v88, v61
	v_pk_fma_f32 v[80:81], v[38:39], v[60:61], v[80:81] op_sel_hi:[1,0,1]
	v_pk_fma_f32 v[82:83], v[24:25], v[60:61], v[82:83] op_sel_hi:[1,0,1]
	;; [unrolled: 1-line block ×3, first 2 shown]
	v_pk_fma_f32 v[36:37], v[36:37], v[88:89], v[62:63] op_sel:[1,0,0] op_sel_hi:[0,0,1] neg_lo:[1,0,0]
	v_xor_b32_e32 v38, 0x80000000, v27
	v_mov_b32_e32 v39, v26
	v_pk_fma_f32 v[82:83], v[24:25], v[88:89], v[82:83] op_sel:[1,0,0] op_sel_hi:[0,0,1] neg_lo:[1,0,0]
	v_pk_fma_f32 v[80:81], v[90:91], v[88:89], v[80:81] op_sel_hi:[1,0,1]
	v_pk_fma_f32 v[78:79], v[38:39], v[88:89], v[78:79] op_sel_hi:[1,0,1]
	s_waitcnt vmcnt(0)
	v_pk_fma_f32 v[36:37], v[40:41], v[94:95], v[36:37] op_sel_hi:[1,0,1]
	v_xor_b32_e32 v88, 0x80000000, v43
	v_mov_b32_e32 v89, v42
	v_pk_fma_f32 v[42:43], v[42:43], v[94:95], v[80:81] op_sel_hi:[1,0,1]
	v_pk_fma_f32 v[80:81], v[40:41], v[94:95], v[36:37] op_sel:[1,1,0] op_sel_hi:[0,1,1] neg_lo:[1,0,0]
	v_xor_b32_e32 v40, 0x80000000, v23
	v_mov_b32_e32 v41, v22
	v_pk_fma_f32 v[82:83], v[20:21], v[94:95], v[82:83] op_sel_hi:[1,0,1]
	v_pk_fma_f32 v[78:79], v[22:23], v[94:95], v[78:79] op_sel_hi:[1,0,1]
	v_pk_fma_f32 v[82:83], v[20:21], v[94:95], v[82:83] op_sel:[1,1,0] op_sel_hi:[0,1,1] neg_lo:[1,0,0]
	v_pk_fma_f32 v[88:89], v[88:89], v[94:95], v[42:43] op_sel:[0,1,0]
	v_pk_fma_f32 v[78:79], v[40:41], v[94:95], v[78:79] op_sel:[0,1,0]
	v_pk_fma_f32 v[88:89], v[10:11], v[96:97], v[88:89] op_sel_hi:[1,0,1]
	v_pk_fma_f32 v[82:83], v[4:5], v[96:97], v[82:83] op_sel_hi:[1,0,1]
	;; [unrolled: 1-line block ×3, first 2 shown]
	v_mov_b32_e32 v94, v97
	v_xor_b32_e32 v78, 0x80000000, v11
	v_mov_b32_e32 v11, v6
	v_subrev_u32_e32 v6, s16, v75
	v_pk_fma_f32 v[82:83], v[4:5], v[94:95], v[82:83] op_sel:[1,0,0] op_sel_hi:[0,0,1] neg_lo:[1,0,0]
	v_lshlrev_b32_e32 v4, 2, v6
	v_ashrrev_i32_e32 v5, 31, v4
	v_pk_fma_f32 v[80:81], v[8:9], v[96:97], v[80:81] op_sel_hi:[1,0,1]
	v_mov_b32_e32 v79, v10
	v_lshl_add_u64 v[4:5], v[4:5], 3, s[2:3]
	v_pk_fma_f32 v[8:9], v[8:9], v[94:95], v[80:81] op_sel:[1,0,0] op_sel_hi:[0,0,1] neg_lo:[1,0,0]
	v_xor_b32_e32 v10, 0x80000000, v7
	v_pk_fma_f32 v[6:7], v[78:79], v[94:95], v[88:89] op_sel_hi:[1,0,1]
	global_load_dwordx4 v[78:81], v[4:5], off
	v_pk_fma_f32 v[10:11], v[10:11], v[94:95], v[90:91] op_sel_hi:[1,0,1]
	global_load_dwordx4 v[88:91], v[4:5], off offset:16
	v_xor_b32_e32 v96, 0x80000000, v47
	v_mov_b32_e32 v97, v46
	v_xor_b32_e32 v94, 0x80000000, v31
	v_mov_b32_e32 v95, v30
	global_load_dwordx4 v[56:59], v[76:77], off offset:2064
	global_load_dwordx4 v[60:63], v[76:77], off offset:2048
	v_subrev_u32_e32 v75, s16, v102
	global_load_dwordx4 v[32:35], v[76:77], off offset:2096
	global_load_dwordx4 v[52:55], v[76:77], off offset:2080
	;; [unrolled: 1-line block ×6, first 2 shown]
	s_waitcnt vmcnt(9)
	v_pk_fma_f32 v[4:5], v[44:45], v[78:79], v[8:9] op_sel_hi:[1,0,1]
	v_pk_fma_f32 v[46:47], v[46:47], v[78:79], v[6:7] op_sel_hi:[1,0,1]
	;; [unrolled: 1-line block ×4, first 2 shown]
	v_pk_fma_f32 v[44:45], v[44:45], v[78:79], v[4:5] op_sel:[1,1,0] op_sel_hi:[0,1,1] neg_lo:[1,0,0]
	v_pk_fma_f32 v[82:83], v[28:29], v[78:79], v[8:9] op_sel:[1,1,0] op_sel_hi:[0,1,1] neg_lo:[1,0,0]
	v_pk_fma_f32 v[46:47], v[96:97], v[78:79], v[46:47] op_sel:[0,1,0]
	v_pk_fma_f32 v[78:79], v[94:95], v[78:79], v[30:31] op_sel:[0,1,0]
	v_pk_fma_f32 v[44:45], v[16:17], v[80:81], v[44:45] op_sel_hi:[1,0,1]
	v_pk_fma_f32 v[46:47], v[18:19], v[80:81], v[46:47] op_sel_hi:[1,0,1]
	;; [unrolled: 1-line block ×4, first 2 shown]
	v_mov_b32_e32 v80, v81
	v_xor_b32_e32 v94, 0x80000000, v19
	v_mov_b32_e32 v95, v18
	v_xor_b32_e32 v96, 0x80000000, v15
	v_mov_b32_e32 v97, v14
	v_pk_fma_f32 v[44:45], v[16:17], v[80:81], v[44:45] op_sel:[1,0,0] op_sel_hi:[0,0,1] neg_lo:[1,0,0]
	v_pk_fma_f32 v[82:83], v[12:13], v[80:81], v[82:83] op_sel:[1,0,0] op_sel_hi:[0,0,1] neg_lo:[1,0,0]
	v_pk_fma_f32 v[46:47], v[94:95], v[80:81], v[46:47] op_sel_hi:[1,0,1]
	v_pk_fma_f32 v[78:79], v[96:97], v[80:81], v[78:79] op_sel_hi:[1,0,1]
	v_xor_b32_e32 v80, 0x80000000, v87
	v_mov_b32_e32 v81, v86
	s_waitcnt vmcnt(8)
	v_pk_fma_f32 v[44:45], v[84:85], v[88:89], v[44:45] op_sel_hi:[1,0,1]
	v_pk_fma_f32 v[86:87], v[86:87], v[88:89], v[46:47] op_sel_hi:[1,0,1]
	v_xor_b32_e32 v94, 0x80000000, v67
	v_mov_b32_e32 v95, v66
	v_pk_fma_f32 v[82:83], v[64:65], v[88:89], v[82:83] op_sel_hi:[1,0,1]
	v_pk_fma_f32 v[78:79], v[66:67], v[88:89], v[78:79] op_sel_hi:[1,0,1]
	v_pk_fma_f32 v[84:85], v[84:85], v[88:89], v[44:45] op_sel:[1,1,0] op_sel_hi:[0,1,1] neg_lo:[1,0,0]
	v_pk_fma_f32 v[82:83], v[64:65], v[88:89], v[82:83] op_sel:[1,1,0] op_sel_hi:[0,1,1] neg_lo:[1,0,0]
	v_pk_fma_f32 v[86:87], v[80:81], v[88:89], v[86:87] op_sel:[0,1,0]
	v_pk_fma_f32 v[88:89], v[94:95], v[88:89], v[78:79] op_sel:[0,1,0]
	v_pk_fma_f32 v[84:85], v[48:49], v[90:91], v[84:85] op_sel_hi:[1,0,1]
	v_pk_fma_f32 v[86:87], v[50:51], v[90:91], v[86:87] op_sel_hi:[1,0,1]
	;; [unrolled: 1-line block ×4, first 2 shown]
	v_mov_b32_e32 v90, v91
	v_pk_fma_f32 v[82:83], v[0:1], v[90:91], v[82:83] op_sel:[1,0,0] op_sel_hi:[0,0,1] neg_lo:[1,0,0]
	v_subrev_u32_e32 v0, s16, v93
	v_lshlrev_b32_e32 v0, 2, v0
	v_ashrrev_i32_e32 v1, 31, v0
	v_pk_fma_f32 v[84:85], v[48:49], v[90:91], v[84:85] op_sel:[1,0,0] op_sel_hi:[0,0,1] neg_lo:[1,0,0]
	v_xor_b32_e32 v48, 0x80000000, v3
	v_mov_b32_e32 v49, v2
	v_lshl_add_u64 v[102:103], v[0:1], 3, s[2:3]
	global_load_dwordx4 v[4:7], v[76:77], off offset:3120
	global_load_dwordx4 v[8:11], v[76:77], off offset:3104
	;; [unrolled: 1-line block ×8, first 2 shown]
	v_xor_b32_e32 v94, 0x80000000, v51
	v_mov_b32_e32 v95, v50
	v_pk_fma_f32 v[88:89], v[48:49], v[90:91], v[88:89] op_sel_hi:[1,0,1]
	global_load_dwordx4 v[0:3], v[102:103], off
	global_load_dwordx4 v[48:51], v[102:103], off offset:16
	v_pk_fma_f32 v[86:87], v[94:95], v[90:91], v[86:87] op_sel_hi:[1,0,1]
	s_waitcnt vmcnt(16)
	v_xor_b32_e32 v96, 0x80000000, v63
	v_mov_b32_e32 v97, v62
	v_xor_b32_e32 v98, 0x80000000, v59
	v_mov_b32_e32 v99, v58
	s_waitcnt vmcnt(14)
	v_xor_b32_e32 v100, 0x80000000, v55
	v_mov_b32_e32 v101, v54
	v_lshl_add_u64 v[76:77], v[76:77], 0, s[14:15]
	s_waitcnt vmcnt(8)
	v_xor_b32_e32 v94, 0x80000000, v11
	v_mov_b32_e32 v95, v10
	s_waitcnt vmcnt(1)
	v_pk_fma_f32 v[84:85], v[60:61], v[0:1], v[84:85] op_sel_hi:[1,0,1]
	s_nop 0
	v_pk_fma_f32 v[84:85], v[60:61], v[0:1], v[84:85] op_sel:[1,1,0] op_sel_hi:[0,1,1] neg_lo:[1,0,0]
	v_lshlrev_b32_e32 v60, 2, v75
	v_ashrrev_i32_e32 v61, 31, v60
	v_lshl_add_u64 v[90:91], v[60:61], 3, s[2:3]
	v_pk_fma_f32 v[60:61], v[56:57], v[0:1], v[82:83] op_sel_hi:[1,0,1]
	v_pk_fma_f32 v[86:87], v[62:63], v[0:1], v[86:87] op_sel_hi:[1,0,1]
	;; [unrolled: 1-line block ×3, first 2 shown]
	v_pk_fma_f32 v[88:89], v[56:57], v[0:1], v[60:61] op_sel:[1,1,0] op_sel_hi:[0,1,1] neg_lo:[1,0,0]
	global_load_dwordx4 v[56:59], v[90:91], off
	global_load_dwordx4 v[60:63], v[90:91], off offset:16
	v_pk_fma_f32 v[86:87], v[96:97], v[0:1], v[86:87] op_sel:[0,1,0]
	v_pk_fma_f32 v[0:1], v[98:99], v[0:1], v[82:83] op_sel:[0,1,0]
	v_xor_b32_e32 v90, 0x80000000, v35
	v_mov_b32_e32 v91, v34
	v_pk_fma_f32 v[84:85], v[52:53], v[2:3], v[84:85] op_sel_hi:[1,0,1]
	v_pk_fma_f32 v[54:55], v[54:55], v[2:3], v[86:87] op_sel_hi:[1,0,1]
	;; [unrolled: 1-line block ×4, first 2 shown]
	v_mov_b32_e32 v2, v3
	v_pk_fma_f32 v[52:53], v[52:53], v[2:3], v[84:85] op_sel:[1,0,0] op_sel_hi:[0,0,1] neg_lo:[1,0,0]
	v_pk_fma_f32 v[32:33], v[32:33], v[2:3], v[86:87] op_sel:[1,0,0] op_sel_hi:[0,0,1] neg_lo:[1,0,0]
	v_pk_fma_f32 v[54:55], v[100:101], v[2:3], v[54:55] op_sel_hi:[1,0,1]
	v_pk_fma_f32 v[0:1], v[90:91], v[2:3], v[0:1] op_sel_hi:[1,0,1]
	v_xor_b32_e32 v82, 0x80000000, v43
	v_mov_b32_e32 v83, v42
	v_xor_b32_e32 v84, 0x80000000, v23
	v_mov_b32_e32 v85, v22
	s_waitcnt vmcnt(2)
	v_pk_fma_f32 v[52:53], v[40:41], v[48:49], v[52:53] op_sel_hi:[1,0,1]
	v_pk_fma_f32 v[42:43], v[42:43], v[48:49], v[54:55] op_sel_hi:[1,0,1]
	;; [unrolled: 1-line block ×4, first 2 shown]
	v_pk_fma_f32 v[40:41], v[40:41], v[48:49], v[52:53] op_sel:[1,1,0] op_sel_hi:[0,1,1] neg_lo:[1,0,0]
	v_pk_fma_f32 v[20:21], v[20:21], v[48:49], v[32:33] op_sel:[1,1,0] op_sel_hi:[0,1,1] neg_lo:[1,0,0]
	v_pk_fma_f32 v[42:43], v[82:83], v[48:49], v[42:43] op_sel:[0,1,0]
	v_pk_fma_f32 v[0:1], v[84:85], v[48:49], v[0:1] op_sel:[0,1,0]
	v_xor_b32_e32 v34, 0x80000000, v39
	v_mov_b32_e32 v35, v38
	v_xor_b32_e32 v88, 0x80000000, v27
	v_mov_b32_e32 v89, v26
	v_mov_b32_e32 v32, v51
	v_pk_fma_f32 v[40:41], v[36:37], v[50:51], v[40:41] op_sel_hi:[1,0,1]
	v_pk_fma_f32 v[38:39], v[38:39], v[50:51], v[42:43] op_sel_hi:[1,0,1]
	;; [unrolled: 1-line block ×4, first 2 shown]
	v_pk_fma_f32 v[26:27], v[36:37], v[32:33], v[40:41] op_sel:[1,0,0] op_sel_hi:[0,0,1] neg_lo:[1,0,0]
	v_pk_fma_f32 v[20:21], v[24:25], v[32:33], v[20:21] op_sel:[1,0,0] op_sel_hi:[0,0,1] neg_lo:[1,0,0]
	v_pk_fma_f32 v[24:25], v[34:35], v[32:33], v[38:39] op_sel_hi:[1,0,1]
	v_pk_fma_f32 v[0:1], v[88:89], v[32:33], v[0:1] op_sel_hi:[1,0,1]
	v_xor_b32_e32 v86, 0x80000000, v15
	v_mov_b32_e32 v87, v14
	v_xor_b32_e32 v90, 0x80000000, v31
	v_mov_b32_e32 v91, v30
	;; [unrolled: 2-line block ×7, first 2 shown]
	s_waitcnt vmcnt(1)
	v_pk_fma_f32 v[26:27], v[12:13], v[56:57], v[26:27] op_sel_hi:[1,0,1]
	v_pk_fma_f32 v[14:15], v[14:15], v[56:57], v[24:25] op_sel_hi:[1,0,1]
	;; [unrolled: 1-line block ×4, first 2 shown]
	v_pk_fma_f32 v[12:13], v[12:13], v[56:57], v[26:27] op_sel:[1,1,0] op_sel_hi:[0,1,1] neg_lo:[1,0,0]
	v_pk_fma_f32 v[14:15], v[86:87], v[56:57], v[14:15] op_sel:[0,1,0]
	v_pk_fma_f32 v[20:21], v[28:29], v[56:57], v[20:21] op_sel:[1,1,0] op_sel_hi:[0,1,1] neg_lo:[1,0,0]
	v_pk_fma_f32 v[0:1], v[90:91], v[56:57], v[0:1] op_sel:[0,1,0]
	v_mov_b32_e32 v82, v59
	v_pk_fma_f32 v[12:13], v[8:9], v[58:59], v[12:13] op_sel_hi:[1,0,1]
	v_pk_fma_f32 v[10:11], v[10:11], v[58:59], v[14:15] op_sel_hi:[1,0,1]
	;; [unrolled: 1-line block ×4, first 2 shown]
	v_pk_fma_f32 v[6:7], v[8:9], v[82:83], v[12:13] op_sel:[1,0,0] op_sel_hi:[0,0,1] neg_lo:[1,0,0]
	v_pk_fma_f32 v[8:9], v[94:95], v[82:83], v[10:11] op_sel_hi:[1,0,1]
	v_pk_fma_f32 v[4:5], v[4:5], v[82:83], v[14:15] op_sel:[1,0,0] op_sel_hi:[0,0,1] neg_lo:[1,0,0]
	v_pk_fma_f32 v[0:1], v[52:53], v[82:83], v[0:1] op_sel_hi:[1,0,1]
	s_waitcnt vmcnt(0)
	v_pk_fma_f32 v[6:7], v[64:65], v[60:61], v[6:7] op_sel_hi:[1,0,1]
	v_pk_fma_f32 v[8:9], v[66:67], v[60:61], v[8:9] op_sel_hi:[1,0,1]
	v_pk_fma_f32 v[4:5], v[44:45], v[60:61], v[4:5] op_sel_hi:[1,0,1]
	v_pk_fma_f32 v[0:1], v[46:47], v[60:61], v[0:1] op_sel_hi:[1,0,1]
	v_pk_fma_f32 v[6:7], v[64:65], v[60:61], v[6:7] op_sel:[1,1,0] op_sel_hi:[0,1,1] neg_lo:[1,0,0]
	v_pk_fma_f32 v[8:9], v[96:97], v[60:61], v[8:9] op_sel:[0,1,0]
	v_pk_fma_f32 v[4:5], v[44:45], v[60:61], v[4:5] op_sel:[1,1,0] op_sel_hi:[0,1,1] neg_lo:[1,0,0]
	v_pk_fma_f32 v[0:1], v[54:55], v[60:61], v[0:1] op_sel:[0,1,0]
	v_mov_b32_e32 v48, v63
	v_pk_fma_f32 v[6:7], v[16:17], v[62:63], v[6:7] op_sel_hi:[1,0,1]
	v_pk_fma_f32 v[8:9], v[18:19], v[62:63], v[8:9] op_sel_hi:[1,0,1]
	;; [unrolled: 1-line block ×4, first 2 shown]
	v_pk_fma_f32 v[88:89], v[16:17], v[48:49], v[6:7] op_sel:[1,0,0] op_sel_hi:[0,0,1] neg_lo:[1,0,0]
	v_pk_fma_f32 v[80:81], v[2:3], v[48:49], v[8:9] op_sel_hi:[1,0,1]
	v_pk_fma_f32 v[82:83], v[78:79], v[48:49], v[4:5] op_sel:[1,0,0] op_sel_hi:[0,0,1] neg_lo:[1,0,0]
	v_pk_fma_f32 v[78:79], v[22:23], v[48:49], v[0:1] op_sel_hi:[1,0,1]
	s_andn2_b64 exec, exec, s[10:11]
	s_cbranch_execnz .LBB11_29
; %bb.30:
	s_or_b64 exec, exec, s[10:11]
.LBB11_31:
	s_or_b64 exec, exec, s[4:5]
.LBB11_32:
	s_or_b64 exec, exec, s[8:9]
.LBB11_33:
	v_mov_b32_dpp v6, v81 row_shr:1 row_mask:0xf bank_mask:0xf
	v_add_f32_e32 v6, v81, v6
	v_mov_b32_dpp v0, v88 row_shr:1 row_mask:0xf bank_mask:0xf
	v_mov_b32_dpp v2, v89 row_shr:1 row_mask:0xf bank_mask:0xf
	;; [unrolled: 1-line block ×3, first 2 shown]
	v_add_f32_e32 v7, v6, v7
	v_mov_b32_dpp v6, v82 row_shr:1 row_mask:0xf bank_mask:0xf
	v_add_f32_e32 v6, v82, v6
	v_mov_b32_dpp v4, v80 row_shr:1 row_mask:0xf bank_mask:0xf
	;; [unrolled: 2-line block ×4, first 2 shown]
	v_add_f32_e32 v6, v83, v6
	v_add_f32_e32 v2, v89, v2
	;; [unrolled: 1-line block ×3, first 2 shown]
	v_mov_b32_dpp v11, v6 row_shr:2 row_mask:0xf bank_mask:0xf
	v_add_f32_e32 v11, v6, v11
	v_mov_b32_dpp v6, v78 row_shr:1 row_mask:0xf bank_mask:0xf
	v_add_f32_e32 v6, v78, v6
	v_mov_b32_dpp v1, v0 row_shr:2 row_mask:0xf bank_mask:0xf
	v_mov_b32_dpp v3, v2 row_shr:2 row_mask:0xf bank_mask:0xf
	;; [unrolled: 1-line block ×3, first 2 shown]
	v_add_f32_e32 v15, v6, v12
	v_mov_b32_dpp v6, v79 row_shr:1 row_mask:0xf bank_mask:0xf
	v_add_f32_e32 v6, v79, v6
	v_mov_b32_dpp v5, v4 row_shr:2 row_mask:0xf bank_mask:0xf
	;; [unrolled: 2-line block ×3, first 2 shown]
	v_add_f32_e32 v2, v2, v3
	v_add_f32_e32 v4, v4, v5
	;; [unrolled: 1-line block ×3, first 2 shown]
	v_mov_b32_dpp v1, v0 row_shr:4 row_mask:0xf bank_mask:0xe
	v_mov_b32_dpp v3, v2 row_shr:4 row_mask:0xf bank_mask:0xe
	;; [unrolled: 1-line block ×8, first 2 shown]
	v_cmp_eq_u32_e32 vcc, 7, v73
	s_and_b64 exec, exec, vcc
	s_cbranch_execz .LBB11_6
; %bb.34:
	s_load_dwordx2 s[0:1], s[0:1], 0x50
	v_cmp_eq_f32_e32 vcc, 0, v70
	s_xor_b64 s[2:3], s[6:7], -1
	v_add_f32_e32 v6, v0, v1
	v_add_f32_e32 v14, v2, v3
	;; [unrolled: 1-line block ×8, first 2 shown]
	s_and_b64 s[2:3], vcc, s[2:3]
	v_lshlrev_b32_e32 v16, 2, v72
	s_and_saveexec_b64 s[4:5], s[2:3]
	s_xor_b64 s[2:3], exec, s[4:5]
	s_cbranch_execz .LBB11_36
; %bb.35:
	v_xor_b32_e32 v18, 0x80000000, v69
	v_mov_b32_e32 v19, v68
	v_pk_mul_f32 v[14:15], v[14:15], v[18:19] op_sel_hi:[0,1]
	v_ashrrev_i32_e32 v17, 31, v16
	v_pk_fma_f32 v[14:15], v[68:69], v[6:7], v[14:15] op_sel_hi:[1,0,1]
	v_pk_mul_f32 v[6:7], v[12:13], v[18:19] op_sel_hi:[0,1]
	s_waitcnt lgkmcnt(0)
	v_lshl_add_u64 v[20:21], v[16:17], 3, s[0:1]
	v_pk_fma_f32 v[16:17], v[68:69], v[4:5], v[6:7] op_sel_hi:[1,0,1]
	v_pk_mul_f32 v[4:5], v[10:11], v[18:19] op_sel_hi:[0,1]
	v_pk_fma_f32 v[2:3], v[68:69], v[2:3], v[4:5] op_sel_hi:[1,0,1]
	v_pk_mul_f32 v[4:5], v[8:9], v[18:19] op_sel_hi:[0,1]
	v_pk_fma_f32 v[4:5], v[68:69], v[0:1], v[4:5] op_sel_hi:[1,0,1]
	global_store_dwordx4 v[20:21], v[14:17], off
	global_store_dwordx4 v[20:21], v[2:5], off offset:16
                                        ; implicit-def: $vgpr6
                                        ; implicit-def: $vgpr14
                                        ; implicit-def: $vgpr4
                                        ; implicit-def: $vgpr12
                                        ; implicit-def: $vgpr2
                                        ; implicit-def: $vgpr10
                                        ; implicit-def: $vgpr0
                                        ; implicit-def: $vgpr8
                                        ; implicit-def: $vgpr68_vgpr69
                                        ; implicit-def: $vgpr70_vgpr71
                                        ; implicit-def: $vgpr16
.LBB11_36:
	s_andn2_saveexec_b64 s[2:3], s[2:3]
	s_cbranch_execz .LBB11_6
; %bb.37:
	v_ashrrev_i32_e32 v17, 31, v16
	s_waitcnt lgkmcnt(0)
	v_lshl_add_u64 v[24:25], v[16:17], 3, s[0:1]
	global_load_dwordx4 v[16:19], v[24:25], off
	global_load_dwordx4 v[20:23], v[24:25], off offset:16
	v_xor_b32_e32 v26, 0x80000000, v69
	v_mov_b32_e32 v27, v68
	v_pk_mul_f32 v[14:15], v[14:15], v[26:27] op_sel_hi:[0,1]
	v_pk_mul_f32 v[12:13], v[12:13], v[26:27] op_sel_hi:[0,1]
	;; [unrolled: 1-line block ×4, first 2 shown]
	v_pk_fma_f32 v[6:7], v[68:69], v[6:7], v[14:15] op_sel_hi:[1,0,1]
	v_pk_fma_f32 v[4:5], v[68:69], v[4:5], v[12:13] op_sel_hi:[1,0,1]
	v_xor_b32_e32 v28, 0x80000000, v71
	v_mov_b32_e32 v29, v70
	v_pk_fma_f32 v[2:3], v[68:69], v[2:3], v[10:11] op_sel_hi:[1,0,1]
	v_pk_fma_f32 v[0:1], v[68:69], v[0:1], v[8:9] op_sel_hi:[1,0,1]
	s_waitcnt vmcnt(1)
	v_pk_fma_f32 v[6:7], v[70:71], v[16:17], v[6:7] op_sel_hi:[1,0,1]
	v_pk_fma_f32 v[4:5], v[70:71], v[18:19], v[4:5] op_sel_hi:[1,0,1]
	v_mov_b32_e32 v8, v19
	s_waitcnt vmcnt(0)
	v_pk_fma_f32 v[10:11], v[70:71], v[20:21], v[2:3] op_sel_hi:[1,0,1]
	v_pk_fma_f32 v[12:13], v[70:71], v[22:23], v[0:1] op_sel_hi:[1,0,1]
	v_mov_b32_e32 v14, v23
	v_pk_fma_f32 v[0:1], v[28:29], v[16:17], v[6:7] op_sel:[0,1,0]
	v_pk_fma_f32 v[2:3], v[28:29], v[8:9], v[4:5] op_sel_hi:[1,0,1]
	v_pk_fma_f32 v[4:5], v[28:29], v[20:21], v[10:11] op_sel:[0,1,0]
	v_pk_fma_f32 v[6:7], v[28:29], v[14:15], v[12:13] op_sel_hi:[1,0,1]
	global_store_dwordx4 v[24:25], v[0:3], off
	global_store_dwordx4 v[24:25], v[4:7], off offset:16
	s_endpgm
	.section	.rodata,"a",@progbits
	.p2align	6, 0x0
	.amdhsa_kernel _ZN9rocsparseL18bsrxmvn_4x4_kernelILj128ELj8E21rocsparse_complex_numIfEiiS2_S2_S2_EEvT3_20rocsparse_direction_NS_24const_host_device_scalarIT1_EES3_PKS3_PKT2_SC_S9_PKT4_PKT5_S7_PT6_21rocsparse_index_base_b
		.amdhsa_group_segment_fixed_size 0
		.amdhsa_private_segment_fixed_size 0
		.amdhsa_kernarg_size 96
		.amdhsa_user_sgpr_count 2
		.amdhsa_user_sgpr_dispatch_ptr 0
		.amdhsa_user_sgpr_queue_ptr 0
		.amdhsa_user_sgpr_kernarg_segment_ptr 1
		.amdhsa_user_sgpr_dispatch_id 0
		.amdhsa_user_sgpr_kernarg_preload_length 0
		.amdhsa_user_sgpr_kernarg_preload_offset 0
		.amdhsa_user_sgpr_private_segment_size 0
		.amdhsa_uses_dynamic_stack 0
		.amdhsa_enable_private_segment 0
		.amdhsa_system_sgpr_workgroup_id_x 1
		.amdhsa_system_sgpr_workgroup_id_y 0
		.amdhsa_system_sgpr_workgroup_id_z 0
		.amdhsa_system_sgpr_workgroup_info 0
		.amdhsa_system_vgpr_workitem_id 0
		.amdhsa_next_free_vgpr 104
		.amdhsa_next_free_sgpr 20
		.amdhsa_accum_offset 104
		.amdhsa_reserve_vcc 1
		.amdhsa_float_round_mode_32 0
		.amdhsa_float_round_mode_16_64 0
		.amdhsa_float_denorm_mode_32 3
		.amdhsa_float_denorm_mode_16_64 3
		.amdhsa_dx10_clamp 1
		.amdhsa_ieee_mode 1
		.amdhsa_fp16_overflow 0
		.amdhsa_tg_split 0
		.amdhsa_exception_fp_ieee_invalid_op 0
		.amdhsa_exception_fp_denorm_src 0
		.amdhsa_exception_fp_ieee_div_zero 0
		.amdhsa_exception_fp_ieee_overflow 0
		.amdhsa_exception_fp_ieee_underflow 0
		.amdhsa_exception_fp_ieee_inexact 0
		.amdhsa_exception_int_div_zero 0
	.end_amdhsa_kernel
	.section	.text._ZN9rocsparseL18bsrxmvn_4x4_kernelILj128ELj8E21rocsparse_complex_numIfEiiS2_S2_S2_EEvT3_20rocsparse_direction_NS_24const_host_device_scalarIT1_EES3_PKS3_PKT2_SC_S9_PKT4_PKT5_S7_PT6_21rocsparse_index_base_b,"axG",@progbits,_ZN9rocsparseL18bsrxmvn_4x4_kernelILj128ELj8E21rocsparse_complex_numIfEiiS2_S2_S2_EEvT3_20rocsparse_direction_NS_24const_host_device_scalarIT1_EES3_PKS3_PKT2_SC_S9_PKT4_PKT5_S7_PT6_21rocsparse_index_base_b,comdat
.Lfunc_end11:
	.size	_ZN9rocsparseL18bsrxmvn_4x4_kernelILj128ELj8E21rocsparse_complex_numIfEiiS2_S2_S2_EEvT3_20rocsparse_direction_NS_24const_host_device_scalarIT1_EES3_PKS3_PKT2_SC_S9_PKT4_PKT5_S7_PT6_21rocsparse_index_base_b, .Lfunc_end11-_ZN9rocsparseL18bsrxmvn_4x4_kernelILj128ELj8E21rocsparse_complex_numIfEiiS2_S2_S2_EEvT3_20rocsparse_direction_NS_24const_host_device_scalarIT1_EES3_PKS3_PKT2_SC_S9_PKT4_PKT5_S7_PT6_21rocsparse_index_base_b
                                        ; -- End function
	.set _ZN9rocsparseL18bsrxmvn_4x4_kernelILj128ELj8E21rocsparse_complex_numIfEiiS2_S2_S2_EEvT3_20rocsparse_direction_NS_24const_host_device_scalarIT1_EES3_PKS3_PKT2_SC_S9_PKT4_PKT5_S7_PT6_21rocsparse_index_base_b.num_vgpr, 104
	.set _ZN9rocsparseL18bsrxmvn_4x4_kernelILj128ELj8E21rocsparse_complex_numIfEiiS2_S2_S2_EEvT3_20rocsparse_direction_NS_24const_host_device_scalarIT1_EES3_PKS3_PKT2_SC_S9_PKT4_PKT5_S7_PT6_21rocsparse_index_base_b.num_agpr, 0
	.set _ZN9rocsparseL18bsrxmvn_4x4_kernelILj128ELj8E21rocsparse_complex_numIfEiiS2_S2_S2_EEvT3_20rocsparse_direction_NS_24const_host_device_scalarIT1_EES3_PKS3_PKT2_SC_S9_PKT4_PKT5_S7_PT6_21rocsparse_index_base_b.numbered_sgpr, 20
	.set _ZN9rocsparseL18bsrxmvn_4x4_kernelILj128ELj8E21rocsparse_complex_numIfEiiS2_S2_S2_EEvT3_20rocsparse_direction_NS_24const_host_device_scalarIT1_EES3_PKS3_PKT2_SC_S9_PKT4_PKT5_S7_PT6_21rocsparse_index_base_b.num_named_barrier, 0
	.set _ZN9rocsparseL18bsrxmvn_4x4_kernelILj128ELj8E21rocsparse_complex_numIfEiiS2_S2_S2_EEvT3_20rocsparse_direction_NS_24const_host_device_scalarIT1_EES3_PKS3_PKT2_SC_S9_PKT4_PKT5_S7_PT6_21rocsparse_index_base_b.private_seg_size, 0
	.set _ZN9rocsparseL18bsrxmvn_4x4_kernelILj128ELj8E21rocsparse_complex_numIfEiiS2_S2_S2_EEvT3_20rocsparse_direction_NS_24const_host_device_scalarIT1_EES3_PKS3_PKT2_SC_S9_PKT4_PKT5_S7_PT6_21rocsparse_index_base_b.uses_vcc, 1
	.set _ZN9rocsparseL18bsrxmvn_4x4_kernelILj128ELj8E21rocsparse_complex_numIfEiiS2_S2_S2_EEvT3_20rocsparse_direction_NS_24const_host_device_scalarIT1_EES3_PKS3_PKT2_SC_S9_PKT4_PKT5_S7_PT6_21rocsparse_index_base_b.uses_flat_scratch, 0
	.set _ZN9rocsparseL18bsrxmvn_4x4_kernelILj128ELj8E21rocsparse_complex_numIfEiiS2_S2_S2_EEvT3_20rocsparse_direction_NS_24const_host_device_scalarIT1_EES3_PKS3_PKT2_SC_S9_PKT4_PKT5_S7_PT6_21rocsparse_index_base_b.has_dyn_sized_stack, 0
	.set _ZN9rocsparseL18bsrxmvn_4x4_kernelILj128ELj8E21rocsparse_complex_numIfEiiS2_S2_S2_EEvT3_20rocsparse_direction_NS_24const_host_device_scalarIT1_EES3_PKS3_PKT2_SC_S9_PKT4_PKT5_S7_PT6_21rocsparse_index_base_b.has_recursion, 0
	.set _ZN9rocsparseL18bsrxmvn_4x4_kernelILj128ELj8E21rocsparse_complex_numIfEiiS2_S2_S2_EEvT3_20rocsparse_direction_NS_24const_host_device_scalarIT1_EES3_PKS3_PKT2_SC_S9_PKT4_PKT5_S7_PT6_21rocsparse_index_base_b.has_indirect_call, 0
	.section	.AMDGPU.csdata,"",@progbits
; Kernel info:
; codeLenInByte = 6600
; TotalNumSgprs: 26
; NumVgprs: 104
; NumAgprs: 0
; TotalNumVgprs: 104
; ScratchSize: 0
; MemoryBound: 0
; FloatMode: 240
; IeeeMode: 1
; LDSByteSize: 0 bytes/workgroup (compile time only)
; SGPRBlocks: 3
; VGPRBlocks: 12
; NumSGPRsForWavesPerEU: 26
; NumVGPRsForWavesPerEU: 104
; AccumOffset: 104
; Occupancy: 4
; WaveLimiterHint : 1
; COMPUTE_PGM_RSRC2:SCRATCH_EN: 0
; COMPUTE_PGM_RSRC2:USER_SGPR: 2
; COMPUTE_PGM_RSRC2:TRAP_HANDLER: 0
; COMPUTE_PGM_RSRC2:TGID_X_EN: 1
; COMPUTE_PGM_RSRC2:TGID_Y_EN: 0
; COMPUTE_PGM_RSRC2:TGID_Z_EN: 0
; COMPUTE_PGM_RSRC2:TIDIG_COMP_CNT: 0
; COMPUTE_PGM_RSRC3_GFX90A:ACCUM_OFFSET: 25
; COMPUTE_PGM_RSRC3_GFX90A:TG_SPLIT: 0
	.section	.text._ZN9rocsparseL18bsrxmvn_4x4_kernelILj128ELj16E21rocsparse_complex_numIfEiiS2_S2_S2_EEvT3_20rocsparse_direction_NS_24const_host_device_scalarIT1_EES3_PKS3_PKT2_SC_S9_PKT4_PKT5_S7_PT6_21rocsparse_index_base_b,"axG",@progbits,_ZN9rocsparseL18bsrxmvn_4x4_kernelILj128ELj16E21rocsparse_complex_numIfEiiS2_S2_S2_EEvT3_20rocsparse_direction_NS_24const_host_device_scalarIT1_EES3_PKS3_PKT2_SC_S9_PKT4_PKT5_S7_PT6_21rocsparse_index_base_b,comdat
	.globl	_ZN9rocsparseL18bsrxmvn_4x4_kernelILj128ELj16E21rocsparse_complex_numIfEiiS2_S2_S2_EEvT3_20rocsparse_direction_NS_24const_host_device_scalarIT1_EES3_PKS3_PKT2_SC_S9_PKT4_PKT5_S7_PT6_21rocsparse_index_base_b ; -- Begin function _ZN9rocsparseL18bsrxmvn_4x4_kernelILj128ELj16E21rocsparse_complex_numIfEiiS2_S2_S2_EEvT3_20rocsparse_direction_NS_24const_host_device_scalarIT1_EES3_PKS3_PKT2_SC_S9_PKT4_PKT5_S7_PT6_21rocsparse_index_base_b
	.p2align	8
	.type	_ZN9rocsparseL18bsrxmvn_4x4_kernelILj128ELj16E21rocsparse_complex_numIfEiiS2_S2_S2_EEvT3_20rocsparse_direction_NS_24const_host_device_scalarIT1_EES3_PKS3_PKT2_SC_S9_PKT4_PKT5_S7_PT6_21rocsparse_index_base_b,@function
_ZN9rocsparseL18bsrxmvn_4x4_kernelILj128ELj16E21rocsparse_complex_numIfEiiS2_S2_S2_EEvT3_20rocsparse_direction_NS_24const_host_device_scalarIT1_EES3_PKS3_PKT2_SC_S9_PKT4_PKT5_S7_PT6_21rocsparse_index_base_b: ; @_ZN9rocsparseL18bsrxmvn_4x4_kernelILj128ELj16E21rocsparse_complex_numIfEiiS2_S2_S2_EEvT3_20rocsparse_direction_NS_24const_host_device_scalarIT1_EES3_PKS3_PKT2_SC_S9_PKT4_PKT5_S7_PT6_21rocsparse_index_base_b
; %bb.0:
	s_load_dwordx2 s[4:5], s[0:1], 0x8
	s_load_dwordx2 s[16:17], s[0:1], 0x58
	s_add_u32 s3, s0, 8
	s_addc_u32 s8, s1, 0
	s_load_dwordx2 s[6:7], s[0:1], 0x48
	s_add_u32 s9, s0, 0x48
	s_addc_u32 s10, s1, 0
	s_waitcnt lgkmcnt(0)
	s_bitcmp1_b32 s17, 0
	s_cselect_b32 s3, s3, s4
	s_cselect_b32 s5, s8, s5
	v_mov_b32_e32 v2, s3
	s_cselect_b32 s3, s10, s7
	s_cselect_b32 s4, s9, s6
	v_mov_b32_e32 v3, s5
	v_mov_b32_e32 v4, s4
	;; [unrolled: 1-line block ×3, first 2 shown]
	flat_load_dwordx2 v[72:73], v[2:3]
	flat_load_dwordx2 v[74:75], v[4:5]
	s_waitcnt vmcnt(0) lgkmcnt(0)
	v_cmp_neq_f32_e32 vcc, 0, v72
	v_cmp_neq_f32_e64 s[4:5], 0, v73
	v_cmp_neq_f32_e64 s[8:9], 1.0, v74
	v_cmp_neq_f32_e64 s[6:7], 0, v75
	s_or_b64 s[4:5], vcc, s[4:5]
	s_or_b64 s[8:9], s[8:9], s[6:7]
	s_or_b64 s[4:5], s[4:5], s[8:9]
	s_and_saveexec_b64 s[8:9], s[4:5]
	s_cbranch_execz .LBB12_6
; %bb.1:
	s_load_dwordx2 s[8:9], s[0:1], 0x18
	s_load_dwordx2 s[4:5], s[0:1], 0x0
	v_lshrrev_b32_e32 v1, 4, v0
	v_lshl_or_b32 v76, s2, 3, v1
	s_mov_b64 s[2:3], 0
	s_waitcnt lgkmcnt(0)
	s_cmp_lg_u64 s[8:9], 0
	s_cbranch_scc0 .LBB12_7
; %bb.2:
	s_load_dword s10, s[0:1], 0x10
                                        ; implicit-def: $vgpr1
	s_waitcnt lgkmcnt(0)
	v_cmp_gt_i32_e32 vcc, s10, v76
	s_and_saveexec_b64 s[10:11], vcc
	s_xor_b64 s[10:11], exec, s[10:11]
	s_cbranch_execz .LBB12_4
; %bb.3:
	v_ashrrev_i32_e32 v77, 31, v76
	v_lshl_add_u64 v[2:3], v[76:77], 2, s[8:9]
	global_load_dword v1, v[2:3], off
	s_mov_b64 s[2:3], exec
	s_waitcnt vmcnt(0)
	v_subrev_u32_e32 v1, s16, v1
.LBB12_4:
	s_or_b64 exec, exec, s[10:11]
	s_branch .LBB12_8
.LBB12_5:
	v_cmp_gt_i32_e32 vcc, s4, v76
	s_andn2_b64 s[2:3], s[2:3], exec
	s_and_b64 s[8:9], vcc, exec
	s_or_b64 s[2:3], s[2:3], s[8:9]
	s_and_b64 exec, exec, s[2:3]
	s_cbranch_execnz .LBB12_9
.LBB12_6:
	s_endpgm
.LBB12_7:
                                        ; implicit-def: $vgpr1
	s_cbranch_execnz .LBB12_5
.LBB12_8:
	v_mov_b32_e32 v76, v1
	s_and_b64 exec, exec, s[2:3]
	s_cbranch_execz .LBB12_6
.LBB12_9:
	s_load_dwordx8 s[8:15], s[0:1], 0x20
	v_ashrrev_i32_e32 v77, 31, v76
	v_lshlrev_b64 v[2:3], 2, v[76:77]
	s_load_dwordx2 s[2:3], s[0:1], 0x40
	v_and_b32_e32 v77, 15, v0
	s_waitcnt lgkmcnt(0)
	v_lshl_add_u64 v[4:5], s[8:9], 0, v[2:3]
	s_cmp_eq_u64 s[10:11], 0
	global_load_dword v90, v[4:5], off
	v_lshl_add_u64 v[4:5], v[4:5], 0, 4
	v_lshl_add_u64 v[2:3], s[10:11], 0, v[2:3]
	s_cselect_b64 vcc, -1, 0
	v_cndmask_b32_e32 v3, v3, v5, vcc
	v_cndmask_b32_e32 v2, v2, v4, vcc
	global_load_dword v1, v[2:3], off
	s_cmp_eq_u32 s5, 1
	s_waitcnt vmcnt(1)
	v_subrev_u32_e32 v0, s16, v90
	v_add_u32_e32 v78, v0, v77
	v_ashrrev_i32_e32 v79, 31, v78
	s_waitcnt vmcnt(0)
	v_subrev_u32_e32 v92, s16, v1
	v_lshlrev_b64 v[0:1], 7, v[78:79]
	v_lshl_add_u64 v[80:81], s[14:15], 0, v[0:1]
	v_cmp_lt_i32_e64 s[4:5], v78, v92
	s_cbranch_scc1 .LBB12_21
; %bb.10:
	v_mov_b32_e32 v89, 0
	v_mov_b32_e32 v88, 0
	;; [unrolled: 1-line block ×8, first 2 shown]
	s_and_saveexec_b64 s[8:9], s[4:5]
	s_cbranch_execz .LBB12_20
; %bb.11:
	v_add_u32_e32 v0, v90, v77
	v_subrev_u32_e32 v0, s16, v0
	v_add_u32_e32 v0, 16, v0
	v_max_i32_e32 v0, v0, v92
	v_not_b32_e32 v1, v90
	v_add3_u32 v0, s16, v0, v1
	v_sub_u32_e32 v0, v0, v77
	v_mov_b32_e32 v86, 0
	v_and_b32_e32 v1, 48, v0
	v_mov_b32_e32 v87, v86
	v_cmp_ne_u32_e32 vcc, 48, v1
	v_mov_b64_e32 v[88:89], v[86:87]
	v_mov_b64_e32 v[82:83], v[86:87]
	;; [unrolled: 1-line block ×4, first 2 shown]
	v_mov_b32_e32 v64, v78
	s_and_saveexec_b64 s[10:11], vcc
	s_cbranch_execz .LBB12_15
; %bb.12:
	v_lshrrev_b32_e32 v1, 4, v0
	v_add_u32_e32 v1, 1, v1
	v_and_b32_e32 v1, 3, v1
	v_sub_u32_e32 v1, 0, v1
	s_mov_b64 s[14:15], 0
	s_mov_b64 s[18:19], 0x800
	v_mov_b32_e32 v64, v78
	v_mov_b64_e32 v[66:67], v[80:81]
	v_mov_b32_e32 v87, v86
	v_mov_b32_e32 v84, v86
	;; [unrolled: 1-line block ×7, first 2 shown]
.LBB12_13:                              ; =>This Inner Loop Header: Depth=1
	v_ashrrev_i32_e32 v65, 31, v64
	v_lshl_add_u64 v[34:35], v[64:65], 2, s[12:13]
	global_load_dword v36, v[34:35], off
	global_load_dwordx4 v[2:5], v[66:67], off
	global_load_dwordx4 v[6:9], v[66:67], off offset:16
	global_load_dwordx4 v[10:13], v[66:67], off offset:32
	;; [unrolled: 1-line block ×7, first 2 shown]
	v_add_co_u32_e32 v1, vcc, 1, v1
	v_lshl_add_u64 v[66:67], v[66:67], 0, s[18:19]
	v_add_u32_e32 v64, 16, v64
	s_or_b64 s[14:15], vcc, s[14:15]
	s_waitcnt vmcnt(8)
	v_subrev_u32_e32 v34, s16, v36
	v_lshlrev_b32_e32 v34, 2, v34
	v_ashrrev_i32_e32 v35, 31, v34
	v_lshl_add_u64 v[42:43], v[34:35], 3, s[2:3]
	global_load_dwordx4 v[34:37], v[42:43], off
	global_load_dwordx4 v[38:41], v[42:43], off offset:16
	s_waitcnt vmcnt(9)
	v_xor_b32_e32 v42, 0x80000000, v5
	v_mov_b32_e32 v43, v4
	s_waitcnt vmcnt(7)
	v_xor_b32_e32 v46, 0x80000000, v13
	v_mov_b32_e32 v47, v12
	;; [unrolled: 3-line block ×4, first 2 shown]
	v_xor_b32_e32 v44, 0x80000000, v9
	v_mov_b32_e32 v45, v8
	v_xor_b32_e32 v48, 0x80000000, v17
	v_mov_b32_e32 v49, v16
	;; [unrolled: 2-line block ×4, first 2 shown]
	s_waitcnt vmcnt(1)
	v_pk_fma_f32 v[58:59], v[2:3], v[34:35], v[88:89] op_sel_hi:[1,0,1]
	v_pk_fma_f32 v[60:61], v[10:11], v[34:35], v[86:87] op_sel_hi:[1,0,1]
	;; [unrolled: 1-line block ×4, first 2 shown]
	v_pk_fma_f32 v[2:3], v[2:3], v[34:35], v[58:59] op_sel:[1,1,0] op_sel_hi:[0,1,1] neg_lo:[1,0,0]
	v_pk_fma_f32 v[10:11], v[10:11], v[34:35], v[60:61] op_sel:[1,1,0] op_sel_hi:[0,1,1] neg_lo:[1,0,0]
	;; [unrolled: 1-line block ×4, first 2 shown]
	v_mov_b32_e32 v68, v37
	v_pk_fma_f32 v[2:3], v[4:5], v[36:37], v[2:3] op_sel_hi:[1,0,1]
	v_pk_fma_f32 v[4:5], v[12:13], v[36:37], v[10:11] op_sel_hi:[1,0,1]
	;; [unrolled: 1-line block ×8, first 2 shown]
	s_waitcnt vmcnt(0)
	v_pk_fma_f32 v[2:3], v[6:7], v[38:39], v[2:3] op_sel_hi:[1,0,1]
	v_pk_fma_f32 v[4:5], v[14:15], v[38:39], v[4:5] op_sel_hi:[1,0,1]
	;; [unrolled: 1-line block ×4, first 2 shown]
	v_pk_fma_f32 v[2:3], v[6:7], v[38:39], v[2:3] op_sel:[1,1,0] op_sel_hi:[0,1,1] neg_lo:[1,0,0]
	v_pk_fma_f32 v[4:5], v[14:15], v[38:39], v[4:5] op_sel:[1,1,0] op_sel_hi:[0,1,1] neg_lo:[1,0,0]
	v_pk_fma_f32 v[6:7], v[22:23], v[38:39], v[10:11] op_sel:[1,1,0] op_sel_hi:[0,1,1] neg_lo:[1,0,0]
	v_pk_fma_f32 v[10:11], v[26:27], v[38:39], v[12:13] op_sel:[1,1,0] op_sel_hi:[0,1,1] neg_lo:[1,0,0]
	v_mov_b32_e32 v82, v41
	v_pk_fma_f32 v[2:3], v[8:9], v[40:41], v[2:3] op_sel_hi:[1,0,1]
	v_pk_fma_f32 v[4:5], v[16:17], v[40:41], v[4:5] op_sel_hi:[1,0,1]
	;; [unrolled: 1-line block ×8, first 2 shown]
	s_andn2_b64 exec, exec, s[14:15]
	s_cbranch_execnz .LBB12_13
; %bb.14:
	s_or_b64 exec, exec, s[14:15]
.LBB12_15:
	s_or_b64 exec, exec, s[10:11]
	v_cmp_lt_u32_e32 vcc, 47, v0
	s_and_saveexec_b64 s[10:11], vcc
	s_cbranch_execz .LBB12_19
; %bb.16:
	s_mov_b64 s[14:15], 0
	s_mov_b64 s[18:19], 0x1000
	s_movk_i32 s17, 0x1000
	s_mov_b64 s[20:21], 0x2000
.LBB12_17:                              ; =>This Inner Loop Header: Depth=1
	v_ashrrev_i32_e32 v65, 31, v64
	v_lshl_add_u64 v[68:69], v[64:65], 2, s[12:13]
	global_load_dwordx4 v[8:11], v[66:67], off offset:48
	global_load_dwordx4 v[4:7], v[66:67], off offset:32
	;; [unrolled: 1-line block ×3, first 2 shown]
	global_load_dwordx4 v[94:97], v[66:67], off
	global_load_dwordx4 v[20:23], v[66:67], off offset:112
	global_load_dwordx4 v[40:43], v[66:67], off offset:96
	;; [unrolled: 1-line block ×11, first 2 shown]
	global_load_dword v56, v[68:69], off
	v_add_u32_e32 v64, 64, v64
	s_waitcnt vmcnt(14)
	v_xor_b32_e32 v98, 0x80000000, v7
	v_mov_b32_e32 v99, v6
	s_waitcnt vmcnt(12)
	v_xor_b32_e32 v62, 0x80000000, v97
	v_mov_b32_e32 v63, v96
	;; [unrolled: 3-line block ×4, first 2 shown]
	s_waitcnt vmcnt(0)
	v_subrev_u32_e32 v56, s16, v56
	v_lshlrev_b32_e32 v56, 2, v56
	v_ashrrev_i32_e32 v57, 31, v56
	v_lshl_add_u64 v[60:61], v[56:57], 3, s[2:3]
	global_load_dwordx4 v[56:59], v[60:61], off
	s_waitcnt vmcnt(0)
	v_pk_fma_f32 v[70:71], v[94:95], v[56:57], v[88:89] op_sel_hi:[1,0,1]
	s_nop 0
	v_pk_fma_f32 v[70:71], v[94:95], v[56:57], v[70:71] op_sel:[1,1,0] op_sel_hi:[0,1,1] neg_lo:[1,0,0]
	v_pk_fma_f32 v[88:89], v[96:97], v[58:59], v[70:71] op_sel_hi:[1,0,1]
	v_pk_fma_f32 v[70:71], v[4:5], v[56:57], v[86:87] op_sel_hi:[1,0,1]
	global_load_dwordx4 v[94:97], v[66:67], off offset:2112
	v_pk_fma_f32 v[4:5], v[4:5], v[56:57], v[70:71] op_sel:[1,1,0] op_sel_hi:[0,1,1] neg_lo:[1,0,0]
	v_pk_fma_f32 v[86:87], v[6:7], v[58:59], v[4:5] op_sel_hi:[1,0,1]
	v_pk_fma_f32 v[4:5], v[44:45], v[56:57], v[84:85] op_sel_hi:[1,0,1]
	v_lshl_add_u64 v[70:71], v[66:67], 0, s[18:19]
	v_pk_fma_f32 v[4:5], v[44:45], v[56:57], v[4:5] op_sel:[1,1,0] op_sel_hi:[0,1,1] neg_lo:[1,0,0]
	v_pk_fma_f32 v[44:45], v[46:47], v[58:59], v[4:5] op_sel_hi:[1,0,1]
	v_pk_fma_f32 v[4:5], v[40:41], v[56:57], v[82:83] op_sel_hi:[1,0,1]
	v_add_co_u32_e32 v84, vcc, s17, v66
	v_pk_fma_f32 v[4:5], v[40:41], v[56:57], v[4:5] op_sel:[1,1,0] op_sel_hi:[0,1,1] neg_lo:[1,0,0]
	v_pk_fma_f32 v[40:41], v[42:43], v[58:59], v[4:5] op_sel_hi:[1,0,1]
	v_mov_b32_e32 v42, v59
	v_pk_fma_f32 v[62:63], v[62:63], v[42:43], v[88:89] op_sel_hi:[1,0,1]
	v_pk_fma_f32 v[82:83], v[98:99], v[42:43], v[86:87] op_sel_hi:[1,0,1]
	;; [unrolled: 1-line block ×4, first 2 shown]
	global_load_dwordx4 v[40:43], v[60:61], off offset:16
	v_xor_b32_e32 v98, 0x80000000, v19
	v_mov_b32_e32 v99, v18
	v_xor_b32_e32 v100, 0x80000000, v35
	v_mov_b32_e32 v101, v34
	global_load_dwordx4 v[4:7], v[70:71], off offset:48
	global_load_dwordx4 v[56:59], v[70:71], off offset:32
	;; [unrolled: 1-line block ×3, first 2 shown]
	v_xor_b32_e32 v102, 0x80000000, v31
	v_mov_b32_e32 v103, v30
	v_addc_co_u32_e32 v85, vcc, 0, v67, vcc
	v_cmp_ge_i32_e32 vcc, v64, v92
	v_lshl_add_u64 v[66:67], v[66:67], 0, s[20:21]
	s_or_b64 s[14:15], vcc, s[14:15]
	s_waitcnt vmcnt(3)
	v_pk_fma_f32 v[60:61], v[16:17], v[40:41], v[62:63] op_sel_hi:[1,0,1]
	s_nop 0
	v_pk_fma_f32 v[16:17], v[16:17], v[40:41], v[60:61] op_sel:[1,1,0] op_sel_hi:[0,1,1] neg_lo:[1,0,0]
	v_pk_fma_f32 v[60:61], v[8:9], v[40:41], v[82:83] op_sel_hi:[1,0,1]
	v_pk_fma_f32 v[16:17], v[18:19], v[42:43], v[16:17] op_sel_hi:[1,0,1]
	v_pk_fma_f32 v[8:9], v[8:9], v[40:41], v[60:61] op_sel:[1,1,0] op_sel_hi:[0,1,1] neg_lo:[1,0,0]
	v_pk_fma_f32 v[60:61], v[32:33], v[40:41], v[86:87] op_sel_hi:[1,0,1]
	v_xor_b32_e32 v18, 0x80000000, v11
	v_pk_fma_f32 v[32:33], v[32:33], v[40:41], v[60:61] op_sel:[1,1,0] op_sel_hi:[0,1,1] neg_lo:[1,0,0]
	v_pk_fma_f32 v[60:61], v[20:21], v[40:41], v[88:89] op_sel_hi:[1,0,1]
	v_pk_fma_f32 v[32:33], v[34:35], v[42:43], v[32:33] op_sel_hi:[1,0,1]
	v_pk_fma_f32 v[20:21], v[20:21], v[40:41], v[60:61] op_sel:[1,1,0] op_sel_hi:[0,1,1] neg_lo:[1,0,0]
	v_mov_b32_e32 v35, v22
	v_pk_fma_f32 v[20:21], v[22:23], v[42:43], v[20:21] op_sel_hi:[1,0,1]
	v_mov_b32_e32 v22, v43
	v_xor_b32_e32 v34, 0x80000000, v23
	v_pk_fma_f32 v[16:17], v[98:99], v[22:23], v[16:17] op_sel_hi:[1,0,1]
	global_load_dword v23, v[68:69], off offset:64
	v_mov_b32_e32 v19, v10
	v_pk_fma_f32 v[82:83], v[10:11], v[42:43], v[8:9] op_sel_hi:[1,0,1]
	v_xor_b32_e32 v86, 0x80000000, v51
	v_mov_b32_e32 v87, v50
	v_xor_b32_e32 v98, 0x80000000, v27
	v_mov_b32_e32 v99, v26
	global_load_dwordx4 v[8:11], v[70:71], off offset:112
	global_load_dwordx4 v[60:63], v[70:71], off offset:96
	;; [unrolled: 1-line block ×3, first 2 shown]
	s_waitcnt vmcnt(3)
	v_pk_fma_f32 v[82:83], v[18:19], v[22:23], v[82:83] op_sel_hi:[1,0,1]
	v_subrev_u32_e32 v18, s16, v23
	v_lshlrev_b32_e32 v18, 2, v18
	v_ashrrev_i32_e32 v19, 31, v18
	v_lshl_add_u64 v[88:89], v[18:19], 3, s[2:3]
	v_pk_fma_f32 v[32:33], v[100:101], v[22:23], v[32:33] op_sel_hi:[1,0,1]
	v_pk_fma_f32 v[22:23], v[34:35], v[22:23], v[20:21] op_sel_hi:[1,0,1]
	global_load_dwordx4 v[18:21], v[88:89], off
	v_xor_b32_e32 v100, 0x80000000, v97
	v_mov_b32_e32 v101, v96
	s_waitcnt vmcnt(0)
	v_pk_fma_f32 v[16:17], v[48:49], v[18:19], v[16:17] op_sel_hi:[1,0,1]
	s_nop 0
	v_pk_fma_f32 v[16:17], v[48:49], v[18:19], v[16:17] op_sel:[1,1,0] op_sel_hi:[0,1,1] neg_lo:[1,0,0]
	v_pk_fma_f32 v[34:35], v[50:51], v[20:21], v[16:17] op_sel_hi:[1,0,1]
	v_pk_fma_f32 v[16:17], v[24:25], v[18:19], v[82:83] op_sel_hi:[1,0,1]
	global_load_dwordx4 v[48:51], v[70:71], off offset:64
	v_pk_fma_f32 v[16:17], v[24:25], v[18:19], v[16:17] op_sel:[1,1,0] op_sel_hi:[0,1,1] neg_lo:[1,0,0]
	v_pk_fma_f32 v[82:83], v[26:27], v[20:21], v[16:17] op_sel_hi:[1,0,1]
	v_pk_fma_f32 v[16:17], v[94:95], v[18:19], v[32:33] op_sel_hi:[1,0,1]
	global_load_dwordx4 v[24:27], v[70:71], off offset:2080
	v_pk_fma_f32 v[16:17], v[94:95], v[18:19], v[16:17] op_sel:[1,1,0] op_sel_hi:[0,1,1] neg_lo:[1,0,0]
	v_pk_fma_f32 v[94:95], v[96:97], v[20:21], v[16:17] op_sel_hi:[1,0,1]
	v_pk_fma_f32 v[16:17], v[52:53], v[18:19], v[22:23] op_sel_hi:[1,0,1]
	v_xor_b32_e32 v96, 0x80000000, v55
	v_pk_fma_f32 v[16:17], v[52:53], v[18:19], v[16:17] op_sel:[1,1,0] op_sel_hi:[0,1,1] neg_lo:[1,0,0]
	v_mov_b32_e32 v97, v54
	v_pk_fma_f32 v[52:53], v[54:55], v[20:21], v[16:17] op_sel_hi:[1,0,1]
	v_mov_b32_e32 v54, v21
	v_pk_fma_f32 v[86:87], v[86:87], v[54:55], v[34:35] op_sel_hi:[1,0,1]
	v_pk_fma_f32 v[82:83], v[98:99], v[54:55], v[82:83] op_sel_hi:[1,0,1]
	;; [unrolled: 1-line block ×4, first 2 shown]
	global_load_dwordx4 v[52:55], v[88:89], off offset:16
	global_load_dwordx4 v[16:19], v[70:71], off offset:2064
	;; [unrolled: 1-line block ×4, first 2 shown]
	v_xor_b32_e32 v98, 0x80000000, v15
	v_mov_b32_e32 v99, v14
	v_xor_b32_e32 v88, 0x80000000, v3
	v_mov_b32_e32 v89, v2
	;; [unrolled: 2-line block ×3, first 2 shown]
	s_waitcnt vmcnt(3)
	v_pk_fma_f32 v[86:87], v[12:13], v[52:53], v[86:87] op_sel_hi:[1,0,1]
	s_nop 0
	v_pk_fma_f32 v[12:13], v[12:13], v[52:53], v[86:87] op_sel:[1,1,0] op_sel_hi:[0,1,1] neg_lo:[1,0,0]
	v_pk_fma_f32 v[86:87], v[14:15], v[54:55], v[12:13] op_sel_hi:[1,0,1]
	v_pk_fma_f32 v[12:13], v[0:1], v[52:53], v[82:83] op_sel_hi:[1,0,1]
	s_nop 0
	v_pk_fma_f32 v[0:1], v[0:1], v[52:53], v[12:13] op_sel:[1,1,0] op_sel_hi:[0,1,1] neg_lo:[1,0,0]
	v_pk_fma_f32 v[82:83], v[2:3], v[54:55], v[0:1] op_sel_hi:[1,0,1]
	v_pk_fma_f32 v[0:1], v[36:37], v[52:53], v[94:95] op_sel_hi:[1,0,1]
	global_load_dwordx4 v[12:15], v[70:71], off offset:2144
	v_pk_fma_f32 v[0:1], v[36:37], v[52:53], v[0:1] op_sel:[1,1,0] op_sel_hi:[0,1,1] neg_lo:[1,0,0]
	v_pk_fma_f32 v[94:95], v[38:39], v[54:55], v[0:1] op_sel_hi:[1,0,1]
	v_pk_fma_f32 v[0:1], v[28:29], v[52:53], v[96:97] op_sel_hi:[1,0,1]
	v_xor_b32_e32 v96, 0x80000000, v51
	v_pk_fma_f32 v[0:1], v[28:29], v[52:53], v[0:1] op_sel:[1,1,0] op_sel_hi:[0,1,1] neg_lo:[1,0,0]
	v_pk_fma_f32 v[52:53], v[30:31], v[54:55], v[0:1] op_sel_hi:[1,0,1]
	global_load_dwordx4 v[0:3], v[70:71], off offset:2128
	global_load_dword v65, v[68:69], off offset:128
	global_load_dword v79, v[68:69], off offset:192
	v_mov_b32_e32 v54, v55
	v_pk_fma_f32 v[68:69], v[98:99], v[54:55], v[86:87] op_sel_hi:[1,0,1]
	v_pk_fma_f32 v[82:83], v[88:89], v[54:55], v[82:83] op_sel_hi:[1,0,1]
	global_load_dwordx4 v[36:39], v[84:85], off
	global_load_dwordx4 v[28:31], v[70:71], off offset:2096
	v_mov_b32_e32 v97, v50
	v_xor_b32_e32 v98, 0x80000000, v63
	v_mov_b32_e32 v99, v62
	s_waitcnt vmcnt(3)
	v_subrev_u32_e32 v55, s16, v65
	v_lshlrev_b32_e32 v88, 2, v55
	v_ashrrev_i32_e32 v89, 31, v88
	v_lshl_add_u64 v[88:89], v[88:89], 3, s[2:3]
	v_pk_fma_f32 v[86:87], v[100:101], v[54:55], v[94:95] op_sel_hi:[1,0,1]
	v_pk_fma_f32 v[94:95], v[102:103], v[54:55], v[52:53] op_sel_hi:[1,0,1]
	global_load_dwordx4 v[52:55], v[88:89], off
	s_waitcnt vmcnt(2)
	v_xor_b32_e32 v84, 0x80000000, v39
	v_mov_b32_e32 v85, v38
	s_waitcnt vmcnt(0)
	v_pk_fma_f32 v[82:83], v[56:57], v[52:53], v[82:83] op_sel_hi:[1,0,1]
	s_nop 0
	v_pk_fma_f32 v[56:57], v[56:57], v[52:53], v[82:83] op_sel:[1,1,0] op_sel_hi:[0,1,1] neg_lo:[1,0,0]
	v_pk_fma_f32 v[82:83], v[58:59], v[54:55], v[56:57] op_sel_hi:[1,0,1]
	v_subrev_u32_e32 v56, s16, v79
	v_lshlrev_b32_e32 v56, 2, v56
	v_pk_fma_f32 v[68:69], v[36:37], v[52:53], v[68:69] op_sel_hi:[1,0,1]
	v_ashrrev_i32_e32 v57, 31, v56
	v_pk_fma_f32 v[36:37], v[36:37], v[52:53], v[68:69] op_sel:[1,1,0] op_sel_hi:[0,1,1] neg_lo:[1,0,0]
	v_lshl_add_u64 v[100:101], v[56:57], 3, s[2:3]
	v_pk_fma_f32 v[56:57], v[48:49], v[52:53], v[86:87] op_sel_hi:[1,0,1]
	v_pk_fma_f32 v[68:69], v[38:39], v[54:55], v[36:37] op_sel_hi:[1,0,1]
	global_load_dwordx4 v[36:39], v[70:71], off offset:2112
	v_xor_b32_e32 v70, 0x80000000, v59
	v_mov_b32_e32 v71, v58
	v_pk_fma_f32 v[48:49], v[48:49], v[52:53], v[56:57] op_sel:[1,1,0] op_sel_hi:[0,1,1] neg_lo:[1,0,0]
	global_load_dwordx4 v[56:59], v[88:89], off offset:16
	v_pk_fma_f32 v[86:87], v[50:51], v[54:55], v[48:49] op_sel_hi:[1,0,1]
	v_pk_fma_f32 v[48:49], v[60:61], v[52:53], v[94:95] op_sel_hi:[1,0,1]
	v_xor_b32_e32 v88, 0x80000000, v47
	v_pk_fma_f32 v[48:49], v[60:61], v[52:53], v[48:49] op_sel:[1,1,0] op_sel_hi:[0,1,1] neg_lo:[1,0,0]
	v_pk_fma_f32 v[52:53], v[62:63], v[54:55], v[48:49] op_sel_hi:[1,0,1]
	global_load_dwordx4 v[60:63], v[100:101], off
	global_load_dwordx4 v[48:51], v[100:101], off offset:16
	v_mov_b32_e32 v54, v55
	v_pk_fma_f32 v[68:69], v[84:85], v[54:55], v[68:69] op_sel_hi:[1,0,1]
	v_pk_fma_f32 v[70:71], v[70:71], v[54:55], v[82:83] op_sel_hi:[1,0,1]
	;; [unrolled: 1-line block ×4, first 2 shown]
	v_mov_b32_e32 v89, v46
	v_xor_b32_e32 v84, 0x80000000, v7
	v_mov_b32_e32 v85, v6
	v_xor_b32_e32 v82, 0x80000000, v43
	;; [unrolled: 2-line block ×6, first 2 shown]
	v_mov_b32_e32 v99, v22
	s_waitcnt vmcnt(2)
	v_pk_fma_f32 v[68:69], v[44:45], v[56:57], v[68:69] op_sel_hi:[1,0,1]
	v_pk_fma_f32 v[70:71], v[4:5], v[56:57], v[70:71] op_sel_hi:[1,0,1]
	;; [unrolled: 1-line block ×4, first 2 shown]
	v_pk_fma_f32 v[44:45], v[44:45], v[56:57], v[68:69] op_sel:[1,1,0] op_sel_hi:[0,1,1] neg_lo:[1,0,0]
	v_pk_fma_f32 v[4:5], v[4:5], v[56:57], v[70:71] op_sel:[1,1,0] op_sel_hi:[0,1,1] neg_lo:[1,0,0]
	;; [unrolled: 1-line block ×4, first 2 shown]
	v_pk_fma_f32 v[44:45], v[46:47], v[58:59], v[44:45] op_sel_hi:[1,0,1]
	v_pk_fma_f32 v[4:5], v[6:7], v[58:59], v[4:5] op_sel_hi:[1,0,1]
	;; [unrolled: 1-line block ×4, first 2 shown]
	v_mov_b32_e32 v10, v59
	v_pk_fma_f32 v[44:45], v[88:89], v[10:11], v[44:45] op_sel_hi:[1,0,1]
	v_pk_fma_f32 v[4:5], v[84:85], v[10:11], v[4:5] op_sel_hi:[1,0,1]
	;; [unrolled: 1-line block ×4, first 2 shown]
	s_waitcnt vmcnt(1)
	v_pk_fma_f32 v[10:11], v[32:33], v[60:61], v[44:45] op_sel_hi:[1,0,1]
	v_pk_fma_f32 v[4:5], v[24:25], v[60:61], v[4:5] op_sel_hi:[1,0,1]
	;; [unrolled: 1-line block ×4, first 2 shown]
	v_pk_fma_f32 v[10:11], v[32:33], v[60:61], v[10:11] op_sel:[1,1,0] op_sel_hi:[0,1,1] neg_lo:[1,0,0]
	v_pk_fma_f32 v[4:5], v[24:25], v[60:61], v[4:5] op_sel:[1,1,0] op_sel_hi:[0,1,1] neg_lo:[1,0,0]
	;; [unrolled: 1-line block ×4, first 2 shown]
	v_xor_b32_e32 v46, 0x80000000, v27
	v_mov_b32_e32 v47, v26
	v_xor_b32_e32 v6, 0x80000000, v39
	v_mov_b32_e32 v7, v38
	;; [unrolled: 2-line block ×3, first 2 shown]
	v_mov_b32_e32 v52, v63
	v_pk_fma_f32 v[10:11], v[34:35], v[62:63], v[10:11] op_sel_hi:[1,0,1]
	v_pk_fma_f32 v[4:5], v[26:27], v[62:63], v[4:5] op_sel_hi:[1,0,1]
	;; [unrolled: 1-line block ×8, first 2 shown]
	s_waitcnt vmcnt(0)
	v_pk_fma_f32 v[10:11], v[16:17], v[48:49], v[10:11] op_sel_hi:[1,0,1]
	v_pk_fma_f32 v[4:5], v[28:29], v[48:49], v[4:5] op_sel_hi:[1,0,1]
	;; [unrolled: 1-line block ×4, first 2 shown]
	v_pk_fma_f32 v[10:11], v[16:17], v[48:49], v[10:11] op_sel:[1,1,0] op_sel_hi:[0,1,1] neg_lo:[1,0,0]
	v_pk_fma_f32 v[4:5], v[28:29], v[48:49], v[4:5] op_sel:[1,1,0] op_sel_hi:[0,1,1] neg_lo:[1,0,0]
	;; [unrolled: 1-line block ×4, first 2 shown]
	v_xor_b32_e32 v68, 0x80000000, v31
	v_mov_b32_e32 v69, v30
	v_xor_b32_e32 v70, 0x80000000, v3
	v_mov_b32_e32 v71, v2
	v_mov_b32_e32 v56, v51
	v_pk_fma_f32 v[8:9], v[18:19], v[50:51], v[10:11] op_sel_hi:[1,0,1]
	v_pk_fma_f32 v[4:5], v[30:31], v[50:51], v[4:5] op_sel_hi:[1,0,1]
	;; [unrolled: 1-line block ×8, first 2 shown]
	s_andn2_b64 exec, exec, s[14:15]
	s_cbranch_execnz .LBB12_17
; %bb.18:
	s_or_b64 exec, exec, s[14:15]
.LBB12_19:
	s_or_b64 exec, exec, s[10:11]
.LBB12_20:
	s_or_b64 exec, exec, s[8:9]
	s_cbranch_execz .LBB12_22
	s_branch .LBB12_33
.LBB12_21:
                                        ; implicit-def: $vgpr89
                                        ; implicit-def: $vgpr83
                                        ; implicit-def: $vgpr85
                                        ; implicit-def: $vgpr87
.LBB12_22:
	v_mov_b32_e32 v89, 0
	v_mov_b32_e32 v88, 0
	;; [unrolled: 1-line block ×8, first 2 shown]
	s_and_saveexec_b64 s[8:9], s[4:5]
	s_cbranch_execz .LBB12_32
; %bb.23:
	v_add_u32_e32 v0, v90, v77
	v_subrev_u32_e32 v0, s16, v0
	v_add_u32_e32 v0, 16, v0
	v_max_i32_e32 v0, v0, v92
	v_not_b32_e32 v1, v90
	v_add3_u32 v0, s16, v0, v1
	v_sub_u32_e32 v0, v0, v77
	v_mov_b32_e32 v86, 0
	v_and_b32_e32 v1, 48, v0
	v_mov_b32_e32 v87, v86
	v_cmp_ne_u32_e32 vcc, 48, v1
	v_mov_b64_e32 v[88:89], v[86:87]
	v_mov_b64_e32 v[82:83], v[86:87]
	v_mov_b64_e32 v[84:85], v[86:87]
	s_and_saveexec_b64 s[4:5], vcc
	s_cbranch_execz .LBB12_27
; %bb.24:
	v_lshrrev_b32_e32 v1, 4, v0
	v_add_u32_e32 v1, 1, v1
	v_and_b32_e32 v1, 3, v1
	v_sub_u32_e32 v1, 0, v1
	s_mov_b64 s[10:11], 0
	s_mov_b64 s[14:15], 0x800
	v_mov_b32_e32 v87, v86
	v_mov_b32_e32 v84, v86
	v_mov_b32_e32 v85, v86
	v_mov_b32_e32 v82, v86
	v_mov_b32_e32 v83, v86
	v_mov_b32_e32 v88, v86
	v_mov_b32_e32 v89, v86
.LBB12_25:                              ; =>This Inner Loop Header: Depth=1
	v_ashrrev_i32_e32 v79, 31, v78
	v_lshl_add_u64 v[30:31], v[78:79], 2, s[12:13]
	global_load_dword v32, v[30:31], off
	global_load_dwordx4 v[2:5], v[80:81], off
	global_load_dwordx4 v[6:9], v[80:81], off offset:32
	global_load_dwordx4 v[10:13], v[80:81], off offset:64
	;; [unrolled: 1-line block ×6, first 2 shown]
	v_add_co_u32_e32 v1, vcc, 1, v1
	v_add_u32_e32 v78, 16, v78
	s_or_b64 s[10:11], vcc, s[10:11]
	s_waitcnt vmcnt(7)
	v_subrev_u32_e32 v30, s16, v32
	v_lshlrev_b32_e32 v30, 2, v30
	v_ashrrev_i32_e32 v31, 31, v30
	v_lshl_add_u64 v[42:43], v[30:31], 3, s[2:3]
	global_load_dwordx4 v[30:33], v[42:43], off
	global_load_dwordx4 v[34:37], v[42:43], off offset:16
	global_load_dwordx4 v[38:41], v[80:81], off offset:112
	s_waitcnt vmcnt(9)
	v_xor_b32_e32 v42, 0x80000000, v5
	v_mov_b32_e32 v43, v4
	s_waitcnt vmcnt(4)
	v_xor_b32_e32 v50, 0x80000000, v25
	v_mov_b32_e32 v51, v24
	v_xor_b32_e32 v44, 0x80000000, v9
	v_mov_b32_e32 v45, v8
	;; [unrolled: 2-line block ×4, first 2 shown]
	s_waitcnt vmcnt(3)
	v_xor_b32_e32 v54, 0x80000000, v29
	v_mov_b32_e32 v55, v28
	v_xor_b32_e32 v48, 0x80000000, v17
	v_mov_b32_e32 v49, v16
	v_lshl_add_u64 v[80:81], v[80:81], 0, s[14:15]
	s_waitcnt vmcnt(2)
	v_pk_fma_f32 v[58:59], v[2:3], v[30:31], v[88:89] op_sel_hi:[1,0,1]
	v_pk_fma_f32 v[4:5], v[4:5], v[30:31], v[86:87] op_sel_hi:[1,0,1]
	;; [unrolled: 1-line block ×4, first 2 shown]
	v_pk_fma_f32 v[2:3], v[2:3], v[30:31], v[58:59] op_sel:[1,1,0] op_sel_hi:[0,1,1] neg_lo:[1,0,0]
	v_pk_fma_f32 v[4:5], v[42:43], v[30:31], v[4:5] op_sel:[0,1,0]
	v_pk_fma_f32 v[22:23], v[22:23], v[30:31], v[64:65] op_sel:[1,1,0] op_sel_hi:[0,1,1] neg_lo:[1,0,0]
	v_pk_fma_f32 v[24:25], v[50:51], v[30:31], v[24:25] op_sel:[0,1,0]
	v_mov_b32_e32 v60, v33
	v_pk_fma_f32 v[2:3], v[6:7], v[32:33], v[2:3] op_sel_hi:[1,0,1]
	v_pk_fma_f32 v[4:5], v[8:9], v[32:33], v[4:5] op_sel_hi:[1,0,1]
	;; [unrolled: 1-line block ×4, first 2 shown]
	v_pk_fma_f32 v[2:3], v[6:7], v[60:61], v[2:3] op_sel:[1,0,0] op_sel_hi:[0,0,1] neg_lo:[1,0,0]
	v_pk_fma_f32 v[4:5], v[44:45], v[60:61], v[4:5] op_sel_hi:[1,0,1]
	v_pk_fma_f32 v[6:7], v[18:19], v[60:61], v[8:9] op_sel:[1,0,0] op_sel_hi:[0,0,1] neg_lo:[1,0,0]
	v_pk_fma_f32 v[8:9], v[52:53], v[60:61], v[20:21] op_sel_hi:[1,0,1]
	s_waitcnt vmcnt(1)
	v_pk_fma_f32 v[2:3], v[10:11], v[34:35], v[2:3] op_sel_hi:[1,0,1]
	v_pk_fma_f32 v[4:5], v[12:13], v[34:35], v[4:5] op_sel_hi:[1,0,1]
	;; [unrolled: 1-line block ×4, first 2 shown]
	v_pk_fma_f32 v[2:3], v[10:11], v[34:35], v[2:3] op_sel:[1,1,0] op_sel_hi:[0,1,1] neg_lo:[1,0,0]
	v_pk_fma_f32 v[4:5], v[46:47], v[34:35], v[4:5] op_sel:[0,1,0]
	v_pk_fma_f32 v[6:7], v[26:27], v[34:35], v[6:7] op_sel:[1,1,0] op_sel_hi:[0,1,1] neg_lo:[1,0,0]
	v_pk_fma_f32 v[8:9], v[54:55], v[34:35], v[8:9] op_sel:[0,1,0]
	s_waitcnt vmcnt(0)
	v_xor_b32_e32 v56, 0x80000000, v41
	v_mov_b32_e32 v57, v40
	v_mov_b32_e32 v62, v37
	v_pk_fma_f32 v[2:3], v[14:15], v[36:37], v[2:3] op_sel_hi:[1,0,1]
	v_pk_fma_f32 v[4:5], v[16:17], v[36:37], v[4:5] op_sel_hi:[1,0,1]
	;; [unrolled: 1-line block ×4, first 2 shown]
	v_pk_fma_f32 v[88:89], v[14:15], v[62:63], v[2:3] op_sel:[1,0,0] op_sel_hi:[0,0,1] neg_lo:[1,0,0]
	v_pk_fma_f32 v[86:87], v[48:49], v[62:63], v[4:5] op_sel_hi:[1,0,1]
	v_pk_fma_f32 v[84:85], v[38:39], v[62:63], v[6:7] op_sel:[1,0,0] op_sel_hi:[0,0,1] neg_lo:[1,0,0]
	v_pk_fma_f32 v[82:83], v[56:57], v[62:63], v[8:9] op_sel_hi:[1,0,1]
	s_andn2_b64 exec, exec, s[10:11]
	s_cbranch_execnz .LBB12_25
; %bb.26:
	s_or_b64 exec, exec, s[10:11]
.LBB12_27:
	s_or_b64 exec, exec, s[4:5]
	v_cmp_lt_u32_e32 vcc, 47, v0
	s_and_saveexec_b64 s[4:5], vcc
	s_cbranch_execz .LBB12_31
; %bb.28:
	s_mov_b64 s[10:11], 0
	s_mov_b64 s[14:15], 0x1000
	s_movk_i32 s17, 0x1000
	s_mov_b64 s[18:19], 0x2000
.LBB12_29:                              ; =>This Inner Loop Header: Depth=1
	v_ashrrev_i32_e32 v79, 31, v78
	v_lshl_add_u64 v[64:65], v[78:79], 2, s[12:13]
	global_load_dwordx4 v[8:11], v[80:81], off offset:48
	global_load_dwordx4 v[12:15], v[80:81], off offset:32
	;; [unrolled: 1-line block ×3, first 2 shown]
	global_load_dwordx4 v[56:59], v[80:81], off
	global_load_dwordx4 v[0:3], v[80:81], off offset:112
	global_load_dwordx4 v[4:7], v[80:81], off offset:96
	;; [unrolled: 1-line block ×12, first 2 shown]
	global_load_dword v66, v[64:65], off
	global_load_dword v79, v[64:65], off offset:64
	global_load_dword v93, v[64:65], off offset:128
	;; [unrolled: 1-line block ×3, first 2 shown]
	v_lshl_add_u64 v[90:91], v[80:81], 0, s[14:15]
	v_add_u32_e32 v78, 64, v78
	s_waitcnt vmcnt(16)
	v_xor_b32_e32 v94, 0x80000000, v59
	v_mov_b32_e32 v95, v58
	s_waitcnt vmcnt(3)
	v_subrev_u32_e32 v64, s16, v66
	v_lshlrev_b32_e32 v64, 2, v64
	v_ashrrev_i32_e32 v65, 31, v64
	v_lshl_add_u64 v[96:97], v[64:65], 3, s[2:3]
	global_load_dwordx4 v[68:71], v[96:97], off
	global_load_dwordx4 v[64:67], v[96:97], off offset:16
	v_xor_b32_e32 v96, 0x80000000, v47
	v_mov_b32_e32 v97, v46
	s_waitcnt vmcnt(1)
	v_pk_fma_f32 v[86:87], v[58:59], v[68:69], v[86:87] op_sel_hi:[1,0,1]
	v_pk_fma_f32 v[88:89], v[56:57], v[68:69], v[88:89] op_sel_hi:[1,0,1]
	v_pk_fma_f32 v[86:87], v[94:95], v[68:69], v[86:87] op_sel:[0,1,0]
	v_xor_b32_e32 v94, 0x80000000, v23
	v_mov_b32_e32 v95, v22
	v_pk_fma_f32 v[84:85], v[20:21], v[68:69], v[84:85] op_sel_hi:[1,0,1]
	v_pk_fma_f32 v[82:83], v[22:23], v[68:69], v[82:83] op_sel_hi:[1,0,1]
	v_pk_fma_f32 v[88:89], v[56:57], v[68:69], v[88:89] op_sel:[1,1,0] op_sel_hi:[0,1,1] neg_lo:[1,0,0]
	v_pk_fma_f32 v[84:85], v[20:21], v[68:69], v[84:85] op_sel:[1,1,0] op_sel_hi:[0,1,1] neg_lo:[1,0,0]
	v_pk_fma_f32 v[68:69], v[94:95], v[68:69], v[82:83] op_sel:[0,1,0]
	v_xor_b32_e32 v82, 0x80000000, v15
	v_mov_b32_e32 v83, v14
	v_pk_fma_f32 v[88:89], v[12:13], v[70:71], v[88:89] op_sel_hi:[1,0,1]
	v_pk_fma_f32 v[86:87], v[14:15], v[70:71], v[86:87] op_sel_hi:[1,0,1]
	;; [unrolled: 1-line block ×4, first 2 shown]
	v_mov_b32_e32 v70, v71
	v_xor_b32_e32 v94, 0x80000000, v11
	v_mov_b32_e32 v95, v10
	v_pk_fma_f32 v[82:83], v[82:83], v[70:71], v[86:87] op_sel_hi:[1,0,1]
	v_pk_fma_f32 v[88:89], v[12:13], v[70:71], v[88:89] op_sel:[1,0,0] op_sel_hi:[0,0,1] neg_lo:[1,0,0]
	v_pk_fma_f32 v[84:85], v[8:9], v[70:71], v[84:85] op_sel:[1,0,0] op_sel_hi:[0,0,1] neg_lo:[1,0,0]
	v_pk_fma_f32 v[86:87], v[94:95], v[70:71], v[68:69] op_sel_hi:[1,0,1]
	v_xor_b32_e32 v94, 0x80000000, v27
	v_mov_b32_e32 v95, v26
	s_waitcnt vmcnt(0)
	v_pk_fma_f32 v[82:83], v[26:27], v[64:65], v[82:83] op_sel_hi:[1,0,1]
	v_pk_fma_f32 v[88:89], v[24:25], v[64:65], v[88:89] op_sel_hi:[1,0,1]
	v_pk_fma_f32 v[82:83], v[94:95], v[64:65], v[82:83] op_sel:[0,1,0]
	v_xor_b32_e32 v94, 0x80000000, v19
	v_mov_b32_e32 v95, v18
	v_pk_fma_f32 v[84:85], v[16:17], v[64:65], v[84:85] op_sel_hi:[1,0,1]
	v_pk_fma_f32 v[86:87], v[18:19], v[64:65], v[86:87] op_sel_hi:[1,0,1]
	v_pk_fma_f32 v[88:89], v[24:25], v[64:65], v[88:89] op_sel:[1,1,0] op_sel_hi:[0,1,1] neg_lo:[1,0,0]
	v_pk_fma_f32 v[84:85], v[16:17], v[64:65], v[84:85] op_sel:[1,1,0] op_sel_hi:[0,1,1] neg_lo:[1,0,0]
	v_pk_fma_f32 v[64:65], v[94:95], v[64:65], v[86:87] op_sel:[0,1,0]
	v_pk_fma_f32 v[88:89], v[4:5], v[66:67], v[88:89] op_sel_hi:[1,0,1]
	v_pk_fma_f32 v[82:83], v[6:7], v[66:67], v[82:83] op_sel_hi:[1,0,1]
	;; [unrolled: 1-line block ×4, first 2 shown]
	v_mov_b32_e32 v66, v67
	v_pk_fma_f32 v[84:85], v[0:1], v[66:67], v[84:85] op_sel:[1,0,0] op_sel_hi:[0,0,1] neg_lo:[1,0,0]
	v_subrev_u32_e32 v0, s16, v79
	v_lshlrev_b32_e32 v0, 2, v0
	v_add_co_u32_e32 v56, vcc, s17, v80
	v_ashrrev_i32_e32 v1, 31, v0
	s_nop 0
	v_addc_co_u32_e32 v57, vcc, 0, v81, vcc
	v_xor_b32_e32 v86, 0x80000000, v7
	v_mov_b32_e32 v87, v6
	v_xor_b32_e32 v94, 0x80000000, v3
	v_mov_b32_e32 v95, v2
	v_lshl_add_u64 v[98:99], v[0:1], 3, s[2:3]
	global_load_dwordx4 v[56:59], v[56:57], off
	v_pk_fma_f32 v[88:89], v[4:5], v[66:67], v[88:89] op_sel:[1,0,0] op_sel_hi:[0,0,1] neg_lo:[1,0,0]
	global_load_dwordx4 v[20:23], v[90:91], off offset:48
	global_load_dwordx4 v[12:15], v[90:91], off offset:32
	;; [unrolled: 1-line block ×7, first 2 shown]
	v_pk_fma_f32 v[82:83], v[86:87], v[66:67], v[82:83] op_sel_hi:[1,0,1]
	v_pk_fma_f32 v[86:87], v[94:95], v[66:67], v[64:65] op_sel_hi:[1,0,1]
	global_load_dwordx4 v[0:3], v[98:99], off
	global_load_dwordx4 v[64:67], v[98:99], off offset:16
	v_subrev_u32_e32 v79, s16, v102
	v_cmp_ge_i32_e32 vcc, v78, v92
	v_lshl_add_u64 v[80:81], v[80:81], 0, s[18:19]
	s_or_b64 s[10:11], vcc, s[10:11]
	s_waitcnt vmcnt(7)
	v_xor_b32_e32 v100, 0x80000000, v15
	s_waitcnt vmcnt(6)
	v_xor_b32_e32 v98, 0x80000000, v11
	v_mov_b32_e32 v99, v10
	v_mov_b32_e32 v101, v14
	s_waitcnt vmcnt(1)
	v_pk_fma_f32 v[88:89], v[44:45], v[0:1], v[88:89] op_sel_hi:[1,0,1]
	v_pk_fma_f32 v[46:47], v[46:47], v[0:1], v[82:83] op_sel_hi:[1,0,1]
	v_pk_fma_f32 v[82:83], v[44:45], v[0:1], v[88:89] op_sel:[1,1,0] op_sel_hi:[0,1,1] neg_lo:[1,0,0]
	v_xor_b32_e32 v88, 0x80000000, v43
	v_mov_b32_e32 v89, v42
	v_pk_fma_f32 v[44:45], v[40:41], v[0:1], v[84:85] op_sel_hi:[1,0,1]
	v_pk_fma_f32 v[84:85], v[42:43], v[0:1], v[86:87] op_sel_hi:[1,0,1]
	v_pk_fma_f32 v[94:95], v[96:97], v[0:1], v[46:47] op_sel:[0,1,0]
	v_pk_fma_f32 v[86:87], v[40:41], v[0:1], v[44:45] op_sel:[1,1,0] op_sel_hi:[0,1,1] neg_lo:[1,0,0]
	v_pk_fma_f32 v[0:1], v[88:89], v[0:1], v[84:85] op_sel:[0,1,0]
	v_xor_b32_e32 v84, 0x80000000, v39
	v_mov_b32_e32 v85, v38
	v_pk_fma_f32 v[82:83], v[36:37], v[2:3], v[82:83] op_sel_hi:[1,0,1]
	v_pk_fma_f32 v[38:39], v[38:39], v[2:3], v[94:95] op_sel_hi:[1,0,1]
	v_mov_b32_e32 v94, v3
	v_pk_fma_f32 v[86:87], v[32:33], v[2:3], v[86:87] op_sel_hi:[1,0,1]
	v_pk_fma_f32 v[88:89], v[34:35], v[2:3], v[0:1] op_sel_hi:[1,0,1]
	v_pk_fma_f32 v[82:83], v[36:37], v[94:95], v[82:83] op_sel:[1,0,0] op_sel_hi:[0,0,1] neg_lo:[1,0,0]
	v_xor_b32_e32 v36, 0x80000000, v35
	v_mov_b32_e32 v37, v34
	v_pk_fma_f32 v[84:85], v[84:85], v[94:95], v[38:39] op_sel_hi:[1,0,1]
	v_pk_fma_f32 v[86:87], v[32:33], v[94:95], v[86:87] op_sel:[1,0,0] op_sel_hi:[0,0,1] neg_lo:[1,0,0]
	v_pk_fma_f32 v[88:89], v[36:37], v[94:95], v[88:89] op_sel_hi:[1,0,1]
	v_xor_b32_e32 v94, 0x80000000, v63
	v_mov_b32_e32 v95, v62
	s_waitcnt vmcnt(0)
	v_pk_fma_f32 v[82:83], v[60:61], v[64:65], v[82:83] op_sel_hi:[1,0,1]
	v_pk_fma_f32 v[84:85], v[62:63], v[64:65], v[84:85] op_sel_hi:[1,0,1]
	v_pk_fma_f32 v[96:97], v[60:61], v[64:65], v[82:83] op_sel:[1,1,0] op_sel_hi:[0,1,1] neg_lo:[1,0,0]
	v_pk_fma_f32 v[94:95], v[94:95], v[64:65], v[84:85] op_sel:[0,1,0]
	v_xor_b32_e32 v82, 0x80000000, v55
	v_mov_b32_e32 v83, v54
	v_pk_fma_f32 v[84:85], v[52:53], v[64:65], v[86:87] op_sel_hi:[1,0,1]
	v_pk_fma_f32 v[86:87], v[54:55], v[64:65], v[88:89] op_sel_hi:[1,0,1]
	v_pk_fma_f32 v[88:89], v[52:53], v[64:65], v[84:85] op_sel:[1,1,0] op_sel_hi:[0,1,1] neg_lo:[1,0,0]
	v_pk_fma_f32 v[64:65], v[82:83], v[64:65], v[86:87] op_sel:[0,1,0]
	global_load_dwordx4 v[40:43], v[90:91], off offset:2096
	global_load_dwordx4 v[44:47], v[90:91], off offset:2080
	;; [unrolled: 1-line block ×8, first 2 shown]
	v_pk_fma_f32 v[86:87], v[48:49], v[66:67], v[96:97] op_sel_hi:[1,0,1]
	v_pk_fma_f32 v[90:91], v[50:51], v[66:67], v[94:95] op_sel_hi:[1,0,1]
	;; [unrolled: 1-line block ×4, first 2 shown]
	v_mov_b32_e32 v66, v67
	v_pk_fma_f32 v[88:89], v[28:29], v[66:67], v[88:89] op_sel:[1,0,0] op_sel_hi:[0,0,1] neg_lo:[1,0,0]
	v_subrev_u32_e32 v28, s16, v93
	v_lshlrev_b32_e32 v28, 2, v28
	v_ashrrev_i32_e32 v29, 31, v28
	v_pk_fma_f32 v[86:87], v[48:49], v[66:67], v[86:87] op_sel:[1,0,0] op_sel_hi:[0,0,1] neg_lo:[1,0,0]
	v_xor_b32_e32 v48, 0x80000000, v31
	v_mov_b32_e32 v49, v30
	v_lshl_add_u64 v[102:103], v[28:29], 3, s[2:3]
	v_xor_b32_e32 v94, 0x80000000, v51
	v_mov_b32_e32 v95, v50
	v_pk_fma_f32 v[64:65], v[48:49], v[66:67], v[64:65] op_sel_hi:[1,0,1]
	global_load_dwordx4 v[28:31], v[102:103], off
	global_load_dwordx4 v[48:51], v[102:103], off offset:16
	v_pk_fma_f32 v[90:91], v[94:95], v[66:67], v[90:91] op_sel_hi:[1,0,1]
	v_xor_b32_e32 v96, 0x80000000, v59
	v_mov_b32_e32 v97, v58
	s_waitcnt vmcnt(8)
	v_xor_b32_e32 v94, 0x80000000, v47
	v_mov_b32_e32 v95, v46
	s_waitcnt vmcnt(1)
	v_pk_fma_f32 v[66:67], v[56:57], v[28:29], v[86:87] op_sel_hi:[1,0,1]
	s_nop 0
	v_pk_fma_f32 v[66:67], v[56:57], v[28:29], v[66:67] op_sel:[1,1,0] op_sel_hi:[0,1,1] neg_lo:[1,0,0]
	v_lshlrev_b32_e32 v56, 2, v79
	v_ashrrev_i32_e32 v57, 31, v56
	v_pk_fma_f32 v[86:87], v[58:59], v[28:29], v[90:91] op_sel_hi:[1,0,1]
	v_lshl_add_u64 v[90:91], v[56:57], 3, s[2:3]
	v_pk_fma_f32 v[56:57], v[8:9], v[28:29], v[88:89] op_sel_hi:[1,0,1]
	v_pk_fma_f32 v[64:65], v[10:11], v[28:29], v[64:65] op_sel_hi:[1,0,1]
	v_pk_fma_f32 v[88:89], v[8:9], v[28:29], v[56:57] op_sel:[1,1,0] op_sel_hi:[0,1,1] neg_lo:[1,0,0]
	global_load_dwordx4 v[8:11], v[90:91], off
	global_load_dwordx4 v[56:59], v[90:91], off offset:16
	v_pk_fma_f32 v[86:87], v[96:97], v[28:29], v[86:87] op_sel:[0,1,0]
	v_pk_fma_f32 v[28:29], v[98:99], v[28:29], v[64:65] op_sel:[0,1,0]
	v_xor_b32_e32 v90, 0x80000000, v23
	v_mov_b32_e32 v91, v22
	v_pk_fma_f32 v[66:67], v[12:13], v[30:31], v[66:67] op_sel_hi:[1,0,1]
	v_pk_fma_f32 v[14:15], v[14:15], v[30:31], v[86:87] op_sel_hi:[1,0,1]
	;; [unrolled: 1-line block ×4, first 2 shown]
	v_mov_b32_e32 v28, v31
	v_pk_fma_f32 v[12:13], v[12:13], v[28:29], v[66:67] op_sel:[1,0,0] op_sel_hi:[0,0,1] neg_lo:[1,0,0]
	v_pk_fma_f32 v[20:21], v[20:21], v[28:29], v[86:87] op_sel:[1,0,0] op_sel_hi:[0,0,1] neg_lo:[1,0,0]
	v_pk_fma_f32 v[14:15], v[100:101], v[28:29], v[14:15] op_sel_hi:[1,0,1]
	v_pk_fma_f32 v[22:23], v[90:91], v[28:29], v[22:23] op_sel_hi:[1,0,1]
	v_xor_b32_e32 v64, 0x80000000, v7
	v_mov_b32_e32 v65, v6
	v_xor_b32_e32 v66, 0x80000000, v19
	v_mov_b32_e32 v67, v18
	s_waitcnt vmcnt(2)
	v_pk_fma_f32 v[12:13], v[4:5], v[48:49], v[12:13] op_sel_hi:[1,0,1]
	v_pk_fma_f32 v[6:7], v[6:7], v[48:49], v[14:15] op_sel_hi:[1,0,1]
	;; [unrolled: 1-line block ×4, first 2 shown]
	v_pk_fma_f32 v[4:5], v[4:5], v[48:49], v[12:13] op_sel:[1,1,0] op_sel_hi:[0,1,1] neg_lo:[1,0,0]
	v_pk_fma_f32 v[16:17], v[16:17], v[48:49], v[20:21] op_sel:[1,1,0] op_sel_hi:[0,1,1] neg_lo:[1,0,0]
	v_pk_fma_f32 v[6:7], v[64:65], v[48:49], v[6:7] op_sel:[0,1,0]
	v_pk_fma_f32 v[18:19], v[66:67], v[48:49], v[18:19] op_sel:[0,1,0]
	v_xor_b32_e32 v30, 0x80000000, v27
	v_mov_b32_e32 v31, v26
	v_xor_b32_e32 v88, 0x80000000, v71
	v_mov_b32_e32 v89, v70
	v_mov_b32_e32 v22, v51
	v_pk_fma_f32 v[4:5], v[24:25], v[50:51], v[4:5] op_sel_hi:[1,0,1]
	v_pk_fma_f32 v[6:7], v[26:27], v[50:51], v[6:7] op_sel_hi:[1,0,1]
	v_pk_fma_f32 v[16:17], v[68:69], v[50:51], v[16:17] op_sel_hi:[1,0,1]
	v_pk_fma_f32 v[18:19], v[70:71], v[50:51], v[18:19] op_sel_hi:[1,0,1]
	v_pk_fma_f32 v[4:5], v[24:25], v[22:23], v[4:5] op_sel:[1,0,0] op_sel_hi:[0,0,1] neg_lo:[1,0,0]
	v_pk_fma_f32 v[16:17], v[68:69], v[22:23], v[16:17] op_sel:[1,0,0] op_sel_hi:[0,0,1] neg_lo:[1,0,0]
	v_pk_fma_f32 v[6:7], v[30:31], v[22:23], v[6:7] op_sel_hi:[1,0,1]
	v_pk_fma_f32 v[18:19], v[88:89], v[22:23], v[18:19] op_sel_hi:[1,0,1]
	v_xor_b32_e32 v86, 0x80000000, v35
	v_mov_b32_e32 v87, v34
	v_xor_b32_e32 v90, 0x80000000, v3
	v_mov_b32_e32 v91, v2
	;; [unrolled: 2-line block ×7, first 2 shown]
	s_waitcnt vmcnt(1)
	v_pk_fma_f32 v[4:5], v[32:33], v[8:9], v[4:5] op_sel_hi:[1,0,1]
	v_pk_fma_f32 v[6:7], v[34:35], v[8:9], v[6:7] op_sel_hi:[1,0,1]
	v_pk_fma_f32 v[16:17], v[0:1], v[8:9], v[16:17] op_sel_hi:[1,0,1]
	v_pk_fma_f32 v[2:3], v[2:3], v[8:9], v[18:19] op_sel_hi:[1,0,1]
	v_pk_fma_f32 v[4:5], v[32:33], v[8:9], v[4:5] op_sel:[1,1,0] op_sel_hi:[0,1,1] neg_lo:[1,0,0]
	v_pk_fma_f32 v[6:7], v[86:87], v[8:9], v[6:7] op_sel:[0,1,0]
	v_pk_fma_f32 v[0:1], v[0:1], v[8:9], v[16:17] op_sel:[1,1,0] op_sel_hi:[0,1,1] neg_lo:[1,0,0]
	v_pk_fma_f32 v[2:3], v[90:91], v[8:9], v[2:3] op_sel:[0,1,0]
	v_mov_b32_e32 v64, v11
	v_pk_fma_f32 v[4:5], v[44:45], v[10:11], v[4:5] op_sel_hi:[1,0,1]
	v_pk_fma_f32 v[6:7], v[46:47], v[10:11], v[6:7] op_sel_hi:[1,0,1]
	;; [unrolled: 1-line block ×4, first 2 shown]
	v_pk_fma_f32 v[4:5], v[44:45], v[64:65], v[4:5] op_sel:[1,0,0] op_sel_hi:[0,0,1] neg_lo:[1,0,0]
	v_pk_fma_f32 v[6:7], v[94:95], v[64:65], v[6:7] op_sel_hi:[1,0,1]
	v_pk_fma_f32 v[0:1], v[40:41], v[64:65], v[0:1] op_sel:[1,0,0] op_sel_hi:[0,0,1] neg_lo:[1,0,0]
	v_pk_fma_f32 v[2:3], v[12:13], v[64:65], v[2:3] op_sel_hi:[1,0,1]
	s_waitcnt vmcnt(0)
	v_pk_fma_f32 v[4:5], v[52:53], v[56:57], v[4:5] op_sel_hi:[1,0,1]
	v_pk_fma_f32 v[6:7], v[54:55], v[56:57], v[6:7] op_sel_hi:[1,0,1]
	;; [unrolled: 1-line block ×4, first 2 shown]
	v_pk_fma_f32 v[4:5], v[52:53], v[56:57], v[4:5] op_sel:[1,1,0] op_sel_hi:[0,1,1] neg_lo:[1,0,0]
	v_pk_fma_f32 v[6:7], v[96:97], v[56:57], v[6:7] op_sel:[0,1,0]
	v_pk_fma_f32 v[0:1], v[82:83], v[56:57], v[0:1] op_sel:[1,1,0] op_sel_hi:[0,1,1] neg_lo:[1,0,0]
	v_pk_fma_f32 v[2:3], v[14:15], v[56:57], v[2:3] op_sel:[0,1,0]
	v_mov_b32_e32 v48, v59
	v_pk_fma_f32 v[4:5], v[60:61], v[58:59], v[4:5] op_sel_hi:[1,0,1]
	v_pk_fma_f32 v[6:7], v[62:63], v[58:59], v[6:7] op_sel_hi:[1,0,1]
	;; [unrolled: 1-line block ×4, first 2 shown]
	v_pk_fma_f32 v[88:89], v[60:61], v[48:49], v[4:5] op_sel:[1,0,0] op_sel_hi:[0,0,1] neg_lo:[1,0,0]
	v_pk_fma_f32 v[86:87], v[28:29], v[48:49], v[6:7] op_sel_hi:[1,0,1]
	v_pk_fma_f32 v[84:85], v[36:37], v[48:49], v[0:1] op_sel:[1,0,0] op_sel_hi:[0,0,1] neg_lo:[1,0,0]
	v_pk_fma_f32 v[82:83], v[20:21], v[48:49], v[2:3] op_sel_hi:[1,0,1]
	s_andn2_b64 exec, exec, s[10:11]
	s_cbranch_execnz .LBB12_29
; %bb.30:
	s_or_b64 exec, exec, s[10:11]
.LBB12_31:
	s_or_b64 exec, exec, s[4:5]
.LBB12_32:
	s_or_b64 exec, exec, s[8:9]
.LBB12_33:
	v_mov_b32_dpp v6, v87 row_shr:1 row_mask:0xf bank_mask:0xf
	v_add_f32_e32 v6, v87, v6
	v_mov_b32_dpp v0, v88 row_shr:1 row_mask:0xf bank_mask:0xf
	v_mov_b32_dpp v2, v89 row_shr:1 row_mask:0xf bank_mask:0xf
	;; [unrolled: 1-line block ×3, first 2 shown]
	v_add_f32_e32 v6, v6, v7
	v_mov_b32_dpp v4, v86 row_shr:1 row_mask:0xf bank_mask:0xf
	v_add_f32_e32 v0, v88, v0
	v_mov_b32_dpp v7, v6 row_shr:4 row_mask:0xf bank_mask:0xe
	;; [unrolled: 2-line block ×3, first 2 shown]
	v_add_f32_e32 v6, v84, v6
	v_add_f32_e32 v2, v89, v2
	;; [unrolled: 1-line block ×3, first 2 shown]
	v_mov_b32_dpp v9, v6 row_shr:2 row_mask:0xf bank_mask:0xf
	v_add_f32_e32 v6, v6, v9
	v_mov_b32_dpp v1, v0 row_shr:2 row_mask:0xf bank_mask:0xf
	v_mov_b32_dpp v3, v2 row_shr:2 row_mask:0xf bank_mask:0xf
	;; [unrolled: 1-line block ×3, first 2 shown]
	v_add_f32_e32 v9, v6, v9
	v_mov_b32_dpp v6, v85 row_shr:1 row_mask:0xf bank_mask:0xf
	v_add_f32_e32 v6, v85, v6
	v_mov_b32_dpp v5, v4 row_shr:2 row_mask:0xf bank_mask:0xf
	;; [unrolled: 2-line block ×3, first 2 shown]
	v_add_f32_e32 v6, v6, v11
	v_add_f32_e32 v2, v2, v3
	v_add_f32_e32 v4, v4, v5
	v_mov_b32_dpp v11, v6 row_shr:4 row_mask:0xf bank_mask:0xe
	v_add_f32_e32 v11, v6, v11
	v_mov_b32_dpp v6, v82 row_shr:1 row_mask:0xf bank_mask:0xf
	v_add_f32_e32 v6, v82, v6
	v_mov_b32_dpp v1, v0 row_shr:4 row_mask:0xf bank_mask:0xe
	v_mov_b32_dpp v3, v2 row_shr:4 row_mask:0xf bank_mask:0xe
	;; [unrolled: 1-line block ×3, first 2 shown]
	v_add_f32_e32 v6, v6, v12
	v_mov_b32_dpp v5, v4 row_shr:4 row_mask:0xf bank_mask:0xe
	v_add_f32_e32 v0, v0, v1
	v_mov_b32_dpp v12, v6 row_shr:4 row_mask:0xf bank_mask:0xe
	;; [unrolled: 2-line block ×3, first 2 shown]
	v_add_f32_e32 v6, v83, v6
	v_add_f32_e32 v2, v2, v3
	;; [unrolled: 1-line block ×3, first 2 shown]
	v_mov_b32_dpp v12, v6 row_shr:2 row_mask:0xf bank_mask:0xf
	v_add_f32_e32 v6, v6, v12
	v_mov_b32_dpp v1, v0 row_shr:8 row_mask:0xf bank_mask:0xc
	v_mov_b32_dpp v3, v2 row_shr:8 row_mask:0xf bank_mask:0xc
	;; [unrolled: 1-line block ×3, first 2 shown]
	v_add_f32_e32 v17, v6, v12
	v_mov_b32_dpp v5, v4 row_shr:8 row_mask:0xf bank_mask:0xc
	v_mov_b32_dpp v8, v7 row_shr:8 row_mask:0xf bank_mask:0xc
	;; [unrolled: 1-line block ×6, first 2 shown]
	v_cmp_eq_u32_e32 vcc, 15, v77
	s_and_b64 exec, exec, vcc
	s_cbranch_execz .LBB12_6
; %bb.34:
	s_load_dwordx2 s[0:1], s[0:1], 0x50
	v_cmp_eq_f32_e32 vcc, 0, v74
	s_xor_b64 s[2:3], s[6:7], -1
	v_add_f32_e32 v6, v0, v1
	v_add_f32_e32 v14, v2, v3
	v_add_f32_e32 v4, v4, v5
	v_add_f32_e32 v12, v7, v8
	v_add_f32_e32 v2, v9, v10
	v_add_f32_e32 v10, v11, v13
	v_add_f32_e32 v0, v15, v16
	v_add_f32_e32 v8, v17, v18
	s_and_b64 s[2:3], vcc, s[2:3]
	v_lshlrev_b32_e32 v16, 2, v76
	s_and_saveexec_b64 s[4:5], s[2:3]
	s_xor_b64 s[2:3], exec, s[4:5]
	s_cbranch_execz .LBB12_36
; %bb.35:
	v_xor_b32_e32 v18, 0x80000000, v73
	v_mov_b32_e32 v19, v72
	v_pk_mul_f32 v[14:15], v[14:15], v[18:19] op_sel_hi:[0,1]
	v_ashrrev_i32_e32 v17, 31, v16
	v_pk_fma_f32 v[14:15], v[72:73], v[6:7], v[14:15] op_sel_hi:[1,0,1]
	v_pk_mul_f32 v[6:7], v[12:13], v[18:19] op_sel_hi:[0,1]
	s_waitcnt lgkmcnt(0)
	v_lshl_add_u64 v[20:21], v[16:17], 3, s[0:1]
	v_pk_fma_f32 v[16:17], v[72:73], v[4:5], v[6:7] op_sel_hi:[1,0,1]
	v_pk_mul_f32 v[4:5], v[10:11], v[18:19] op_sel_hi:[0,1]
	v_pk_fma_f32 v[2:3], v[72:73], v[2:3], v[4:5] op_sel_hi:[1,0,1]
	v_pk_mul_f32 v[4:5], v[8:9], v[18:19] op_sel_hi:[0,1]
	v_pk_fma_f32 v[4:5], v[72:73], v[0:1], v[4:5] op_sel_hi:[1,0,1]
	global_store_dwordx4 v[20:21], v[14:17], off
	global_store_dwordx4 v[20:21], v[2:5], off offset:16
                                        ; implicit-def: $vgpr6
                                        ; implicit-def: $vgpr14
                                        ; implicit-def: $vgpr4
                                        ; implicit-def: $vgpr12
                                        ; implicit-def: $vgpr2
                                        ; implicit-def: $vgpr10
                                        ; implicit-def: $vgpr0
                                        ; implicit-def: $vgpr8
                                        ; implicit-def: $vgpr72_vgpr73
                                        ; implicit-def: $vgpr74_vgpr75
                                        ; implicit-def: $vgpr16
.LBB12_36:
	s_andn2_saveexec_b64 s[2:3], s[2:3]
	s_cbranch_execz .LBB12_6
; %bb.37:
	v_ashrrev_i32_e32 v17, 31, v16
	s_waitcnt lgkmcnt(0)
	v_lshl_add_u64 v[24:25], v[16:17], 3, s[0:1]
	global_load_dwordx4 v[16:19], v[24:25], off
	global_load_dwordx4 v[20:23], v[24:25], off offset:16
	v_xor_b32_e32 v26, 0x80000000, v73
	v_mov_b32_e32 v27, v72
	v_pk_mul_f32 v[14:15], v[14:15], v[26:27] op_sel_hi:[0,1]
	v_pk_mul_f32 v[12:13], v[12:13], v[26:27] op_sel_hi:[0,1]
	;; [unrolled: 1-line block ×4, first 2 shown]
	v_pk_fma_f32 v[6:7], v[72:73], v[6:7], v[14:15] op_sel_hi:[1,0,1]
	v_pk_fma_f32 v[4:5], v[72:73], v[4:5], v[12:13] op_sel_hi:[1,0,1]
	v_xor_b32_e32 v28, 0x80000000, v75
	v_mov_b32_e32 v29, v74
	v_pk_fma_f32 v[2:3], v[72:73], v[2:3], v[10:11] op_sel_hi:[1,0,1]
	v_pk_fma_f32 v[0:1], v[72:73], v[0:1], v[8:9] op_sel_hi:[1,0,1]
	s_waitcnt vmcnt(1)
	v_pk_fma_f32 v[6:7], v[74:75], v[16:17], v[6:7] op_sel_hi:[1,0,1]
	v_pk_fma_f32 v[4:5], v[74:75], v[18:19], v[4:5] op_sel_hi:[1,0,1]
	v_mov_b32_e32 v8, v19
	s_waitcnt vmcnt(0)
	v_pk_fma_f32 v[10:11], v[74:75], v[20:21], v[2:3] op_sel_hi:[1,0,1]
	v_pk_fma_f32 v[12:13], v[74:75], v[22:23], v[0:1] op_sel_hi:[1,0,1]
	v_mov_b32_e32 v14, v23
	v_pk_fma_f32 v[0:1], v[28:29], v[16:17], v[6:7] op_sel:[0,1,0]
	v_pk_fma_f32 v[2:3], v[28:29], v[8:9], v[4:5] op_sel_hi:[1,0,1]
	v_pk_fma_f32 v[4:5], v[28:29], v[20:21], v[10:11] op_sel:[0,1,0]
	v_pk_fma_f32 v[6:7], v[28:29], v[14:15], v[12:13] op_sel_hi:[1,0,1]
	global_store_dwordx4 v[24:25], v[0:3], off
	global_store_dwordx4 v[24:25], v[4:7], off offset:16
	s_endpgm
	.section	.rodata,"a",@progbits
	.p2align	6, 0x0
	.amdhsa_kernel _ZN9rocsparseL18bsrxmvn_4x4_kernelILj128ELj16E21rocsparse_complex_numIfEiiS2_S2_S2_EEvT3_20rocsparse_direction_NS_24const_host_device_scalarIT1_EES3_PKS3_PKT2_SC_S9_PKT4_PKT5_S7_PT6_21rocsparse_index_base_b
		.amdhsa_group_segment_fixed_size 0
		.amdhsa_private_segment_fixed_size 0
		.amdhsa_kernarg_size 96
		.amdhsa_user_sgpr_count 2
		.amdhsa_user_sgpr_dispatch_ptr 0
		.amdhsa_user_sgpr_queue_ptr 0
		.amdhsa_user_sgpr_kernarg_segment_ptr 1
		.amdhsa_user_sgpr_dispatch_id 0
		.amdhsa_user_sgpr_kernarg_preload_length 0
		.amdhsa_user_sgpr_kernarg_preload_offset 0
		.amdhsa_user_sgpr_private_segment_size 0
		.amdhsa_uses_dynamic_stack 0
		.amdhsa_enable_private_segment 0
		.amdhsa_system_sgpr_workgroup_id_x 1
		.amdhsa_system_sgpr_workgroup_id_y 0
		.amdhsa_system_sgpr_workgroup_id_z 0
		.amdhsa_system_sgpr_workgroup_info 0
		.amdhsa_system_vgpr_workitem_id 0
		.amdhsa_next_free_vgpr 104
		.amdhsa_next_free_sgpr 22
		.amdhsa_accum_offset 104
		.amdhsa_reserve_vcc 1
		.amdhsa_float_round_mode_32 0
		.amdhsa_float_round_mode_16_64 0
		.amdhsa_float_denorm_mode_32 3
		.amdhsa_float_denorm_mode_16_64 3
		.amdhsa_dx10_clamp 1
		.amdhsa_ieee_mode 1
		.amdhsa_fp16_overflow 0
		.amdhsa_tg_split 0
		.amdhsa_exception_fp_ieee_invalid_op 0
		.amdhsa_exception_fp_denorm_src 0
		.amdhsa_exception_fp_ieee_div_zero 0
		.amdhsa_exception_fp_ieee_overflow 0
		.amdhsa_exception_fp_ieee_underflow 0
		.amdhsa_exception_fp_ieee_inexact 0
		.amdhsa_exception_int_div_zero 0
	.end_amdhsa_kernel
	.section	.text._ZN9rocsparseL18bsrxmvn_4x4_kernelILj128ELj16E21rocsparse_complex_numIfEiiS2_S2_S2_EEvT3_20rocsparse_direction_NS_24const_host_device_scalarIT1_EES3_PKS3_PKT2_SC_S9_PKT4_PKT5_S7_PT6_21rocsparse_index_base_b,"axG",@progbits,_ZN9rocsparseL18bsrxmvn_4x4_kernelILj128ELj16E21rocsparse_complex_numIfEiiS2_S2_S2_EEvT3_20rocsparse_direction_NS_24const_host_device_scalarIT1_EES3_PKS3_PKT2_SC_S9_PKT4_PKT5_S7_PT6_21rocsparse_index_base_b,comdat
.Lfunc_end12:
	.size	_ZN9rocsparseL18bsrxmvn_4x4_kernelILj128ELj16E21rocsparse_complex_numIfEiiS2_S2_S2_EEvT3_20rocsparse_direction_NS_24const_host_device_scalarIT1_EES3_PKS3_PKT2_SC_S9_PKT4_PKT5_S7_PT6_21rocsparse_index_base_b, .Lfunc_end12-_ZN9rocsparseL18bsrxmvn_4x4_kernelILj128ELj16E21rocsparse_complex_numIfEiiS2_S2_S2_EEvT3_20rocsparse_direction_NS_24const_host_device_scalarIT1_EES3_PKS3_PKT2_SC_S9_PKT4_PKT5_S7_PT6_21rocsparse_index_base_b
                                        ; -- End function
	.set _ZN9rocsparseL18bsrxmvn_4x4_kernelILj128ELj16E21rocsparse_complex_numIfEiiS2_S2_S2_EEvT3_20rocsparse_direction_NS_24const_host_device_scalarIT1_EES3_PKS3_PKT2_SC_S9_PKT4_PKT5_S7_PT6_21rocsparse_index_base_b.num_vgpr, 104
	.set _ZN9rocsparseL18bsrxmvn_4x4_kernelILj128ELj16E21rocsparse_complex_numIfEiiS2_S2_S2_EEvT3_20rocsparse_direction_NS_24const_host_device_scalarIT1_EES3_PKS3_PKT2_SC_S9_PKT4_PKT5_S7_PT6_21rocsparse_index_base_b.num_agpr, 0
	.set _ZN9rocsparseL18bsrxmvn_4x4_kernelILj128ELj16E21rocsparse_complex_numIfEiiS2_S2_S2_EEvT3_20rocsparse_direction_NS_24const_host_device_scalarIT1_EES3_PKS3_PKT2_SC_S9_PKT4_PKT5_S7_PT6_21rocsparse_index_base_b.numbered_sgpr, 22
	.set _ZN9rocsparseL18bsrxmvn_4x4_kernelILj128ELj16E21rocsparse_complex_numIfEiiS2_S2_S2_EEvT3_20rocsparse_direction_NS_24const_host_device_scalarIT1_EES3_PKS3_PKT2_SC_S9_PKT4_PKT5_S7_PT6_21rocsparse_index_base_b.num_named_barrier, 0
	.set _ZN9rocsparseL18bsrxmvn_4x4_kernelILj128ELj16E21rocsparse_complex_numIfEiiS2_S2_S2_EEvT3_20rocsparse_direction_NS_24const_host_device_scalarIT1_EES3_PKS3_PKT2_SC_S9_PKT4_PKT5_S7_PT6_21rocsparse_index_base_b.private_seg_size, 0
	.set _ZN9rocsparseL18bsrxmvn_4x4_kernelILj128ELj16E21rocsparse_complex_numIfEiiS2_S2_S2_EEvT3_20rocsparse_direction_NS_24const_host_device_scalarIT1_EES3_PKS3_PKT2_SC_S9_PKT4_PKT5_S7_PT6_21rocsparse_index_base_b.uses_vcc, 1
	.set _ZN9rocsparseL18bsrxmvn_4x4_kernelILj128ELj16E21rocsparse_complex_numIfEiiS2_S2_S2_EEvT3_20rocsparse_direction_NS_24const_host_device_scalarIT1_EES3_PKS3_PKT2_SC_S9_PKT4_PKT5_S7_PT6_21rocsparse_index_base_b.uses_flat_scratch, 0
	.set _ZN9rocsparseL18bsrxmvn_4x4_kernelILj128ELj16E21rocsparse_complex_numIfEiiS2_S2_S2_EEvT3_20rocsparse_direction_NS_24const_host_device_scalarIT1_EES3_PKS3_PKT2_SC_S9_PKT4_PKT5_S7_PT6_21rocsparse_index_base_b.has_dyn_sized_stack, 0
	.set _ZN9rocsparseL18bsrxmvn_4x4_kernelILj128ELj16E21rocsparse_complex_numIfEiiS2_S2_S2_EEvT3_20rocsparse_direction_NS_24const_host_device_scalarIT1_EES3_PKS3_PKT2_SC_S9_PKT4_PKT5_S7_PT6_21rocsparse_index_base_b.has_recursion, 0
	.set _ZN9rocsparseL18bsrxmvn_4x4_kernelILj128ELj16E21rocsparse_complex_numIfEiiS2_S2_S2_EEvT3_20rocsparse_direction_NS_24const_host_device_scalarIT1_EES3_PKS3_PKT2_SC_S9_PKT4_PKT5_S7_PT6_21rocsparse_index_base_b.has_indirect_call, 0
	.section	.AMDGPU.csdata,"",@progbits
; Kernel info:
; codeLenInByte = 6764
; TotalNumSgprs: 28
; NumVgprs: 104
; NumAgprs: 0
; TotalNumVgprs: 104
; ScratchSize: 0
; MemoryBound: 0
; FloatMode: 240
; IeeeMode: 1
; LDSByteSize: 0 bytes/workgroup (compile time only)
; SGPRBlocks: 3
; VGPRBlocks: 12
; NumSGPRsForWavesPerEU: 28
; NumVGPRsForWavesPerEU: 104
; AccumOffset: 104
; Occupancy: 4
; WaveLimiterHint : 1
; COMPUTE_PGM_RSRC2:SCRATCH_EN: 0
; COMPUTE_PGM_RSRC2:USER_SGPR: 2
; COMPUTE_PGM_RSRC2:TRAP_HANDLER: 0
; COMPUTE_PGM_RSRC2:TGID_X_EN: 1
; COMPUTE_PGM_RSRC2:TGID_Y_EN: 0
; COMPUTE_PGM_RSRC2:TGID_Z_EN: 0
; COMPUTE_PGM_RSRC2:TIDIG_COMP_CNT: 0
; COMPUTE_PGM_RSRC3_GFX90A:ACCUM_OFFSET: 25
; COMPUTE_PGM_RSRC3_GFX90A:TG_SPLIT: 0
	.section	.text._ZN9rocsparseL18bsrxmvn_4x4_kernelILj128ELj32E21rocsparse_complex_numIfEiiS2_S2_S2_EEvT3_20rocsparse_direction_NS_24const_host_device_scalarIT1_EES3_PKS3_PKT2_SC_S9_PKT4_PKT5_S7_PT6_21rocsparse_index_base_b,"axG",@progbits,_ZN9rocsparseL18bsrxmvn_4x4_kernelILj128ELj32E21rocsparse_complex_numIfEiiS2_S2_S2_EEvT3_20rocsparse_direction_NS_24const_host_device_scalarIT1_EES3_PKS3_PKT2_SC_S9_PKT4_PKT5_S7_PT6_21rocsparse_index_base_b,comdat
	.globl	_ZN9rocsparseL18bsrxmvn_4x4_kernelILj128ELj32E21rocsparse_complex_numIfEiiS2_S2_S2_EEvT3_20rocsparse_direction_NS_24const_host_device_scalarIT1_EES3_PKS3_PKT2_SC_S9_PKT4_PKT5_S7_PT6_21rocsparse_index_base_b ; -- Begin function _ZN9rocsparseL18bsrxmvn_4x4_kernelILj128ELj32E21rocsparse_complex_numIfEiiS2_S2_S2_EEvT3_20rocsparse_direction_NS_24const_host_device_scalarIT1_EES3_PKS3_PKT2_SC_S9_PKT4_PKT5_S7_PT6_21rocsparse_index_base_b
	.p2align	8
	.type	_ZN9rocsparseL18bsrxmvn_4x4_kernelILj128ELj32E21rocsparse_complex_numIfEiiS2_S2_S2_EEvT3_20rocsparse_direction_NS_24const_host_device_scalarIT1_EES3_PKS3_PKT2_SC_S9_PKT4_PKT5_S7_PT6_21rocsparse_index_base_b,@function
_ZN9rocsparseL18bsrxmvn_4x4_kernelILj128ELj32E21rocsparse_complex_numIfEiiS2_S2_S2_EEvT3_20rocsparse_direction_NS_24const_host_device_scalarIT1_EES3_PKS3_PKT2_SC_S9_PKT4_PKT5_S7_PT6_21rocsparse_index_base_b: ; @_ZN9rocsparseL18bsrxmvn_4x4_kernelILj128ELj32E21rocsparse_complex_numIfEiiS2_S2_S2_EEvT3_20rocsparse_direction_NS_24const_host_device_scalarIT1_EES3_PKS3_PKT2_SC_S9_PKT4_PKT5_S7_PT6_21rocsparse_index_base_b
; %bb.0:
	s_load_dwordx2 s[4:5], s[0:1], 0x8
	s_load_dwordx2 s[16:17], s[0:1], 0x58
	s_add_u32 s3, s0, 8
	s_addc_u32 s8, s1, 0
	s_load_dwordx2 s[6:7], s[0:1], 0x48
	s_add_u32 s9, s0, 0x48
	s_addc_u32 s10, s1, 0
	s_waitcnt lgkmcnt(0)
	s_bitcmp1_b32 s17, 0
	s_cselect_b32 s3, s3, s4
	s_cselect_b32 s5, s8, s5
	v_mov_b32_e32 v2, s3
	s_cselect_b32 s3, s10, s7
	s_cselect_b32 s4, s9, s6
	v_mov_b32_e32 v3, s5
	v_mov_b32_e32 v4, s4
	;; [unrolled: 1-line block ×3, first 2 shown]
	flat_load_dwordx2 v[56:57], v[2:3]
	flat_load_dwordx2 v[58:59], v[4:5]
	s_waitcnt vmcnt(0) lgkmcnt(0)
	v_cmp_neq_f32_e32 vcc, 0, v56
	v_cmp_neq_f32_e64 s[4:5], 0, v57
	v_cmp_neq_f32_e64 s[8:9], 1.0, v58
	v_cmp_neq_f32_e64 s[6:7], 0, v59
	s_or_b64 s[4:5], vcc, s[4:5]
	s_or_b64 s[8:9], s[8:9], s[6:7]
	s_or_b64 s[4:5], s[4:5], s[8:9]
	s_and_saveexec_b64 s[8:9], s[4:5]
	s_cbranch_execz .LBB13_6
; %bb.1:
	s_load_dwordx2 s[8:9], s[0:1], 0x18
	s_load_dwordx2 s[4:5], s[0:1], 0x0
	v_lshrrev_b32_e32 v1, 5, v0
	v_lshl_or_b32 v60, s2, 2, v1
	s_mov_b64 s[2:3], 0
	s_waitcnt lgkmcnt(0)
	s_cmp_lg_u64 s[8:9], 0
	s_cbranch_scc0 .LBB13_7
; %bb.2:
	s_load_dword s10, s[0:1], 0x10
                                        ; implicit-def: $vgpr1
	s_waitcnt lgkmcnt(0)
	v_cmp_gt_i32_e32 vcc, s10, v60
	s_and_saveexec_b64 s[10:11], vcc
	s_xor_b64 s[10:11], exec, s[10:11]
	s_cbranch_execz .LBB13_4
; %bb.3:
	v_ashrrev_i32_e32 v61, 31, v60
	v_lshl_add_u64 v[2:3], v[60:61], 2, s[8:9]
	global_load_dword v1, v[2:3], off
	s_mov_b64 s[2:3], exec
	s_waitcnt vmcnt(0)
	v_subrev_u32_e32 v1, s16, v1
.LBB13_4:
	s_or_b64 exec, exec, s[10:11]
	s_branch .LBB13_8
.LBB13_5:
	v_cmp_gt_i32_e32 vcc, s4, v60
	s_andn2_b64 s[2:3], s[2:3], exec
	s_and_b64 s[8:9], vcc, exec
	s_or_b64 s[2:3], s[2:3], s[8:9]
	s_and_b64 exec, exec, s[2:3]
	s_cbranch_execnz .LBB13_9
.LBB13_6:
	s_endpgm
.LBB13_7:
                                        ; implicit-def: $vgpr1
	s_cbranch_execnz .LBB13_5
.LBB13_8:
	v_mov_b32_e32 v60, v1
	s_and_b64 exec, exec, s[2:3]
	s_cbranch_execz .LBB13_6
.LBB13_9:
	s_load_dwordx8 s[8:15], s[0:1], 0x20
	v_ashrrev_i32_e32 v61, 31, v60
	v_lshlrev_b64 v[2:3], 2, v[60:61]
	v_and_b32_e32 v61, 31, v0
	s_waitcnt lgkmcnt(0)
	v_lshl_add_u64 v[4:5], s[8:9], 0, v[2:3]
	s_cmp_eq_u64 s[10:11], 0
	global_load_dword v77, v[4:5], off
	v_lshl_add_u64 v[4:5], v[4:5], 0, 4
	v_lshl_add_u64 v[2:3], s[10:11], 0, v[2:3]
	s_cselect_b64 vcc, -1, 0
	v_cndmask_b32_e32 v3, v3, v5, vcc
	v_cndmask_b32_e32 v2, v2, v4, vcc
	global_load_dword v1, v[2:3], off
	s_load_dwordx2 s[8:9], s[0:1], 0x40
	s_cmp_eq_u32 s5, 1
	s_waitcnt vmcnt(1)
	v_subrev_u32_e32 v0, s16, v77
	v_add_u32_e32 v62, v0, v61
	v_ashrrev_i32_e32 v63, 31, v62
	s_waitcnt vmcnt(0)
	v_subrev_u32_e32 v76, s16, v1
	v_lshlrev_b64 v[0:1], 7, v[62:63]
	v_lshl_add_u64 v[64:65], s[14:15], 0, v[0:1]
	v_cmp_lt_i32_e64 s[4:5], v62, v76
	s_cbranch_scc1 .LBB13_21
; %bb.10:
	v_mov_b32_e32 v43, 0
	v_mov_b32_e32 v42, 0
	;; [unrolled: 1-line block ×8, first 2 shown]
	s_and_saveexec_b64 s[10:11], s[4:5]
	s_cbranch_execz .LBB13_20
; %bb.11:
	v_add_u32_e32 v0, v77, v61
	v_subrev_u32_e32 v0, s16, v0
	v_add_u32_e32 v0, 32, v0
	v_max_i32_e32 v0, v0, v76
	v_not_b32_e32 v1, v77
	v_add3_u32 v0, s16, v0, v1
	v_sub_u32_e32 v0, v0, v61
	v_mov_b32_e32 v40, 0
	s_movk_i32 s2, 0x60
	v_and_b32_e32 v1, 0x60, v0
	v_mov_b32_e32 v41, v40
	v_cmp_ne_u32_e32 vcc, s2, v1
	v_mov_b64_e32 v[42:43], v[40:41]
	v_mov_b64_e32 v[32:33], v[40:41]
	;; [unrolled: 1-line block ×4, first 2 shown]
	v_mov_b32_e32 v66, v62
	s_and_saveexec_b64 s[2:3], vcc
	s_cbranch_execz .LBB13_15
; %bb.12:
	v_lshrrev_b32_e32 v1, 5, v0
	v_add_u32_e32 v1, 1, v1
	v_and_b32_e32 v1, 3, v1
	v_sub_u32_e32 v1, 0, v1
	s_mov_b64 s[14:15], 0
	s_mov_b64 s[18:19], 0x1000
	v_mov_b32_e32 v66, v62
	v_mov_b64_e32 v[68:69], v[64:65]
	v_mov_b32_e32 v41, v40
	v_mov_b32_e32 v34, v40
	;; [unrolled: 1-line block ×7, first 2 shown]
.LBB13_13:                              ; =>This Inner Loop Header: Depth=1
	v_ashrrev_i32_e32 v67, 31, v66
	v_lshl_add_u64 v[30:31], v[66:67], 2, s[12:13]
	global_load_dword v44, v[30:31], off
	global_load_dwordx4 v[2:5], v[68:69], off
	global_load_dwordx4 v[6:9], v[68:69], off offset:16
	global_load_dwordx4 v[10:13], v[68:69], off offset:32
	;; [unrolled: 1-line block ×7, first 2 shown]
	v_add_co_u32_e32 v1, vcc, 1, v1
	v_lshl_add_u64 v[68:69], v[68:69], 0, s[18:19]
	v_add_u32_e32 v66, 32, v66
	s_or_b64 s[14:15], vcc, s[14:15]
	s_waitcnt vmcnt(8)
	v_subrev_u32_e32 v30, s16, v44
	v_lshlrev_b32_e32 v30, 2, v30
	v_ashrrev_i32_e32 v31, 31, v30
	s_waitcnt lgkmcnt(0)
	v_lshl_add_u64 v[30:31], v[30:31], 3, s[8:9]
	global_load_dwordx4 v[44:47], v[30:31], off
	global_load_dwordx4 v[48:51], v[30:31], off offset:16
	s_waitcnt vmcnt(9)
	v_xor_b32_e32 v30, 0x80000000, v5
	v_mov_b32_e32 v31, v4
	s_waitcnt vmcnt(7)
	v_xor_b32_e32 v54, 0x80000000, v13
	v_mov_b32_e32 v55, v12
	;; [unrolled: 3-line block ×4, first 2 shown]
	v_xor_b32_e32 v52, 0x80000000, v9
	v_mov_b32_e32 v53, v8
	v_xor_b32_e32 v70, 0x80000000, v17
	v_mov_b32_e32 v71, v16
	;; [unrolled: 2-line block ×4, first 2 shown]
	s_waitcnt vmcnt(1)
	v_pk_fma_f32 v[42:43], v[2:3], v[44:45], v[42:43] op_sel_hi:[1,0,1]
	v_pk_fma_f32 v[40:41], v[10:11], v[44:45], v[40:41] op_sel_hi:[1,0,1]
	;; [unrolled: 1-line block ×4, first 2 shown]
	v_pk_fma_f32 v[2:3], v[2:3], v[44:45], v[42:43] op_sel:[1,1,0] op_sel_hi:[0,1,1] neg_lo:[1,0,0]
	v_pk_fma_f32 v[10:11], v[10:11], v[44:45], v[40:41] op_sel:[1,1,0] op_sel_hi:[0,1,1] neg_lo:[1,0,0]
	;; [unrolled: 1-line block ×4, first 2 shown]
	v_mov_b32_e32 v82, v47
	v_pk_fma_f32 v[2:3], v[4:5], v[46:47], v[2:3] op_sel_hi:[1,0,1]
	v_pk_fma_f32 v[4:5], v[12:13], v[46:47], v[10:11] op_sel_hi:[1,0,1]
	;; [unrolled: 1-line block ×8, first 2 shown]
	s_waitcnt vmcnt(0)
	v_pk_fma_f32 v[2:3], v[6:7], v[48:49], v[2:3] op_sel_hi:[1,0,1]
	v_pk_fma_f32 v[4:5], v[14:15], v[48:49], v[4:5] op_sel_hi:[1,0,1]
	;; [unrolled: 1-line block ×4, first 2 shown]
	v_pk_fma_f32 v[2:3], v[6:7], v[48:49], v[2:3] op_sel:[1,1,0] op_sel_hi:[0,1,1] neg_lo:[1,0,0]
	v_pk_fma_f32 v[4:5], v[14:15], v[48:49], v[4:5] op_sel:[1,1,0] op_sel_hi:[0,1,1] neg_lo:[1,0,0]
	;; [unrolled: 1-line block ×4, first 2 shown]
	v_mov_b32_e32 v84, v51
	v_pk_fma_f32 v[2:3], v[8:9], v[50:51], v[2:3] op_sel_hi:[1,0,1]
	v_pk_fma_f32 v[4:5], v[16:17], v[50:51], v[4:5] op_sel_hi:[1,0,1]
	;; [unrolled: 1-line block ×8, first 2 shown]
	s_andn2_b64 exec, exec, s[14:15]
	s_cbranch_execnz .LBB13_13
; %bb.14:
	s_or_b64 exec, exec, s[14:15]
.LBB13_15:
	s_or_b64 exec, exec, s[2:3]
	s_movk_i32 s2, 0x5f
	v_cmp_lt_u32_e32 vcc, s2, v0
	s_and_saveexec_b64 s[14:15], vcc
	s_cbranch_execz .LBB13_19
; %bb.16:
	s_mov_b64 s[18:19], 0
	s_mov_b64 s[20:21], 0x1000
	;; [unrolled: 1-line block ×3, first 2 shown]
	s_movk_i32 s17, 0x2000
	s_mov_b64 s[24:25], 0x3000
	s_movk_i32 s28, 0x3000
	s_mov_b64 s[26:27], 0x4000
.LBB13_17:                              ; =>This Inner Loop Header: Depth=1
	v_ashrrev_i32_e32 v67, 31, v66
	v_lshl_add_u64 v[44:45], v[68:69], 0, s[20:21]
	global_load_dwordx4 v[0:3], v[68:69], off offset:48
	global_load_dwordx4 v[8:11], v[68:69], off offset:32
	;; [unrolled: 1-line block ×3, first 2 shown]
	global_load_dwordx4 v[20:23], v[68:69], off
	global_load_dwordx4 v[12:15], v[68:69], off offset:112
	global_load_dwordx4 v[24:27], v[68:69], off offset:96
	;; [unrolled: 1-line block ×4, first 2 shown]
	v_lshl_add_u64 v[74:75], v[66:67], 2, s[12:13]
	global_load_dwordx4 v[78:81], v[44:45], off offset:48
	global_load_dwordx4 v[82:85], v[44:45], off offset:32
	;; [unrolled: 1-line block ×5, first 2 shown]
	global_load_dword v46, v[74:75], off
	v_add_co_u32_e32 v52, vcc, s17, v68
	v_lshl_add_u64 v[72:73], v[68:69], 0, s[22:23]
	s_nop 0
	v_addc_co_u32_e32 v53, vcc, 0, v69, vcc
	v_lshl_add_u64 v[70:71], v[68:69], 0, s[24:25]
	v_add_co_u32_e64 v54, s[2:3], s28, v68
	v_add_u32_e32 v66, 0x80, v66
	s_nop 0
	v_addc_co_u32_e64 v55, vcc, 0, v69, s[2:3]
	v_cmp_ge_i32_e32 vcc, v66, v76
	v_lshl_add_u64 v[68:69], v[68:69], 0, s[26:27]
	s_or_b64 s[18:19], vcc, s[18:19]
	s_waitcnt vmcnt(12)
	v_xor_b32_e32 v96, 0x80000000, v11
	v_mov_b32_e32 v97, v10
	s_waitcnt vmcnt(10)
	v_xor_b32_e32 v50, 0x80000000, v23
	v_mov_b32_e32 v51, v22
	;; [unrolled: 3-line block ×4, first 2 shown]
	s_waitcnt vmcnt(0)
	v_subrev_u32_e32 v46, s16, v46
	v_lshlrev_b32_e32 v46, 2, v46
	v_ashrrev_i32_e32 v47, 31, v46
	s_waitcnt lgkmcnt(0)
	v_lshl_add_u64 v[94:95], v[46:47], 3, s[8:9]
	global_load_dwordx4 v[46:49], v[94:95], off
	s_waitcnt vmcnt(0)
	v_pk_fma_f32 v[42:43], v[20:21], v[46:47], v[42:43] op_sel_hi:[1,0,1]
	s_nop 0
	v_pk_fma_f32 v[20:21], v[20:21], v[46:47], v[42:43] op_sel:[1,1,0] op_sel_hi:[0,1,1] neg_lo:[1,0,0]
	v_pk_fma_f32 v[42:43], v[22:23], v[48:49], v[20:21] op_sel_hi:[1,0,1]
	v_pk_fma_f32 v[20:21], v[8:9], v[46:47], v[40:41] op_sel_hi:[1,0,1]
	s_nop 0
	v_pk_fma_f32 v[8:9], v[8:9], v[46:47], v[20:21] op_sel:[1,1,0] op_sel_hi:[0,1,1] neg_lo:[1,0,0]
	v_pk_fma_f32 v[40:41], v[10:11], v[48:49], v[8:9] op_sel_hi:[1,0,1]
	v_pk_fma_f32 v[8:9], v[28:29], v[46:47], v[34:35] op_sel_hi:[1,0,1]
	global_load_dwordx4 v[20:23], v[44:45], off offset:80
	v_pk_fma_f32 v[8:9], v[28:29], v[46:47], v[8:9] op_sel:[1,1,0] op_sel_hi:[0,1,1] neg_lo:[1,0,0]
	v_pk_fma_f32 v[34:35], v[30:31], v[48:49], v[8:9] op_sel_hi:[1,0,1]
	v_pk_fma_f32 v[8:9], v[24:25], v[46:47], v[32:33] op_sel_hi:[1,0,1]
	global_load_dwordx4 v[28:31], v[44:45], off offset:64
	v_pk_fma_f32 v[8:9], v[24:25], v[46:47], v[8:9] op_sel:[1,1,0] op_sel_hi:[0,1,1] neg_lo:[1,0,0]
	v_pk_fma_f32 v[32:33], v[26:27], v[48:49], v[8:9] op_sel_hi:[1,0,1]
	v_mov_b32_e32 v48, v49
	v_pk_fma_f32 v[42:43], v[50:51], v[48:49], v[42:43] op_sel_hi:[1,0,1]
	v_pk_fma_f32 v[40:41], v[96:97], v[48:49], v[40:41] op_sel_hi:[1,0,1]
	;; [unrolled: 1-line block ×4, first 2 shown]
	global_load_dwordx4 v[32:35], v[94:95], off offset:16
	v_xor_b32_e32 v96, 0x80000000, v7
	v_mov_b32_e32 v97, v6
	v_xor_b32_e32 v98, 0x80000000, v19
	v_mov_b32_e32 v99, v18
	;; [unrolled: 2-line block ×3, first 2 shown]
	global_load_dwordx4 v[24:27], v[72:73], off offset:16
	global_load_dwordx4 v[8:11], v[72:73], off offset:48
	;; [unrolled: 1-line block ×3, first 2 shown]
	v_xor_b32_e32 v100, 0x80000000, v89
	v_mov_b32_e32 v101, v88
	s_waitcnt vmcnt(3)
	v_pk_fma_f32 v[42:43], v[4:5], v[32:33], v[42:43] op_sel_hi:[1,0,1]
	s_nop 0
	v_pk_fma_f32 v[4:5], v[4:5], v[32:33], v[42:43] op_sel:[1,1,0] op_sel_hi:[0,1,1] neg_lo:[1,0,0]
	v_pk_fma_f32 v[42:43], v[6:7], v[34:35], v[4:5] op_sel_hi:[1,0,1]
	v_pk_fma_f32 v[4:5], v[0:1], v[32:33], v[40:41] op_sel_hi:[1,0,1]
	s_nop 0
	v_pk_fma_f32 v[0:1], v[0:1], v[32:33], v[4:5] op_sel:[1,1,0] op_sel_hi:[0,1,1] neg_lo:[1,0,0]
	v_pk_fma_f32 v[4:5], v[16:17], v[32:33], v[50:51] op_sel_hi:[1,0,1]
	v_pk_fma_f32 v[40:41], v[2:3], v[34:35], v[0:1] op_sel_hi:[1,0,1]
	v_pk_fma_f32 v[4:5], v[16:17], v[32:33], v[4:5] op_sel:[1,1,0] op_sel_hi:[0,1,1] neg_lo:[1,0,0]
	v_pk_fma_f32 v[16:17], v[18:19], v[34:35], v[4:5] op_sel_hi:[1,0,1]
	v_pk_fma_f32 v[4:5], v[12:13], v[32:33], v[48:49] op_sel_hi:[1,0,1]
	v_mov_b32_e32 v19, v14
	v_pk_fma_f32 v[4:5], v[12:13], v[32:33], v[4:5] op_sel:[1,1,0] op_sel_hi:[0,1,1] neg_lo:[1,0,0]
	v_pk_fma_f32 v[12:13], v[14:15], v[34:35], v[4:5] op_sel_hi:[1,0,1]
	v_mov_b32_e32 v14, v35
	v_xor_b32_e32 v18, 0x80000000, v15
	v_pk_fma_f32 v[32:33], v[96:97], v[14:15], v[42:43] op_sel_hi:[1,0,1]
	global_load_dword v15, v[74:75], off offset:128
	global_load_dwordx4 v[4:7], v[52:53], off offset:-4096
	global_load_dwordx4 v[0:3], v[72:73], off offset:112
	global_load_dwordx4 v[48:51], v[72:73], off offset:96
	s_waitcnt vmcnt(3)
	v_pk_fma_f32 v[40:41], v[94:95], v[14:15], v[40:41] op_sel_hi:[1,0,1]
	v_subrev_u32_e32 v15, s16, v15
	v_lshlrev_b32_e32 v34, 2, v15
	v_ashrrev_i32_e32 v35, 31, v34
	v_lshl_add_u64 v[94:95], v[34:35], 3, s[8:9]
	v_pk_fma_f32 v[16:17], v[98:99], v[14:15], v[16:17] op_sel_hi:[1,0,1]
	v_pk_fma_f32 v[18:19], v[18:19], v[14:15], v[12:13] op_sel_hi:[1,0,1]
	global_load_dwordx4 v[12:15], v[94:95], off
	s_waitcnt vmcnt(3)
	v_xor_b32_e32 v42, 0x80000000, v7
	v_mov_b32_e32 v43, v6
	v_xor_b32_e32 v98, 0x80000000, v85
	v_mov_b32_e32 v99, v84
	s_waitcnt vmcnt(0)
	v_pk_fma_f32 v[32:33], v[4:5], v[12:13], v[32:33] op_sel_hi:[1,0,1]
	s_nop 0
	v_pk_fma_f32 v[4:5], v[4:5], v[12:13], v[32:33] op_sel:[1,1,0] op_sel_hi:[0,1,1] neg_lo:[1,0,0]
	v_pk_fma_f32 v[96:97], v[6:7], v[14:15], v[4:5] op_sel_hi:[1,0,1]
	v_pk_fma_f32 v[4:5], v[82:83], v[12:13], v[40:41] op_sel_hi:[1,0,1]
	global_load_dwordx4 v[32:35], v[72:73], off offset:80
	v_pk_fma_f32 v[4:5], v[82:83], v[12:13], v[4:5] op_sel:[1,1,0] op_sel_hi:[0,1,1] neg_lo:[1,0,0]
	v_pk_fma_f32 v[40:41], v[84:85], v[14:15], v[4:5] op_sel_hi:[1,0,1]
	v_pk_fma_f32 v[4:5], v[28:29], v[12:13], v[16:17] op_sel_hi:[1,0,1]
	global_load_dwordx4 v[82:85], v[72:73], off offset:64
	v_pk_fma_f32 v[4:5], v[28:29], v[12:13], v[4:5] op_sel:[1,1,0] op_sel_hi:[0,1,1] neg_lo:[1,0,0]
	v_pk_fma_f32 v[28:29], v[30:31], v[14:15], v[4:5] op_sel_hi:[1,0,1]
	v_pk_fma_f32 v[4:5], v[90:91], v[12:13], v[18:19] op_sel_hi:[1,0,1]
	v_xor_b32_e32 v72, 0x80000000, v31
	v_pk_fma_f32 v[4:5], v[90:91], v[12:13], v[4:5] op_sel:[1,1,0] op_sel_hi:[0,1,1] neg_lo:[1,0,0]
	v_mov_b32_e32 v31, v92
	v_pk_fma_f32 v[90:91], v[92:93], v[14:15], v[4:5] op_sel_hi:[1,0,1]
	v_mov_b32_e32 v92, v15
	v_pk_fma_f32 v[96:97], v[42:43], v[92:93], v[96:97] op_sel_hi:[1,0,1]
	v_pk_fma_f32 v[98:99], v[98:99], v[92:93], v[40:41] op_sel_hi:[1,0,1]
	global_load_dwordx4 v[40:43], v[94:95], off offset:16
	v_mov_b32_e32 v73, v30
	v_xor_b32_e32 v30, 0x80000000, v93
	v_pk_fma_f32 v[72:73], v[72:73], v[92:93], v[28:29] op_sel_hi:[1,0,1]
	v_pk_fma_f32 v[90:91], v[30:31], v[92:93], v[90:91] op_sel_hi:[1,0,1]
	global_load_dwordx4 v[16:19], v[70:71], off offset:32
	global_load_dwordx4 v[4:7], v[70:71], off offset:16
	;; [unrolled: 1-line block ×3, first 2 shown]
	s_waitcnt vmcnt(3)
	v_pk_fma_f32 v[28:29], v[86:87], v[40:41], v[96:97] op_sel_hi:[1,0,1]
	v_pk_fma_f32 v[92:93], v[78:79], v[40:41], v[98:99] op_sel_hi:[1,0,1]
	;; [unrolled: 1-line block ×3, first 2 shown]
	v_pk_fma_f32 v[28:29], v[86:87], v[40:41], v[28:29] op_sel:[1,1,0] op_sel_hi:[0,1,1] neg_lo:[1,0,0]
	v_pk_fma_f32 v[78:79], v[78:79], v[40:41], v[92:93] op_sel:[1,1,0] op_sel_hi:[0,1,1] neg_lo:[1,0,0]
	;; [unrolled: 1-line block ×3, first 2 shown]
	v_pk_fma_f32 v[86:87], v[88:89], v[42:43], v[28:29] op_sel_hi:[1,0,1]
	global_load_dwordx4 v[28:31], v[70:71], off offset:96
	v_xor_b32_e32 v88, 0x80000000, v81
	v_mov_b32_e32 v89, v80
	v_pk_fma_f32 v[78:79], v[80:81], v[42:43], v[78:79] op_sel_hi:[1,0,1]
	v_xor_b32_e32 v80, 0x80000000, v23
	v_mov_b32_e32 v81, v22
	v_pk_fma_f32 v[92:93], v[22:23], v[42:43], v[20:21] op_sel_hi:[1,0,1]
	global_load_dwordx4 v[20:23], v[70:71], off offset:80
	global_load_dword v63, v[74:75], off offset:256
	global_load_dword v67, v[74:75], off offset:384
	v_pk_fma_f32 v[72:73], v[36:37], v[40:41], v[90:91] op_sel_hi:[1,0,1]
	v_xor_b32_e32 v74, 0x80000000, v39
	v_pk_fma_f32 v[36:37], v[36:37], v[40:41], v[72:73] op_sel:[1,1,0] op_sel_hi:[0,1,1] neg_lo:[1,0,0]
	v_mov_b32_e32 v75, v38
	v_pk_fma_f32 v[90:91], v[38:39], v[42:43], v[36:37] op_sel_hi:[1,0,1]
	global_load_dwordx4 v[36:39], v[70:71], off offset:48
	v_mov_b32_e32 v94, v43
	global_load_dwordx4 v[40:43], v[70:71], off offset:64
	v_pk_fma_f32 v[88:89], v[88:89], v[94:95], v[78:79] op_sel_hi:[1,0,1]
	global_load_dwordx4 v[70:73], v[52:53], off
	v_pk_fma_f32 v[92:93], v[80:81], v[94:95], v[92:93] op_sel_hi:[1,0,1]
	v_pk_fma_f32 v[86:87], v[100:101], v[94:95], v[86:87] op_sel_hi:[1,0,1]
	;; [unrolled: 1-line block ×3, first 2 shown]
	v_xor_b32_e32 v90, 0x80000000, v47
	v_mov_b32_e32 v91, v46
	v_xor_b32_e32 v100, 0x80000000, v51
	v_mov_b32_e32 v101, v50
	;; [unrolled: 2-line block ×3, first 2 shown]
	s_waitcnt vmcnt(4)
	v_subrev_u32_e32 v52, s16, v63
	v_lshlrev_b32_e32 v52, 2, v52
	v_ashrrev_i32_e32 v53, 31, v52
	v_lshl_add_u64 v[98:99], v[52:53], 3, s[8:9]
	global_load_dwordx4 v[78:81], v[98:99], off
	s_waitcnt vmcnt(1)
	v_xor_b32_e32 v96, 0x80000000, v73
	v_mov_b32_e32 v97, v72
	s_waitcnt vmcnt(0)
	v_pk_fma_f32 v[52:53], v[70:71], v[78:79], v[86:87] op_sel_hi:[1,0,1]
	s_nop 0
	v_pk_fma_f32 v[52:53], v[70:71], v[78:79], v[52:53] op_sel:[1,1,0] op_sel_hi:[0,1,1] neg_lo:[1,0,0]
	v_pk_fma_f32 v[70:71], v[44:45], v[78:79], v[88:89] op_sel_hi:[1,0,1]
	v_pk_fma_f32 v[86:87], v[72:73], v[80:81], v[52:53] op_sel_hi:[1,0,1]
	v_pk_fma_f32 v[44:45], v[44:45], v[78:79], v[70:71] op_sel:[1,1,0] op_sel_hi:[0,1,1] neg_lo:[1,0,0]
	v_pk_fma_f32 v[88:89], v[46:47], v[80:81], v[44:45] op_sel_hi:[1,0,1]
	v_subrev_u32_e32 v44, s16, v67
	v_lshlrev_b32_e32 v44, 2, v44
	v_ashrrev_i32_e32 v45, 31, v44
	global_load_dwordx4 v[70:73], v[98:99], off offset:16
	v_lshl_add_u64 v[102:103], v[44:45], 3, s[8:9]
	v_pk_fma_f32 v[44:45], v[82:83], v[78:79], v[92:93] op_sel_hi:[1,0,1]
	global_load_dwordx4 v[52:55], v[54:55], off
	v_pk_fma_f32 v[44:45], v[82:83], v[78:79], v[44:45] op_sel:[1,1,0] op_sel_hi:[0,1,1] neg_lo:[1,0,0]
	v_pk_fma_f32 v[82:83], v[84:85], v[80:81], v[44:45] op_sel_hi:[1,0,1]
	v_pk_fma_f32 v[44:45], v[48:49], v[78:79], v[74:75] op_sel_hi:[1,0,1]
	v_xor_b32_e32 v92, 0x80000000, v3
	v_pk_fma_f32 v[44:45], v[48:49], v[78:79], v[44:45] op_sel:[1,1,0] op_sel_hi:[0,1,1] neg_lo:[1,0,0]
	v_pk_fma_f32 v[74:75], v[50:51], v[80:81], v[44:45] op_sel_hi:[1,0,1]
	global_load_dwordx4 v[48:51], v[102:103], off
	global_load_dwordx4 v[44:47], v[102:103], off offset:16
	v_mov_b32_e32 v78, v81
	v_pk_fma_f32 v[84:85], v[96:97], v[78:79], v[86:87] op_sel_hi:[1,0,1]
	v_pk_fma_f32 v[88:89], v[90:91], v[78:79], v[88:89] op_sel_hi:[1,0,1]
	;; [unrolled: 1-line block ×4, first 2 shown]
	v_xor_b32_e32 v80, 0x80000000, v27
	v_mov_b32_e32 v81, v26
	v_xor_b32_e32 v86, 0x80000000, v11
	v_mov_b32_e32 v87, v10
	;; [unrolled: 2-line block ×3, first 2 shown]
	v_mov_b32_e32 v93, v2
	v_xor_b32_e32 v94, 0x80000000, v19
	v_mov_b32_e32 v95, v18
	v_xor_b32_e32 v78, 0x80000000, v7
	v_mov_b32_e32 v79, v6
	s_waitcnt vmcnt(3)
	v_pk_fma_f32 v[84:85], v[24:25], v[70:71], v[84:85] op_sel_hi:[1,0,1]
	v_pk_fma_f32 v[88:89], v[8:9], v[70:71], v[88:89] op_sel_hi:[1,0,1]
	;; [unrolled: 1-line block ×4, first 2 shown]
	v_pk_fma_f32 v[24:25], v[24:25], v[70:71], v[84:85] op_sel:[1,1,0] op_sel_hi:[0,1,1] neg_lo:[1,0,0]
	v_pk_fma_f32 v[8:9], v[8:9], v[70:71], v[88:89] op_sel:[1,1,0] op_sel_hi:[0,1,1] neg_lo:[1,0,0]
	;; [unrolled: 1-line block ×4, first 2 shown]
	v_pk_fma_f32 v[24:25], v[26:27], v[72:73], v[24:25] op_sel_hi:[1,0,1]
	v_pk_fma_f32 v[8:9], v[10:11], v[72:73], v[8:9] op_sel_hi:[1,0,1]
	;; [unrolled: 1-line block ×4, first 2 shown]
	v_mov_b32_e32 v2, v73
	v_pk_fma_f32 v[24:25], v[80:81], v[2:3], v[24:25] op_sel_hi:[1,0,1]
	v_pk_fma_f32 v[8:9], v[86:87], v[2:3], v[8:9] op_sel_hi:[1,0,1]
	;; [unrolled: 1-line block ×4, first 2 shown]
	s_waitcnt vmcnt(1)
	v_pk_fma_f32 v[2:3], v[52:53], v[48:49], v[24:25] op_sel_hi:[1,0,1]
	v_pk_fma_f32 v[8:9], v[16:17], v[48:49], v[8:9] op_sel_hi:[1,0,1]
	;; [unrolled: 1-line block ×4, first 2 shown]
	v_pk_fma_f32 v[2:3], v[52:53], v[48:49], v[2:3] op_sel:[1,1,0] op_sel_hi:[0,1,1] neg_lo:[1,0,0]
	v_pk_fma_f32 v[8:9], v[16:17], v[48:49], v[8:9] op_sel:[1,1,0] op_sel_hi:[0,1,1] neg_lo:[1,0,0]
	;; [unrolled: 1-line block ×4, first 2 shown]
	v_xor_b32_e32 v84, 0x80000000, v43
	v_mov_b32_e32 v85, v42
	v_xor_b32_e32 v88, 0x80000000, v31
	v_mov_b32_e32 v89, v30
	;; [unrolled: 2-line block ×3, first 2 shown]
	v_mov_b32_e32 v70, v51
	v_pk_fma_f32 v[2:3], v[54:55], v[50:51], v[2:3] op_sel_hi:[1,0,1]
	v_pk_fma_f32 v[8:9], v[18:19], v[50:51], v[8:9] op_sel_hi:[1,0,1]
	;; [unrolled: 1-line block ×8, first 2 shown]
	s_waitcnt vmcnt(0)
	v_pk_fma_f32 v[2:3], v[4:5], v[44:45], v[2:3] op_sel_hi:[1,0,1]
	v_pk_fma_f32 v[8:9], v[36:37], v[44:45], v[8:9] op_sel_hi:[1,0,1]
	v_pk_fma_f32 v[16:17], v[20:21], v[44:45], v[16:17] op_sel_hi:[1,0,1]
	v_pk_fma_f32 v[0:1], v[12:13], v[44:45], v[0:1] op_sel_hi:[1,0,1]
	v_pk_fma_f32 v[2:3], v[4:5], v[44:45], v[2:3] op_sel:[1,1,0] op_sel_hi:[0,1,1] neg_lo:[1,0,0]
	v_pk_fma_f32 v[4:5], v[36:37], v[44:45], v[8:9] op_sel:[1,1,0] op_sel_hi:[0,1,1] neg_lo:[1,0,0]
	;; [unrolled: 1-line block ×4, first 2 shown]
	v_xor_b32_e32 v26, 0x80000000, v39
	v_mov_b32_e32 v27, v38
	v_xor_b32_e32 v10, 0x80000000, v23
	v_mov_b32_e32 v11, v22
	;; [unrolled: 2-line block ×3, first 2 shown]
	v_mov_b32_e32 v72, v47
	v_pk_fma_f32 v[2:3], v[6:7], v[46:47], v[2:3] op_sel_hi:[1,0,1]
	v_pk_fma_f32 v[4:5], v[38:39], v[46:47], v[4:5] op_sel_hi:[1,0,1]
	;; [unrolled: 1-line block ×8, first 2 shown]
	s_andn2_b64 exec, exec, s[18:19]
	s_cbranch_execnz .LBB13_17
; %bb.18:
	s_or_b64 exec, exec, s[18:19]
.LBB13_19:
	s_or_b64 exec, exec, s[14:15]
.LBB13_20:
	s_or_b64 exec, exec, s[10:11]
	s_cbranch_execz .LBB13_22
	s_branch .LBB13_33
.LBB13_21:
                                        ; implicit-def: $vgpr43
                                        ; implicit-def: $vgpr33
                                        ; implicit-def: $vgpr35
                                        ; implicit-def: $vgpr41
.LBB13_22:
	v_mov_b32_e32 v43, 0
	v_mov_b32_e32 v42, 0
	;; [unrolled: 1-line block ×8, first 2 shown]
	s_and_saveexec_b64 s[2:3], s[4:5]
	s_cbranch_execz .LBB13_32
; %bb.23:
	v_add_u32_e32 v0, v77, v61
	v_subrev_u32_e32 v0, s16, v0
	v_add_u32_e32 v0, 32, v0
	v_max_i32_e32 v0, v0, v76
	v_not_b32_e32 v1, v77
	v_add3_u32 v0, s16, v0, v1
	v_sub_u32_e32 v0, v0, v61
	v_mov_b32_e32 v40, 0
	s_movk_i32 s4, 0x60
	v_and_b32_e32 v1, 0x60, v0
	v_mov_b32_e32 v41, v40
	v_cmp_ne_u32_e32 vcc, s4, v1
	v_mov_b64_e32 v[42:43], v[40:41]
	v_mov_b64_e32 v[32:33], v[40:41]
	;; [unrolled: 1-line block ×3, first 2 shown]
	s_and_saveexec_b64 s[4:5], vcc
	s_cbranch_execz .LBB13_27
; %bb.24:
	v_lshrrev_b32_e32 v1, 5, v0
	v_add_u32_e32 v1, 1, v1
	v_and_b32_e32 v1, 3, v1
	v_sub_u32_e32 v1, 0, v1
	s_mov_b64 s[10:11], 0
	s_mov_b64 s[14:15], 0x1000
	v_mov_b32_e32 v41, v40
	v_mov_b32_e32 v34, v40
	v_mov_b32_e32 v35, v40
	v_mov_b32_e32 v32, v40
	v_mov_b32_e32 v33, v40
	v_mov_b32_e32 v42, v40
	v_mov_b32_e32 v43, v40
.LBB13_25:                              ; =>This Inner Loop Header: Depth=1
	v_ashrrev_i32_e32 v63, 31, v62
	v_lshl_add_u64 v[30:31], v[62:63], 2, s[12:13]
	global_load_dword v36, v[30:31], off
	global_load_dwordx4 v[2:5], v[64:65], off
	global_load_dwordx4 v[6:9], v[64:65], off offset:32
	global_load_dwordx4 v[10:13], v[64:65], off offset:64
	;; [unrolled: 1-line block ×6, first 2 shown]
	v_add_co_u32_e32 v1, vcc, 1, v1
	v_add_u32_e32 v62, 32, v62
	s_or_b64 s[10:11], vcc, s[10:11]
	s_waitcnt vmcnt(7)
	v_subrev_u32_e32 v30, s16, v36
	v_lshlrev_b32_e32 v30, 2, v30
	v_ashrrev_i32_e32 v31, 31, v30
	s_waitcnt lgkmcnt(0)
	v_lshl_add_u64 v[30:31], v[30:31], 3, s[8:9]
	global_load_dwordx4 v[36:39], v[30:31], off
	global_load_dwordx4 v[44:47], v[30:31], off offset:16
	global_load_dwordx4 v[48:51], v[64:65], off offset:112
	s_waitcnt vmcnt(9)
	v_xor_b32_e32 v30, 0x80000000, v5
	v_mov_b32_e32 v31, v4
	s_waitcnt vmcnt(4)
	v_xor_b32_e32 v68, 0x80000000, v25
	v_mov_b32_e32 v69, v24
	v_xor_b32_e32 v52, 0x80000000, v9
	v_mov_b32_e32 v53, v8
	;; [unrolled: 2-line block ×4, first 2 shown]
	s_waitcnt vmcnt(3)
	v_xor_b32_e32 v72, 0x80000000, v29
	v_mov_b32_e32 v73, v28
	v_xor_b32_e32 v66, 0x80000000, v17
	v_mov_b32_e32 v67, v16
	v_lshl_add_u64 v[64:65], v[64:65], 0, s[14:15]
	s_waitcnt vmcnt(2)
	v_pk_fma_f32 v[42:43], v[2:3], v[36:37], v[42:43] op_sel_hi:[1,0,1]
	v_pk_fma_f32 v[4:5], v[4:5], v[36:37], v[40:41] op_sel_hi:[1,0,1]
	;; [unrolled: 1-line block ×4, first 2 shown]
	v_pk_fma_f32 v[2:3], v[2:3], v[36:37], v[42:43] op_sel:[1,1,0] op_sel_hi:[0,1,1] neg_lo:[1,0,0]
	v_pk_fma_f32 v[4:5], v[30:31], v[36:37], v[4:5] op_sel:[0,1,0]
	v_pk_fma_f32 v[22:23], v[22:23], v[36:37], v[34:35] op_sel:[1,1,0] op_sel_hi:[0,1,1] neg_lo:[1,0,0]
	v_pk_fma_f32 v[24:25], v[68:69], v[36:37], v[24:25] op_sel:[0,1,0]
	v_mov_b32_e32 v40, v39
	v_pk_fma_f32 v[2:3], v[6:7], v[38:39], v[2:3] op_sel_hi:[1,0,1]
	v_pk_fma_f32 v[4:5], v[8:9], v[38:39], v[4:5] op_sel_hi:[1,0,1]
	;; [unrolled: 1-line block ×4, first 2 shown]
	v_pk_fma_f32 v[2:3], v[6:7], v[40:41], v[2:3] op_sel:[1,0,0] op_sel_hi:[0,0,1] neg_lo:[1,0,0]
	v_pk_fma_f32 v[4:5], v[52:53], v[40:41], v[4:5] op_sel_hi:[1,0,1]
	v_pk_fma_f32 v[6:7], v[18:19], v[40:41], v[8:9] op_sel:[1,0,0] op_sel_hi:[0,0,1] neg_lo:[1,0,0]
	v_pk_fma_f32 v[8:9], v[70:71], v[40:41], v[20:21] op_sel_hi:[1,0,1]
	s_waitcnt vmcnt(1)
	v_pk_fma_f32 v[2:3], v[10:11], v[44:45], v[2:3] op_sel_hi:[1,0,1]
	v_pk_fma_f32 v[4:5], v[12:13], v[44:45], v[4:5] op_sel_hi:[1,0,1]
	;; [unrolled: 1-line block ×4, first 2 shown]
	v_pk_fma_f32 v[2:3], v[10:11], v[44:45], v[2:3] op_sel:[1,1,0] op_sel_hi:[0,1,1] neg_lo:[1,0,0]
	v_pk_fma_f32 v[4:5], v[54:55], v[44:45], v[4:5] op_sel:[0,1,0]
	v_pk_fma_f32 v[6:7], v[26:27], v[44:45], v[6:7] op_sel:[1,1,0] op_sel_hi:[0,1,1] neg_lo:[1,0,0]
	v_pk_fma_f32 v[8:9], v[72:73], v[44:45], v[8:9] op_sel:[0,1,0]
	s_waitcnt vmcnt(0)
	v_xor_b32_e32 v74, 0x80000000, v51
	v_mov_b32_e32 v75, v50
	v_mov_b32_e32 v78, v47
	v_pk_fma_f32 v[2:3], v[14:15], v[46:47], v[2:3] op_sel_hi:[1,0,1]
	v_pk_fma_f32 v[4:5], v[16:17], v[46:47], v[4:5] op_sel_hi:[1,0,1]
	;; [unrolled: 1-line block ×4, first 2 shown]
	v_pk_fma_f32 v[42:43], v[14:15], v[78:79], v[2:3] op_sel:[1,0,0] op_sel_hi:[0,0,1] neg_lo:[1,0,0]
	v_pk_fma_f32 v[40:41], v[66:67], v[78:79], v[4:5] op_sel_hi:[1,0,1]
	v_pk_fma_f32 v[34:35], v[48:49], v[78:79], v[6:7] op_sel:[1,0,0] op_sel_hi:[0,0,1] neg_lo:[1,0,0]
	v_pk_fma_f32 v[32:33], v[74:75], v[78:79], v[8:9] op_sel_hi:[1,0,1]
	s_andn2_b64 exec, exec, s[10:11]
	s_cbranch_execnz .LBB13_25
; %bb.26:
	s_or_b64 exec, exec, s[10:11]
.LBB13_27:
	s_or_b64 exec, exec, s[4:5]
	s_movk_i32 s4, 0x5f
	v_cmp_lt_u32_e32 vcc, s4, v0
	s_and_saveexec_b64 s[4:5], vcc
	s_cbranch_execz .LBB13_31
; %bb.28:
	s_mov_b64 s[10:11], 0
	s_mov_b64 s[14:15], 0x1000
	s_mov_b64 s[18:19], 0x2000
	s_movk_i32 s17, 0x2000
	s_mov_b64 s[20:21], 0x3000
	s_movk_i32 s24, 0x3000
	s_mov_b64 s[22:23], 0x4000
.LBB13_29:                              ; =>This Inner Loop Header: Depth=1
	v_add_co_u32_e32 v36, vcc, s17, v64
	v_ashrrev_i32_e32 v63, 31, v62
	s_nop 0
	v_addc_co_u32_e32 v37, vcc, 0, v65, vcc
	global_load_dwordx4 v[8:11], v[64:65], off offset:48
	global_load_dwordx4 v[12:15], v[64:65], off offset:32
	;; [unrolled: 1-line block ×3, first 2 shown]
	global_load_dwordx4 v[28:31], v[64:65], off
	global_load_dwordx4 v[0:3], v[64:65], off offset:112
	global_load_dwordx4 v[4:7], v[64:65], off offset:96
	;; [unrolled: 1-line block ×4, first 2 shown]
	v_lshl_add_u64 v[38:39], v[64:65], 0, s[14:15]
	v_lshl_add_u64 v[54:55], v[62:63], 2, s[12:13]
	global_load_dwordx4 v[50:53], v[36:37], off offset:-4096
	global_load_dwordx4 v[66:69], v[38:39], off offset:32
	global_load_dwordx4 v[70:73], v[38:39], off offset:16
	;; [unrolled: 1-line block ×5, first 2 shown]
	global_load_dword v63, v[54:55], off
	global_load_dword v77, v[54:55], off offset:128
	global_load_dword v102, v[54:55], off offset:256
	;; [unrolled: 1-line block ×3, first 2 shown]
	v_lshl_add_u64 v[44:45], v[64:65], 0, s[18:19]
	v_add_co_u32_e32 v48, vcc, s24, v64
	v_lshl_add_u64 v[46:47], v[64:65], 0, s[20:21]
	s_nop 0
	v_addc_co_u32_e32 v49, vcc, 0, v65, vcc
	v_add_u32_e32 v62, 0x80, v62
	v_cmp_ge_i32_e32 vcc, v62, v76
	v_lshl_add_u64 v[64:65], v[64:65], 0, s[22:23]
	s_or_b64 s[10:11], vcc, s[10:11]
	s_waitcnt vmcnt(14)
	v_xor_b32_e32 v54, 0x80000000, v31
	v_mov_b32_e32 v55, v30
	s_waitcnt vmcnt(3)
	v_subrev_u32_e32 v63, s16, v63
	v_lshlrev_b32_e32 v74, 2, v63
	v_ashrrev_i32_e32 v75, 31, v74
	s_waitcnt lgkmcnt(0)
	v_lshl_add_u64 v[74:75], v[74:75], 3, s[8:9]
	global_load_dwordx4 v[90:93], v[74:75], off
	global_load_dwordx4 v[94:97], v[74:75], off offset:16
	v_xor_b32_e32 v74, 0x80000000, v27
	v_mov_b32_e32 v75, v26
	s_waitcnt vmcnt(2)
	v_subrev_u32_e32 v63, s16, v103
	s_waitcnt vmcnt(1)
	v_pk_fma_f32 v[42:43], v[28:29], v[90:91], v[42:43] op_sel_hi:[1,0,1]
	s_nop 0
	v_pk_fma_f32 v[42:43], v[28:29], v[90:91], v[42:43] op_sel:[1,1,0] op_sel_hi:[0,1,1] neg_lo:[1,0,0]
	v_pk_fma_f32 v[28:29], v[24:25], v[90:91], v[34:35] op_sel_hi:[1,0,1]
	v_pk_fma_f32 v[40:41], v[30:31], v[90:91], v[40:41] op_sel_hi:[1,0,1]
	;; [unrolled: 1-line block ×3, first 2 shown]
	v_pk_fma_f32 v[100:101], v[24:25], v[90:91], v[28:29] op_sel:[1,1,0] op_sel_hi:[0,1,1] neg_lo:[1,0,0]
	global_load_dwordx4 v[24:27], v[38:39], off offset:48
	global_load_dwordx4 v[28:31], v[38:39], off offset:64
	v_pk_fma_f32 v[38:39], v[54:55], v[90:91], v[40:41] op_sel:[0,1,0]
	global_load_dwordx4 v[32:35], v[36:37], off
	v_pk_fma_f32 v[36:37], v[74:75], v[90:91], v[98:99] op_sel:[0,1,0]
	v_pk_fma_f32 v[54:55], v[8:9], v[92:93], v[100:101] op_sel_hi:[1,0,1]
	v_mov_b32_e32 v74, v93
	v_pk_fma_f32 v[54:55], v[8:9], v[74:75], v[54:55] op_sel:[1,0,0] op_sel_hi:[0,0,1] neg_lo:[1,0,0]
	s_waitcnt vmcnt(3)
	v_pk_fma_f32 v[54:55], v[16:17], v[94:95], v[54:55] op_sel_hi:[1,0,1]
	v_xor_b32_e32 v40, 0x80000000, v15
	v_mov_b32_e32 v41, v14
	v_pk_fma_f32 v[42:43], v[12:13], v[92:93], v[42:43] op_sel_hi:[1,0,1]
	v_pk_fma_f32 v[38:39], v[14:15], v[92:93], v[38:39] op_sel_hi:[1,0,1]
	v_pk_fma_f32 v[54:55], v[16:17], v[94:95], v[54:55] op_sel:[1,1,0] op_sel_hi:[0,1,1] neg_lo:[1,0,0]
	v_pk_fma_f32 v[36:37], v[10:11], v[92:93], v[36:37] op_sel_hi:[1,0,1]
	v_pk_fma_f32 v[42:43], v[12:13], v[74:75], v[42:43] op_sel:[1,0,0] op_sel_hi:[0,0,1] neg_lo:[1,0,0]
	v_xor_b32_e32 v90, 0x80000000, v11
	v_mov_b32_e32 v91, v10
	v_pk_fma_f32 v[40:41], v[40:41], v[74:75], v[38:39] op_sel_hi:[1,0,1]
	v_pk_fma_f32 v[54:55], v[0:1], v[96:97], v[54:55] op_sel_hi:[1,0,1]
	v_mov_b32_e32 v92, v97
	v_pk_fma_f32 v[74:75], v[90:91], v[74:75], v[36:37] op_sel_hi:[1,0,1]
	v_xor_b32_e32 v90, 0x80000000, v23
	v_mov_b32_e32 v91, v22
	v_pk_fma_f32 v[42:43], v[20:21], v[94:95], v[42:43] op_sel_hi:[1,0,1]
	v_pk_fma_f32 v[40:41], v[22:23], v[94:95], v[40:41] op_sel_hi:[1,0,1]
	v_pk_fma_f32 v[54:55], v[0:1], v[92:93], v[54:55] op_sel:[1,0,0] op_sel_hi:[0,0,1] neg_lo:[1,0,0]
	v_subrev_u32_e32 v0, s16, v77
	v_pk_fma_f32 v[42:43], v[20:21], v[94:95], v[42:43] op_sel:[1,1,0] op_sel_hi:[0,1,1] neg_lo:[1,0,0]
	v_pk_fma_f32 v[40:41], v[90:91], v[94:95], v[40:41] op_sel:[0,1,0]
	v_xor_b32_e32 v90, 0x80000000, v19
	v_mov_b32_e32 v91, v18
	v_pk_fma_f32 v[74:75], v[18:19], v[94:95], v[74:75] op_sel_hi:[1,0,1]
	v_lshlrev_b32_e32 v0, 2, v0
	v_pk_fma_f32 v[74:75], v[90:91], v[94:95], v[74:75] op_sel:[0,1,0]
	v_pk_fma_f32 v[42:43], v[4:5], v[96:97], v[42:43] op_sel_hi:[1,0,1]
	v_ashrrev_i32_e32 v1, 31, v0
	v_xor_b32_e32 v90, 0x80000000, v7
	v_mov_b32_e32 v91, v6
	v_pk_fma_f32 v[40:41], v[6:7], v[96:97], v[40:41] op_sel_hi:[1,0,1]
	v_pk_fma_f32 v[74:75], v[2:3], v[96:97], v[74:75] op_sel_hi:[1,0,1]
	v_pk_fma_f32 v[94:95], v[4:5], v[92:93], v[42:43] op_sel:[1,0,0] op_sel_hi:[0,0,1] neg_lo:[1,0,0]
	v_xor_b32_e32 v42, 0x80000000, v3
	v_mov_b32_e32 v43, v2
	v_lshl_add_u64 v[98:99], v[0:1], 3, s[8:9]
	global_load_dwordx4 v[12:15], v[44:45], off offset:32
	global_load_dwordx4 v[8:11], v[44:45], off offset:16
	;; [unrolled: 1-line block ×6, first 2 shown]
	v_pk_fma_f32 v[90:91], v[90:91], v[92:93], v[40:41] op_sel_hi:[1,0,1]
	v_pk_fma_f32 v[74:75], v[42:43], v[92:93], v[74:75] op_sel_hi:[1,0,1]
	global_load_dwordx4 v[0:3], v[98:99], off
	global_load_dwordx4 v[40:43], v[98:99], off offset:16
	v_xor_b32_e32 v96, 0x80000000, v53
	v_mov_b32_e32 v97, v52
	s_waitcnt vmcnt(7)
	v_xor_b32_e32 v98, 0x80000000, v15
	v_mov_b32_e32 v99, v14
	s_waitcnt vmcnt(1)
	v_pk_fma_f32 v[92:93], v[50:51], v[0:1], v[94:95] op_sel_hi:[1,0,1]
	v_pk_fma_f32 v[90:91], v[52:53], v[0:1], v[90:91] op_sel_hi:[1,0,1]
	;; [unrolled: 1-line block ×3, first 2 shown]
	v_pk_fma_f32 v[94:95], v[50:51], v[0:1], v[92:93] op_sel:[1,1,0] op_sel_hi:[0,1,1] neg_lo:[1,0,0]
	global_load_dwordx4 v[50:53], v[44:45], off offset:64
	v_xor_b32_e32 v44, 0x80000000, v73
	v_mov_b32_e32 v45, v72
	v_pk_fma_f32 v[74:75], v[72:73], v[0:1], v[74:75] op_sel_hi:[1,0,1]
	v_pk_fma_f32 v[54:55], v[70:71], v[0:1], v[54:55] op_sel:[1,1,0] op_sel_hi:[0,1,1] neg_lo:[1,0,0]
	global_load_dwordx4 v[70:73], v[48:49], off
	v_pk_fma_f32 v[48:49], v[96:97], v[0:1], v[90:91] op_sel:[0,1,0]
	v_pk_fma_f32 v[0:1], v[44:45], v[0:1], v[74:75] op_sel:[0,1,0]
	v_xor_b32_e32 v44, 0x80000000, v69
	v_mov_b32_e32 v45, v68
	v_pk_fma_f32 v[74:75], v[66:67], v[2:3], v[94:95] op_sel_hi:[1,0,1]
	v_pk_fma_f32 v[48:49], v[68:69], v[2:3], v[48:49] op_sel_hi:[1,0,1]
	v_mov_b32_e32 v94, v3
	v_pk_fma_f32 v[54:55], v[24:25], v[2:3], v[54:55] op_sel_hi:[1,0,1]
	v_pk_fma_f32 v[68:69], v[26:27], v[2:3], v[0:1] op_sel_hi:[1,0,1]
	v_pk_fma_f32 v[74:75], v[66:67], v[94:95], v[74:75] op_sel:[1,0,0] op_sel_hi:[0,0,1] neg_lo:[1,0,0]
	v_xor_b32_e32 v66, 0x80000000, v27
	v_mov_b32_e32 v67, v26
	v_pk_fma_f32 v[44:45], v[44:45], v[94:95], v[48:49] op_sel_hi:[1,0,1]
	v_pk_fma_f32 v[54:55], v[24:25], v[94:95], v[54:55] op_sel:[1,0,0] op_sel_hi:[0,0,1] neg_lo:[1,0,0]
	v_pk_fma_f32 v[48:49], v[66:67], v[94:95], v[68:69] op_sel_hi:[1,0,1]
	v_xor_b32_e32 v94, 0x80000000, v31
	v_mov_b32_e32 v95, v30
	s_waitcnt vmcnt(2)
	v_pk_fma_f32 v[44:45], v[30:31], v[40:41], v[44:45] op_sel_hi:[1,0,1]
	v_pk_fma_f32 v[74:75], v[28:29], v[40:41], v[74:75] op_sel_hi:[1,0,1]
	v_pk_fma_f32 v[94:95], v[94:95], v[40:41], v[44:45] op_sel:[0,1,0]
	v_xor_b32_e32 v44, 0x80000000, v89
	v_mov_b32_e32 v45, v88
	v_pk_fma_f32 v[54:55], v[86:87], v[40:41], v[54:55] op_sel_hi:[1,0,1]
	v_pk_fma_f32 v[48:49], v[88:89], v[40:41], v[48:49] op_sel_hi:[1,0,1]
	v_pk_fma_f32 v[74:75], v[28:29], v[40:41], v[74:75] op_sel:[1,1,0] op_sel_hi:[0,1,1] neg_lo:[1,0,0]
	v_pk_fma_f32 v[54:55], v[86:87], v[40:41], v[54:55] op_sel:[1,1,0] op_sel_hi:[0,1,1] neg_lo:[1,0,0]
	v_pk_fma_f32 v[40:41], v[44:45], v[40:41], v[48:49] op_sel:[0,1,0]
	v_pk_fma_f32 v[48:49], v[82:83], v[42:43], v[74:75] op_sel_hi:[1,0,1]
	v_pk_fma_f32 v[74:75], v[84:85], v[42:43], v[94:95] op_sel_hi:[1,0,1]
	;; [unrolled: 1-line block ×4, first 2 shown]
	v_mov_b32_e32 v42, v43
	v_pk_fma_f32 v[48:49], v[82:83], v[42:43], v[48:49] op_sel:[1,0,0] op_sel_hi:[0,0,1] neg_lo:[1,0,0]
	v_pk_fma_f32 v[54:55], v[78:79], v[42:43], v[54:55] op_sel:[1,0,0] op_sel_hi:[0,0,1] neg_lo:[1,0,0]
	v_subrev_u32_e32 v43, s16, v102
	v_lshlrev_b32_e32 v78, 2, v43
	v_ashrrev_i32_e32 v79, 31, v78
	v_xor_b32_e32 v94, 0x80000000, v85
	v_mov_b32_e32 v95, v84
	v_xor_b32_e32 v82, 0x80000000, v81
	v_mov_b32_e32 v83, v80
	v_lshl_add_u64 v[100:101], v[78:79], 3, s[8:9]
	global_load_dwordx4 v[90:93], v[46:47], off offset:48
	global_load_dwordx4 v[86:89], v[46:47], off offset:64
	;; [unrolled: 1-line block ×6, first 2 shown]
	v_pk_fma_f32 v[74:75], v[94:95], v[42:43], v[74:75] op_sel_hi:[1,0,1]
	global_load_dwordx4 v[44:47], v[46:47], off offset:112
	v_pk_fma_f32 v[82:83], v[82:83], v[42:43], v[40:41] op_sel_hi:[1,0,1]
	global_load_dwordx4 v[40:43], v[100:101], off
	global_load_dwordx4 v[78:81], v[100:101], off offset:16
	v_xor_b32_e32 v84, 0x80000000, v35
	v_mov_b32_e32 v85, v34
	v_xor_b32_e32 v96, 0x80000000, v11
	v_mov_b32_e32 v97, v10
	s_waitcnt vmcnt(1)
	v_pk_fma_f32 v[48:49], v[32:33], v[40:41], v[48:49] op_sel_hi:[1,0,1]
	s_nop 0
	v_pk_fma_f32 v[48:49], v[32:33], v[40:41], v[48:49] op_sel:[1,1,0] op_sel_hi:[0,1,1] neg_lo:[1,0,0]
	v_lshlrev_b32_e32 v32, 2, v63
	v_ashrrev_i32_e32 v33, 31, v32
	v_lshl_add_u64 v[94:95], v[32:33], 3, s[8:9]
	v_pk_fma_f32 v[32:33], v[8:9], v[40:41], v[54:55] op_sel_hi:[1,0,1]
	v_pk_fma_f32 v[74:75], v[34:35], v[40:41], v[74:75] op_sel_hi:[1,0,1]
	;; [unrolled: 1-line block ×3, first 2 shown]
	v_pk_fma_f32 v[82:83], v[8:9], v[40:41], v[32:33] op_sel:[1,1,0] op_sel_hi:[0,1,1] neg_lo:[1,0,0]
	global_load_dwordx4 v[8:11], v[94:95], off
	global_load_dwordx4 v[32:35], v[94:95], off offset:16
	v_pk_fma_f32 v[74:75], v[84:85], v[40:41], v[74:75] op_sel:[0,1,0]
	v_pk_fma_f32 v[40:41], v[96:97], v[40:41], v[54:55] op_sel:[0,1,0]
	v_xor_b32_e32 v84, 0x80000000, v7
	v_mov_b32_e32 v85, v6
	v_pk_fma_f32 v[48:49], v[12:13], v[42:43], v[48:49] op_sel_hi:[1,0,1]
	v_pk_fma_f32 v[14:15], v[14:15], v[42:43], v[74:75] op_sel_hi:[1,0,1]
	;; [unrolled: 1-line block ×4, first 2 shown]
	v_mov_b32_e32 v40, v43
	v_pk_fma_f32 v[12:13], v[12:13], v[40:41], v[48:49] op_sel:[1,0,0] op_sel_hi:[0,0,1] neg_lo:[1,0,0]
	v_pk_fma_f32 v[4:5], v[4:5], v[40:41], v[74:75] op_sel:[1,0,0] op_sel_hi:[0,0,1] neg_lo:[1,0,0]
	v_pk_fma_f32 v[14:15], v[98:99], v[40:41], v[14:15] op_sel_hi:[1,0,1]
	v_pk_fma_f32 v[6:7], v[84:85], v[40:41], v[6:7] op_sel_hi:[1,0,1]
	v_xor_b32_e32 v54, 0x80000000, v53
	v_mov_b32_e32 v55, v52
	v_xor_b32_e32 v48, 0x80000000, v19
	v_mov_b32_e32 v49, v18
	s_waitcnt vmcnt(2)
	v_pk_fma_f32 v[12:13], v[50:51], v[78:79], v[12:13] op_sel_hi:[1,0,1]
	v_pk_fma_f32 v[14:15], v[52:53], v[78:79], v[14:15] op_sel_hi:[1,0,1]
	;; [unrolled: 1-line block ×4, first 2 shown]
	v_pk_fma_f32 v[12:13], v[50:51], v[78:79], v[12:13] op_sel:[1,1,0] op_sel_hi:[0,1,1] neg_lo:[1,0,0]
	v_pk_fma_f32 v[4:5], v[16:17], v[78:79], v[4:5] op_sel:[1,1,0] op_sel_hi:[0,1,1] neg_lo:[1,0,0]
	v_pk_fma_f32 v[14:15], v[54:55], v[78:79], v[14:15] op_sel:[0,1,0]
	v_pk_fma_f32 v[6:7], v[48:49], v[78:79], v[6:7] op_sel:[0,1,0]
	v_xor_b32_e32 v42, 0x80000000, v23
	v_mov_b32_e32 v43, v22
	v_xor_b32_e32 v82, 0x80000000, v39
	v_mov_b32_e32 v83, v38
	v_mov_b32_e32 v18, v81
	v_pk_fma_f32 v[12:13], v[20:21], v[80:81], v[12:13] op_sel_hi:[1,0,1]
	v_pk_fma_f32 v[14:15], v[22:23], v[80:81], v[14:15] op_sel_hi:[1,0,1]
	;; [unrolled: 1-line block ×4, first 2 shown]
	v_pk_fma_f32 v[12:13], v[20:21], v[18:19], v[12:13] op_sel:[1,0,0] op_sel_hi:[0,0,1] neg_lo:[1,0,0]
	v_pk_fma_f32 v[4:5], v[36:37], v[18:19], v[4:5] op_sel:[1,0,0] op_sel_hi:[0,0,1] neg_lo:[1,0,0]
	v_pk_fma_f32 v[14:15], v[42:43], v[18:19], v[14:15] op_sel_hi:[1,0,1]
	v_pk_fma_f32 v[6:7], v[82:83], v[18:19], v[6:7] op_sel_hi:[1,0,1]
	v_xor_b32_e32 v74, 0x80000000, v73
	v_mov_b32_e32 v75, v72
	v_xor_b32_e32 v84, 0x80000000, v27
	v_mov_b32_e32 v85, v26
	;; [unrolled: 2-line block ×8, first 2 shown]
	s_waitcnt vmcnt(1)
	v_pk_fma_f32 v[12:13], v[70:71], v[8:9], v[12:13] op_sel_hi:[1,0,1]
	v_pk_fma_f32 v[14:15], v[72:73], v[8:9], v[14:15] op_sel_hi:[1,0,1]
	;; [unrolled: 1-line block ×4, first 2 shown]
	v_pk_fma_f32 v[12:13], v[70:71], v[8:9], v[12:13] op_sel:[1,1,0] op_sel_hi:[0,1,1] neg_lo:[1,0,0]
	v_pk_fma_f32 v[14:15], v[74:75], v[8:9], v[14:15] op_sel:[0,1,0]
	v_pk_fma_f32 v[4:5], v[24:25], v[8:9], v[4:5] op_sel:[1,1,0] op_sel_hi:[0,1,1] neg_lo:[1,0,0]
	v_pk_fma_f32 v[6:7], v[84:85], v[8:9], v[6:7] op_sel:[0,1,0]
	v_mov_b32_e32 v54, v11
	v_pk_fma_f32 v[8:9], v[0:1], v[10:11], v[12:13] op_sel_hi:[1,0,1]
	v_pk_fma_f32 v[2:3], v[2:3], v[10:11], v[14:15] op_sel_hi:[1,0,1]
	;; [unrolled: 1-line block ×4, first 2 shown]
	v_pk_fma_f32 v[0:1], v[0:1], v[54:55], v[8:9] op_sel:[1,0,0] op_sel_hi:[0,0,1] neg_lo:[1,0,0]
	v_pk_fma_f32 v[2:3], v[94:95], v[54:55], v[2:3] op_sel_hi:[1,0,1]
	v_pk_fma_f32 v[4:5], v[90:91], v[54:55], v[4:5] op_sel:[1,0,0] op_sel_hi:[0,0,1] neg_lo:[1,0,0]
	v_pk_fma_f32 v[6:7], v[50:51], v[54:55], v[6:7] op_sel_hi:[1,0,1]
	s_waitcnt vmcnt(0)
	v_pk_fma_f32 v[0:1], v[86:87], v[32:33], v[0:1] op_sel_hi:[1,0,1]
	v_pk_fma_f32 v[2:3], v[88:89], v[32:33], v[2:3] op_sel_hi:[1,0,1]
	;; [unrolled: 1-line block ×4, first 2 shown]
	v_pk_fma_f32 v[0:1], v[86:87], v[32:33], v[0:1] op_sel:[1,1,0] op_sel_hi:[0,1,1] neg_lo:[1,0,0]
	v_pk_fma_f32 v[2:3], v[96:97], v[32:33], v[2:3] op_sel:[0,1,0]
	v_pk_fma_f32 v[4:5], v[28:29], v[32:33], v[4:5] op_sel:[1,1,0] op_sel_hi:[0,1,1] neg_lo:[1,0,0]
	v_pk_fma_f32 v[6:7], v[52:53], v[32:33], v[6:7] op_sel:[0,1,0]
	v_mov_b32_e32 v48, v35
	v_pk_fma_f32 v[0:1], v[66:67], v[34:35], v[0:1] op_sel_hi:[1,0,1]
	v_pk_fma_f32 v[2:3], v[68:69], v[34:35], v[2:3] op_sel_hi:[1,0,1]
	;; [unrolled: 1-line block ×4, first 2 shown]
	v_pk_fma_f32 v[42:43], v[66:67], v[48:49], v[0:1] op_sel:[1,0,0] op_sel_hi:[0,0,1] neg_lo:[1,0,0]
	v_pk_fma_f32 v[40:41], v[40:41], v[48:49], v[2:3] op_sel_hi:[1,0,1]
	v_pk_fma_f32 v[34:35], v[44:45], v[48:49], v[4:5] op_sel:[1,0,0] op_sel_hi:[0,0,1] neg_lo:[1,0,0]
	v_pk_fma_f32 v[32:33], v[16:17], v[48:49], v[6:7] op_sel_hi:[1,0,1]
	s_andn2_b64 exec, exec, s[10:11]
	s_cbranch_execnz .LBB13_29
; %bb.30:
	s_or_b64 exec, exec, s[10:11]
.LBB13_31:
	s_or_b64 exec, exec, s[4:5]
.LBB13_32:
	s_or_b64 exec, exec, s[2:3]
.LBB13_33:
	v_mov_b32_dpp v6, v41 row_shr:1 row_mask:0xf bank_mask:0xf
	v_add_f32_e32 v6, v41, v6
	v_mov_b32_dpp v0, v42 row_shr:1 row_mask:0xf bank_mask:0xf
	v_mov_b32_dpp v2, v43 row_shr:1 row_mask:0xf bank_mask:0xf
	v_mov_b32_dpp v7, v6 row_shr:2 row_mask:0xf bank_mask:0xf
	v_add_f32_e32 v6, v6, v7
	v_mov_b32_dpp v4, v40 row_shr:1 row_mask:0xf bank_mask:0xf
	v_add_f32_e32 v0, v42, v0
	v_mov_b32_dpp v7, v6 row_shr:4 row_mask:0xf bank_mask:0xe
	v_add_f32_e32 v6, v6, v7
	v_add_f32_e32 v2, v43, v2
	v_add_f32_e32 v4, v40, v4
	v_mov_b32_dpp v7, v6 row_shr:8 row_mask:0xf bank_mask:0xc
	v_add_f32_e32 v7, v6, v7
	v_mov_b32_dpp v6, v34 row_shr:1 row_mask:0xf bank_mask:0xf
	v_add_f32_e32 v6, v34, v6
	v_mov_b32_dpp v1, v0 row_shr:2 row_mask:0xf bank_mask:0xf
	v_mov_b32_dpp v3, v2 row_shr:2 row_mask:0xf bank_mask:0xf
	v_mov_b32_dpp v9, v6 row_shr:2 row_mask:0xf bank_mask:0xf
	v_add_f32_e32 v6, v6, v9
	v_mov_b32_dpp v5, v4 row_shr:2 row_mask:0xf bank_mask:0xf
	v_add_f32_e32 v0, v0, v1
	v_mov_b32_dpp v9, v6 row_shr:4 row_mask:0xf bank_mask:0xe
	v_add_f32_e32 v6, v6, v9
	v_add_f32_e32 v2, v2, v3
	v_add_f32_e32 v4, v4, v5
	v_mov_b32_dpp v9, v6 row_shr:8 row_mask:0xf bank_mask:0xc
	v_add_f32_e32 v9, v6, v9
	;; [unrolled: 14-line block ×4, first 2 shown]
	v_mov_b32_dpp v6, v33 row_shr:1 row_mask:0xf bank_mask:0xf
	v_add_f32_e32 v6, v33, v6
	v_mov_b32_dpp v1, v0 row_bcast:15 row_mask:0xa bank_mask:0xf
	v_mov_b32_dpp v3, v2 row_bcast:15 row_mask:0xa bank_mask:0xf
	v_mov_b32_dpp v12, v6 row_shr:2 row_mask:0xf bank_mask:0xf
	v_add_f32_e32 v6, v6, v12
	v_mov_b32_dpp v5, v4 row_bcast:15 row_mask:0xa bank_mask:0xf
	v_mov_b32_dpp v8, v7 row_bcast:15 row_mask:0xa bank_mask:0xf
	;; [unrolled: 4-line block ×3, first 2 shown]
	v_mov_b32_dpp v12, v6 row_shr:8 row_mask:0xf bank_mask:0xc
	v_add_f32_e32 v17, v6, v12
	v_mov_b32_dpp v16, v15 row_bcast:15 row_mask:0xa bank_mask:0xf
	v_cmp_eq_u32_e32 vcc, 31, v61
	v_mov_b32_dpp v18, v17 row_bcast:15 row_mask:0xa bank_mask:0xf
	s_and_b64 exec, exec, vcc
	s_cbranch_execz .LBB13_6
; %bb.34:
	s_load_dwordx2 s[0:1], s[0:1], 0x50
	v_cmp_eq_f32_e32 vcc, 0, v58
	s_xor_b64 s[2:3], s[6:7], -1
	v_add_f32_e32 v6, v0, v1
	v_add_f32_e32 v14, v2, v3
	;; [unrolled: 1-line block ×8, first 2 shown]
	s_and_b64 s[2:3], vcc, s[2:3]
	v_lshlrev_b32_e32 v16, 2, v60
	s_and_saveexec_b64 s[4:5], s[2:3]
	s_xor_b64 s[2:3], exec, s[4:5]
	s_cbranch_execz .LBB13_36
; %bb.35:
	v_xor_b32_e32 v18, 0x80000000, v57
	v_mov_b32_e32 v19, v56
	v_pk_mul_f32 v[14:15], v[14:15], v[18:19] op_sel_hi:[0,1]
	v_ashrrev_i32_e32 v17, 31, v16
	v_pk_fma_f32 v[14:15], v[56:57], v[6:7], v[14:15] op_sel_hi:[1,0,1]
	v_pk_mul_f32 v[6:7], v[12:13], v[18:19] op_sel_hi:[0,1]
	s_waitcnt lgkmcnt(0)
	v_lshl_add_u64 v[20:21], v[16:17], 3, s[0:1]
	v_pk_fma_f32 v[16:17], v[56:57], v[4:5], v[6:7] op_sel_hi:[1,0,1]
	v_pk_mul_f32 v[4:5], v[10:11], v[18:19] op_sel_hi:[0,1]
	v_pk_fma_f32 v[2:3], v[56:57], v[2:3], v[4:5] op_sel_hi:[1,0,1]
	v_pk_mul_f32 v[4:5], v[8:9], v[18:19] op_sel_hi:[0,1]
	v_pk_fma_f32 v[4:5], v[56:57], v[0:1], v[4:5] op_sel_hi:[1,0,1]
	global_store_dwordx4 v[20:21], v[14:17], off
	global_store_dwordx4 v[20:21], v[2:5], off offset:16
                                        ; implicit-def: $vgpr6
                                        ; implicit-def: $vgpr14
                                        ; implicit-def: $vgpr4
                                        ; implicit-def: $vgpr12
                                        ; implicit-def: $vgpr2
                                        ; implicit-def: $vgpr10
                                        ; implicit-def: $vgpr0
                                        ; implicit-def: $vgpr8
                                        ; implicit-def: $vgpr56_vgpr57
                                        ; implicit-def: $vgpr58_vgpr59
                                        ; implicit-def: $vgpr16
.LBB13_36:
	s_andn2_saveexec_b64 s[2:3], s[2:3]
	s_cbranch_execz .LBB13_6
; %bb.37:
	v_ashrrev_i32_e32 v17, 31, v16
	s_waitcnt lgkmcnt(0)
	v_lshl_add_u64 v[24:25], v[16:17], 3, s[0:1]
	global_load_dwordx4 v[16:19], v[24:25], off
	global_load_dwordx4 v[20:23], v[24:25], off offset:16
	v_xor_b32_e32 v26, 0x80000000, v57
	v_mov_b32_e32 v27, v56
	v_pk_mul_f32 v[14:15], v[14:15], v[26:27] op_sel_hi:[0,1]
	v_pk_mul_f32 v[12:13], v[12:13], v[26:27] op_sel_hi:[0,1]
	;; [unrolled: 1-line block ×4, first 2 shown]
	v_pk_fma_f32 v[6:7], v[56:57], v[6:7], v[14:15] op_sel_hi:[1,0,1]
	v_pk_fma_f32 v[4:5], v[56:57], v[4:5], v[12:13] op_sel_hi:[1,0,1]
	v_xor_b32_e32 v28, 0x80000000, v59
	v_mov_b32_e32 v29, v58
	v_pk_fma_f32 v[2:3], v[56:57], v[2:3], v[10:11] op_sel_hi:[1,0,1]
	v_pk_fma_f32 v[0:1], v[56:57], v[0:1], v[8:9] op_sel_hi:[1,0,1]
	s_waitcnt vmcnt(1)
	v_pk_fma_f32 v[6:7], v[58:59], v[16:17], v[6:7] op_sel_hi:[1,0,1]
	v_pk_fma_f32 v[4:5], v[58:59], v[18:19], v[4:5] op_sel_hi:[1,0,1]
	v_mov_b32_e32 v8, v19
	s_waitcnt vmcnt(0)
	v_pk_fma_f32 v[10:11], v[58:59], v[20:21], v[2:3] op_sel_hi:[1,0,1]
	v_pk_fma_f32 v[12:13], v[58:59], v[22:23], v[0:1] op_sel_hi:[1,0,1]
	v_mov_b32_e32 v14, v23
	v_pk_fma_f32 v[0:1], v[28:29], v[16:17], v[6:7] op_sel:[0,1,0]
	v_pk_fma_f32 v[2:3], v[28:29], v[8:9], v[4:5] op_sel_hi:[1,0,1]
	v_pk_fma_f32 v[4:5], v[28:29], v[20:21], v[10:11] op_sel:[0,1,0]
	v_pk_fma_f32 v[6:7], v[28:29], v[14:15], v[12:13] op_sel_hi:[1,0,1]
	global_store_dwordx4 v[24:25], v[0:3], off
	global_store_dwordx4 v[24:25], v[4:7], off offset:16
	s_endpgm
	.section	.rodata,"a",@progbits
	.p2align	6, 0x0
	.amdhsa_kernel _ZN9rocsparseL18bsrxmvn_4x4_kernelILj128ELj32E21rocsparse_complex_numIfEiiS2_S2_S2_EEvT3_20rocsparse_direction_NS_24const_host_device_scalarIT1_EES3_PKS3_PKT2_SC_S9_PKT4_PKT5_S7_PT6_21rocsparse_index_base_b
		.amdhsa_group_segment_fixed_size 0
		.amdhsa_private_segment_fixed_size 0
		.amdhsa_kernarg_size 96
		.amdhsa_user_sgpr_count 2
		.amdhsa_user_sgpr_dispatch_ptr 0
		.amdhsa_user_sgpr_queue_ptr 0
		.amdhsa_user_sgpr_kernarg_segment_ptr 1
		.amdhsa_user_sgpr_dispatch_id 0
		.amdhsa_user_sgpr_kernarg_preload_length 0
		.amdhsa_user_sgpr_kernarg_preload_offset 0
		.amdhsa_user_sgpr_private_segment_size 0
		.amdhsa_uses_dynamic_stack 0
		.amdhsa_enable_private_segment 0
		.amdhsa_system_sgpr_workgroup_id_x 1
		.amdhsa_system_sgpr_workgroup_id_y 0
		.amdhsa_system_sgpr_workgroup_id_z 0
		.amdhsa_system_sgpr_workgroup_info 0
		.amdhsa_system_vgpr_workitem_id 0
		.amdhsa_next_free_vgpr 104
		.amdhsa_next_free_sgpr 29
		.amdhsa_accum_offset 104
		.amdhsa_reserve_vcc 1
		.amdhsa_float_round_mode_32 0
		.amdhsa_float_round_mode_16_64 0
		.amdhsa_float_denorm_mode_32 3
		.amdhsa_float_denorm_mode_16_64 3
		.amdhsa_dx10_clamp 1
		.amdhsa_ieee_mode 1
		.amdhsa_fp16_overflow 0
		.amdhsa_tg_split 0
		.amdhsa_exception_fp_ieee_invalid_op 0
		.amdhsa_exception_fp_denorm_src 0
		.amdhsa_exception_fp_ieee_div_zero 0
		.amdhsa_exception_fp_ieee_overflow 0
		.amdhsa_exception_fp_ieee_underflow 0
		.amdhsa_exception_fp_ieee_inexact 0
		.amdhsa_exception_int_div_zero 0
	.end_amdhsa_kernel
	.section	.text._ZN9rocsparseL18bsrxmvn_4x4_kernelILj128ELj32E21rocsparse_complex_numIfEiiS2_S2_S2_EEvT3_20rocsparse_direction_NS_24const_host_device_scalarIT1_EES3_PKS3_PKT2_SC_S9_PKT4_PKT5_S7_PT6_21rocsparse_index_base_b,"axG",@progbits,_ZN9rocsparseL18bsrxmvn_4x4_kernelILj128ELj32E21rocsparse_complex_numIfEiiS2_S2_S2_EEvT3_20rocsparse_direction_NS_24const_host_device_scalarIT1_EES3_PKS3_PKT2_SC_S9_PKT4_PKT5_S7_PT6_21rocsparse_index_base_b,comdat
.Lfunc_end13:
	.size	_ZN9rocsparseL18bsrxmvn_4x4_kernelILj128ELj32E21rocsparse_complex_numIfEiiS2_S2_S2_EEvT3_20rocsparse_direction_NS_24const_host_device_scalarIT1_EES3_PKS3_PKT2_SC_S9_PKT4_PKT5_S7_PT6_21rocsparse_index_base_b, .Lfunc_end13-_ZN9rocsparseL18bsrxmvn_4x4_kernelILj128ELj32E21rocsparse_complex_numIfEiiS2_S2_S2_EEvT3_20rocsparse_direction_NS_24const_host_device_scalarIT1_EES3_PKS3_PKT2_SC_S9_PKT4_PKT5_S7_PT6_21rocsparse_index_base_b
                                        ; -- End function
	.set _ZN9rocsparseL18bsrxmvn_4x4_kernelILj128ELj32E21rocsparse_complex_numIfEiiS2_S2_S2_EEvT3_20rocsparse_direction_NS_24const_host_device_scalarIT1_EES3_PKS3_PKT2_SC_S9_PKT4_PKT5_S7_PT6_21rocsparse_index_base_b.num_vgpr, 104
	.set _ZN9rocsparseL18bsrxmvn_4x4_kernelILj128ELj32E21rocsparse_complex_numIfEiiS2_S2_S2_EEvT3_20rocsparse_direction_NS_24const_host_device_scalarIT1_EES3_PKS3_PKT2_SC_S9_PKT4_PKT5_S7_PT6_21rocsparse_index_base_b.num_agpr, 0
	.set _ZN9rocsparseL18bsrxmvn_4x4_kernelILj128ELj32E21rocsparse_complex_numIfEiiS2_S2_S2_EEvT3_20rocsparse_direction_NS_24const_host_device_scalarIT1_EES3_PKS3_PKT2_SC_S9_PKT4_PKT5_S7_PT6_21rocsparse_index_base_b.numbered_sgpr, 29
	.set _ZN9rocsparseL18bsrxmvn_4x4_kernelILj128ELj32E21rocsparse_complex_numIfEiiS2_S2_S2_EEvT3_20rocsparse_direction_NS_24const_host_device_scalarIT1_EES3_PKS3_PKT2_SC_S9_PKT4_PKT5_S7_PT6_21rocsparse_index_base_b.num_named_barrier, 0
	.set _ZN9rocsparseL18bsrxmvn_4x4_kernelILj128ELj32E21rocsparse_complex_numIfEiiS2_S2_S2_EEvT3_20rocsparse_direction_NS_24const_host_device_scalarIT1_EES3_PKS3_PKT2_SC_S9_PKT4_PKT5_S7_PT6_21rocsparse_index_base_b.private_seg_size, 0
	.set _ZN9rocsparseL18bsrxmvn_4x4_kernelILj128ELj32E21rocsparse_complex_numIfEiiS2_S2_S2_EEvT3_20rocsparse_direction_NS_24const_host_device_scalarIT1_EES3_PKS3_PKT2_SC_S9_PKT4_PKT5_S7_PT6_21rocsparse_index_base_b.uses_vcc, 1
	.set _ZN9rocsparseL18bsrxmvn_4x4_kernelILj128ELj32E21rocsparse_complex_numIfEiiS2_S2_S2_EEvT3_20rocsparse_direction_NS_24const_host_device_scalarIT1_EES3_PKS3_PKT2_SC_S9_PKT4_PKT5_S7_PT6_21rocsparse_index_base_b.uses_flat_scratch, 0
	.set _ZN9rocsparseL18bsrxmvn_4x4_kernelILj128ELj32E21rocsparse_complex_numIfEiiS2_S2_S2_EEvT3_20rocsparse_direction_NS_24const_host_device_scalarIT1_EES3_PKS3_PKT2_SC_S9_PKT4_PKT5_S7_PT6_21rocsparse_index_base_b.has_dyn_sized_stack, 0
	.set _ZN9rocsparseL18bsrxmvn_4x4_kernelILj128ELj32E21rocsparse_complex_numIfEiiS2_S2_S2_EEvT3_20rocsparse_direction_NS_24const_host_device_scalarIT1_EES3_PKS3_PKT2_SC_S9_PKT4_PKT5_S7_PT6_21rocsparse_index_base_b.has_recursion, 0
	.set _ZN9rocsparseL18bsrxmvn_4x4_kernelILj128ELj32E21rocsparse_complex_numIfEiiS2_S2_S2_EEvT3_20rocsparse_direction_NS_24const_host_device_scalarIT1_EES3_PKS3_PKT2_SC_S9_PKT4_PKT5_S7_PT6_21rocsparse_index_base_b.has_indirect_call, 0
	.section	.AMDGPU.csdata,"",@progbits
; Kernel info:
; codeLenInByte = 7020
; TotalNumSgprs: 35
; NumVgprs: 104
; NumAgprs: 0
; TotalNumVgprs: 104
; ScratchSize: 0
; MemoryBound: 0
; FloatMode: 240
; IeeeMode: 1
; LDSByteSize: 0 bytes/workgroup (compile time only)
; SGPRBlocks: 4
; VGPRBlocks: 12
; NumSGPRsForWavesPerEU: 35
; NumVGPRsForWavesPerEU: 104
; AccumOffset: 104
; Occupancy: 4
; WaveLimiterHint : 1
; COMPUTE_PGM_RSRC2:SCRATCH_EN: 0
; COMPUTE_PGM_RSRC2:USER_SGPR: 2
; COMPUTE_PGM_RSRC2:TRAP_HANDLER: 0
; COMPUTE_PGM_RSRC2:TGID_X_EN: 1
; COMPUTE_PGM_RSRC2:TGID_Y_EN: 0
; COMPUTE_PGM_RSRC2:TGID_Z_EN: 0
; COMPUTE_PGM_RSRC2:TIDIG_COMP_CNT: 0
; COMPUTE_PGM_RSRC3_GFX90A:ACCUM_OFFSET: 25
; COMPUTE_PGM_RSRC3_GFX90A:TG_SPLIT: 0
	.section	.text._ZN9rocsparseL18bsrxmvn_4x4_kernelILj128ELj64E21rocsparse_complex_numIfEiiS2_S2_S2_EEvT3_20rocsparse_direction_NS_24const_host_device_scalarIT1_EES3_PKS3_PKT2_SC_S9_PKT4_PKT5_S7_PT6_21rocsparse_index_base_b,"axG",@progbits,_ZN9rocsparseL18bsrxmvn_4x4_kernelILj128ELj64E21rocsparse_complex_numIfEiiS2_S2_S2_EEvT3_20rocsparse_direction_NS_24const_host_device_scalarIT1_EES3_PKS3_PKT2_SC_S9_PKT4_PKT5_S7_PT6_21rocsparse_index_base_b,comdat
	.globl	_ZN9rocsparseL18bsrxmvn_4x4_kernelILj128ELj64E21rocsparse_complex_numIfEiiS2_S2_S2_EEvT3_20rocsparse_direction_NS_24const_host_device_scalarIT1_EES3_PKS3_PKT2_SC_S9_PKT4_PKT5_S7_PT6_21rocsparse_index_base_b ; -- Begin function _ZN9rocsparseL18bsrxmvn_4x4_kernelILj128ELj64E21rocsparse_complex_numIfEiiS2_S2_S2_EEvT3_20rocsparse_direction_NS_24const_host_device_scalarIT1_EES3_PKS3_PKT2_SC_S9_PKT4_PKT5_S7_PT6_21rocsparse_index_base_b
	.p2align	8
	.type	_ZN9rocsparseL18bsrxmvn_4x4_kernelILj128ELj64E21rocsparse_complex_numIfEiiS2_S2_S2_EEvT3_20rocsparse_direction_NS_24const_host_device_scalarIT1_EES3_PKS3_PKT2_SC_S9_PKT4_PKT5_S7_PT6_21rocsparse_index_base_b,@function
_ZN9rocsparseL18bsrxmvn_4x4_kernelILj128ELj64E21rocsparse_complex_numIfEiiS2_S2_S2_EEvT3_20rocsparse_direction_NS_24const_host_device_scalarIT1_EES3_PKS3_PKT2_SC_S9_PKT4_PKT5_S7_PT6_21rocsparse_index_base_b: ; @_ZN9rocsparseL18bsrxmvn_4x4_kernelILj128ELj64E21rocsparse_complex_numIfEiiS2_S2_S2_EEvT3_20rocsparse_direction_NS_24const_host_device_scalarIT1_EES3_PKS3_PKT2_SC_S9_PKT4_PKT5_S7_PT6_21rocsparse_index_base_b
; %bb.0:
	s_load_dwordx2 s[4:5], s[0:1], 0x8
	s_load_dwordx2 s[10:11], s[0:1], 0x58
	s_add_u32 s3, s0, 8
	s_addc_u32 s8, s1, 0
	s_load_dwordx2 s[6:7], s[0:1], 0x48
	s_add_u32 s9, s0, 0x48
	s_addc_u32 s12, s1, 0
	s_waitcnt lgkmcnt(0)
	s_bitcmp1_b32 s11, 0
	s_cselect_b32 s3, s3, s4
	s_cselect_b32 s5, s8, s5
	v_mov_b32_e32 v2, s3
	s_cselect_b32 s3, s12, s7
	s_cselect_b32 s4, s9, s6
	v_mov_b32_e32 v3, s5
	v_mov_b32_e32 v4, s4
	v_mov_b32_e32 v5, s3
	flat_load_dwordx2 v[56:57], v[2:3]
	flat_load_dwordx2 v[58:59], v[4:5]
	s_waitcnt vmcnt(0) lgkmcnt(0)
	v_cmp_neq_f32_e32 vcc, 0, v56
	v_cmp_neq_f32_e64 s[4:5], 0, v57
	v_cmp_neq_f32_e64 s[6:7], 1.0, v58
	v_cmp_neq_f32_e64 s[8:9], 0, v59
	s_or_b64 s[4:5], vcc, s[4:5]
	s_or_b64 s[6:7], s[6:7], s[8:9]
	s_or_b64 s[4:5], s[4:5], s[6:7]
	s_and_saveexec_b64 s[6:7], s[4:5]
	s_cbranch_execz .LBB14_6
; %bb.1:
	s_load_dwordx2 s[6:7], s[0:1], 0x18
	s_load_dwordx2 s[4:5], s[0:1], 0x0
	v_lshrrev_b32_e32 v1, 6, v0
	v_lshl_or_b32 v60, s2, 1, v1
	s_mov_b64 s[2:3], 0
	s_waitcnt lgkmcnt(0)
	s_cmp_lg_u64 s[6:7], 0
	s_cbranch_scc0 .LBB14_7
; %bb.2:
	s_load_dword s11, s[0:1], 0x10
                                        ; implicit-def: $vgpr1
	s_waitcnt lgkmcnt(0)
	v_cmp_gt_i32_e32 vcc, s11, v60
	s_and_saveexec_b64 s[12:13], vcc
	s_xor_b64 s[12:13], exec, s[12:13]
	s_cbranch_execz .LBB14_4
; %bb.3:
	v_ashrrev_i32_e32 v61, 31, v60
	v_lshl_add_u64 v[2:3], v[60:61], 2, s[6:7]
	global_load_dword v1, v[2:3], off
	s_mov_b64 s[2:3], exec
	s_waitcnt vmcnt(0)
	v_subrev_u32_e32 v1, s10, v1
.LBB14_4:
	s_or_b64 exec, exec, s[12:13]
	s_branch .LBB14_8
.LBB14_5:
	v_cmp_gt_i32_e32 vcc, s4, v60
	s_andn2_b64 s[2:3], s[2:3], exec
	s_and_b64 s[6:7], vcc, exec
	s_or_b64 s[2:3], s[2:3], s[6:7]
	s_and_b64 exec, exec, s[2:3]
	s_cbranch_execnz .LBB14_9
.LBB14_6:
	s_endpgm
.LBB14_7:
                                        ; implicit-def: $vgpr1
	s_cbranch_execnz .LBB14_5
.LBB14_8:
	v_mov_b32_e32 v60, v1
	s_and_b64 exec, exec, s[2:3]
	s_cbranch_execz .LBB14_6
.LBB14_9:
	s_load_dwordx8 s[12:19], s[0:1], 0x20
	v_ashrrev_i32_e32 v61, 31, v60
	v_lshlrev_b64 v[2:3], 2, v[60:61]
	v_and_b32_e32 v61, 63, v0
	s_waitcnt lgkmcnt(0)
	v_lshl_add_u64 v[4:5], s[12:13], 0, v[2:3]
	s_cmp_eq_u64 s[14:15], 0
	global_load_dword v79, v[4:5], off
	v_lshl_add_u64 v[4:5], v[4:5], 0, 4
	v_lshl_add_u64 v[2:3], s[14:15], 0, v[2:3]
	s_cselect_b64 vcc, -1, 0
	v_cndmask_b32_e32 v3, v3, v5, vcc
	v_cndmask_b32_e32 v2, v2, v4, vcc
	global_load_dword v1, v[2:3], off
	s_load_dwordx2 s[12:13], s[0:1], 0x40
	s_cmp_eq_u32 s5, 1
	s_waitcnt vmcnt(1)
	v_subrev_u32_e32 v0, s10, v79
	v_add_u32_e32 v62, v0, v61
	v_ashrrev_i32_e32 v63, 31, v62
	s_waitcnt vmcnt(0)
	v_subrev_u32_e32 v78, s10, v1
	v_lshlrev_b64 v[0:1], 7, v[62:63]
	v_lshl_add_u64 v[64:65], s[18:19], 0, v[0:1]
	v_cmp_lt_i32_e64 s[4:5], v62, v78
	s_cbranch_scc1 .LBB14_21
; %bb.10:
	v_mov_b32_e32 v43, 0
	v_mov_b32_e32 v42, 0
	;; [unrolled: 1-line block ×8, first 2 shown]
	s_and_saveexec_b64 s[14:15], s[4:5]
	s_cbranch_execz .LBB14_20
; %bb.11:
	v_add_u32_e32 v0, v79, v61
	v_subrev_u32_e32 v0, s10, v0
	v_add_u32_e32 v0, 64, v0
	v_max_i32_e32 v0, v0, v78
	v_not_b32_e32 v1, v79
	v_add3_u32 v0, s10, v0, v1
	v_sub_u32_e32 v0, v0, v61
	v_mov_b32_e32 v34, 0
	s_movk_i32 s2, 0xc0
	v_and_b32_e32 v1, 0xc0, v0
	v_mov_b32_e32 v35, v34
	v_cmp_ne_u32_e32 vcc, s2, v1
	v_mov_b64_e32 v[42:43], v[34:35]
	v_mov_b64_e32 v[32:33], v[34:35]
	;; [unrolled: 1-line block ×4, first 2 shown]
	v_mov_b32_e32 v66, v62
	s_and_saveexec_b64 s[2:3], vcc
	s_cbranch_execz .LBB14_15
; %bb.12:
	v_lshrrev_b32_e32 v1, 6, v0
	v_add_u32_e32 v1, 1, v1
	v_and_b32_e32 v1, 3, v1
	v_sub_u32_e32 v1, 0, v1
	s_mov_b64 s[6:7], 0
	s_mov_b64 s[18:19], 0x2000
	v_mov_b32_e32 v66, v62
	v_mov_b64_e32 v[68:69], v[64:65]
	v_mov_b32_e32 v35, v34
	v_mov_b32_e32 v40, v34
	;; [unrolled: 1-line block ×7, first 2 shown]
.LBB14_13:                              ; =>This Inner Loop Header: Depth=1
	v_ashrrev_i32_e32 v67, 31, v66
	v_lshl_add_u64 v[30:31], v[66:67], 2, s[16:17]
	global_load_dword v44, v[30:31], off
	global_load_dwordx4 v[2:5], v[68:69], off
	global_load_dwordx4 v[6:9], v[68:69], off offset:16
	global_load_dwordx4 v[10:13], v[68:69], off offset:32
	;; [unrolled: 1-line block ×7, first 2 shown]
	v_add_co_u32_e32 v1, vcc, 1, v1
	v_lshl_add_u64 v[68:69], v[68:69], 0, s[18:19]
	v_add_u32_e32 v66, 64, v66
	s_or_b64 s[6:7], vcc, s[6:7]
	s_waitcnt vmcnt(8)
	v_subrev_u32_e32 v30, s10, v44
	v_lshlrev_b32_e32 v30, 2, v30
	v_ashrrev_i32_e32 v31, 31, v30
	s_waitcnt lgkmcnt(0)
	v_lshl_add_u64 v[30:31], v[30:31], 3, s[12:13]
	global_load_dwordx4 v[44:47], v[30:31], off
	global_load_dwordx4 v[48:51], v[30:31], off offset:16
	s_waitcnt vmcnt(9)
	v_xor_b32_e32 v30, 0x80000000, v5
	v_mov_b32_e32 v31, v4
	s_waitcnt vmcnt(7)
	v_xor_b32_e32 v54, 0x80000000, v13
	v_mov_b32_e32 v55, v12
	;; [unrolled: 3-line block ×4, first 2 shown]
	v_xor_b32_e32 v52, 0x80000000, v9
	v_mov_b32_e32 v53, v8
	v_xor_b32_e32 v70, 0x80000000, v17
	v_mov_b32_e32 v71, v16
	;; [unrolled: 2-line block ×4, first 2 shown]
	s_waitcnt vmcnt(1)
	v_pk_fma_f32 v[42:43], v[2:3], v[44:45], v[42:43] op_sel_hi:[1,0,1]
	v_pk_fma_f32 v[34:35], v[10:11], v[44:45], v[34:35] op_sel_hi:[1,0,1]
	;; [unrolled: 1-line block ×4, first 2 shown]
	v_pk_fma_f32 v[2:3], v[2:3], v[44:45], v[42:43] op_sel:[1,1,0] op_sel_hi:[0,1,1] neg_lo:[1,0,0]
	v_pk_fma_f32 v[10:11], v[10:11], v[44:45], v[34:35] op_sel:[1,1,0] op_sel_hi:[0,1,1] neg_lo:[1,0,0]
	;; [unrolled: 1-line block ×4, first 2 shown]
	v_mov_b32_e32 v82, v47
	v_pk_fma_f32 v[2:3], v[4:5], v[46:47], v[2:3] op_sel_hi:[1,0,1]
	v_pk_fma_f32 v[4:5], v[12:13], v[46:47], v[10:11] op_sel_hi:[1,0,1]
	;; [unrolled: 1-line block ×8, first 2 shown]
	s_waitcnt vmcnt(0)
	v_pk_fma_f32 v[2:3], v[6:7], v[48:49], v[2:3] op_sel_hi:[1,0,1]
	v_pk_fma_f32 v[4:5], v[14:15], v[48:49], v[4:5] op_sel_hi:[1,0,1]
	;; [unrolled: 1-line block ×4, first 2 shown]
	v_pk_fma_f32 v[2:3], v[6:7], v[48:49], v[2:3] op_sel:[1,1,0] op_sel_hi:[0,1,1] neg_lo:[1,0,0]
	v_pk_fma_f32 v[4:5], v[14:15], v[48:49], v[4:5] op_sel:[1,1,0] op_sel_hi:[0,1,1] neg_lo:[1,0,0]
	v_pk_fma_f32 v[6:7], v[22:23], v[48:49], v[10:11] op_sel:[1,1,0] op_sel_hi:[0,1,1] neg_lo:[1,0,0]
	v_pk_fma_f32 v[10:11], v[26:27], v[48:49], v[12:13] op_sel:[1,1,0] op_sel_hi:[0,1,1] neg_lo:[1,0,0]
	v_mov_b32_e32 v84, v51
	v_pk_fma_f32 v[2:3], v[8:9], v[50:51], v[2:3] op_sel_hi:[1,0,1]
	v_pk_fma_f32 v[4:5], v[16:17], v[50:51], v[4:5] op_sel_hi:[1,0,1]
	v_pk_fma_f32 v[6:7], v[24:25], v[50:51], v[6:7] op_sel_hi:[1,0,1]
	v_pk_fma_f32 v[8:9], v[28:29], v[50:51], v[10:11] op_sel_hi:[1,0,1]
	v_pk_fma_f32 v[42:43], v[52:53], v[84:85], v[2:3] op_sel_hi:[1,0,1]
	v_pk_fma_f32 v[34:35], v[70:71], v[84:85], v[4:5] op_sel_hi:[1,0,1]
	v_pk_fma_f32 v[40:41], v[74:75], v[84:85], v[6:7] op_sel_hi:[1,0,1]
	v_pk_fma_f32 v[32:33], v[80:81], v[84:85], v[8:9] op_sel_hi:[1,0,1]
	s_andn2_b64 exec, exec, s[6:7]
	s_cbranch_execnz .LBB14_13
; %bb.14:
	s_or_b64 exec, exec, s[6:7]
.LBB14_15:
	s_or_b64 exec, exec, s[2:3]
	s_movk_i32 s2, 0xbf
	v_cmp_lt_u32_e32 vcc, s2, v0
	s_and_saveexec_b64 s[18:19], vcc
	s_cbranch_execz .LBB14_19
; %bb.16:
	s_mov_b64 s[20:21], 0
	s_mov_b64 s[22:23], 0x2000
	s_movk_i32 s11, 0x2000
	s_mov_b64 s[24:25], 0x4000
	s_movk_i32 s30, 0x4000
	;; [unrolled: 2-line block ×3, first 2 shown]
	s_mov_b64 s[28:29], 0x8000
.LBB14_17:                              ; =>This Inner Loop Header: Depth=1
	v_ashrrev_i32_e32 v67, 31, v66
	v_lshl_add_u64 v[44:45], v[68:69], 0, s[22:23]
	global_load_dwordx4 v[0:3], v[68:69], off offset:48
	global_load_dwordx4 v[12:15], v[68:69], off offset:32
	;; [unrolled: 1-line block ×3, first 2 shown]
	global_load_dwordx4 v[24:27], v[68:69], off
	global_load_dwordx4 v[8:11], v[68:69], off offset:112
	global_load_dwordx4 v[20:23], v[68:69], off offset:96
	;; [unrolled: 1-line block ×4, first 2 shown]
	v_lshl_add_u64 v[76:77], v[66:67], 2, s[16:17]
	global_load_dwordx4 v[80:83], v[44:45], off offset:48
	global_load_dwordx4 v[84:87], v[44:45], off offset:32
	;; [unrolled: 1-line block ×4, first 2 shown]
	global_load_dword v46, v[76:77], off
	v_add_co_u32_e32 v70, vcc, s11, v68
	v_lshl_add_u64 v[74:75], v[68:69], 0, s[24:25]
	s_nop 0
	v_addc_co_u32_e32 v71, vcc, 0, v69, vcc
	v_lshl_add_u64 v[72:73], v[68:69], 0, s[26:27]
	v_add_co_u32_e64 v52, s[6:7], s30, v68
	v_add_co_u32_e64 v54, s[2:3], s31, v68
	s_nop 0
	v_addc_co_u32_e64 v53, vcc, 0, v69, s[6:7]
	v_addc_co_u32_e64 v55, vcc, 0, v69, s[2:3]
	v_add_u32_e32 v66, 0x100, v66
	v_cmp_ge_i32_e32 vcc, v66, v78
	v_lshl_add_u64 v[68:69], v[68:69], 0, s[28:29]
	s_or_b64 s[20:21], vcc, s[20:21]
	s_waitcnt vmcnt(12)
	v_xor_b32_e32 v100, 0x80000000, v3
	s_waitcnt vmcnt(11)
	v_xor_b32_e32 v96, 0x80000000, v15
	v_mov_b32_e32 v97, v14
	s_waitcnt vmcnt(9)
	v_xor_b32_e32 v50, 0x80000000, v27
	v_mov_b32_e32 v51, v26
	v_mov_b32_e32 v101, v2
	s_waitcnt vmcnt(6)
	v_xor_b32_e32 v102, 0x80000000, v19
	s_waitcnt vmcnt(5)
	v_xor_b32_e32 v98, 0x80000000, v31
	v_mov_b32_e32 v99, v30
	s_waitcnt vmcnt(0)
	v_subrev_u32_e32 v46, s10, v46
	v_lshlrev_b32_e32 v46, 2, v46
	v_ashrrev_i32_e32 v47, 31, v46
	s_waitcnt lgkmcnt(0)
	v_lshl_add_u64 v[92:93], v[46:47], 3, s[12:13]
	global_load_dwordx4 v[46:49], v[92:93], off
	v_mov_b32_e32 v103, v18
	s_waitcnt vmcnt(0)
	v_pk_fma_f32 v[34:35], v[12:13], v[46:47], v[34:35] op_sel_hi:[1,0,1]
	s_nop 0
	v_pk_fma_f32 v[12:13], v[12:13], v[46:47], v[34:35] op_sel:[1,1,0] op_sel_hi:[0,1,1] neg_lo:[1,0,0]
	v_pk_fma_f32 v[34:35], v[14:15], v[48:49], v[12:13] op_sel_hi:[1,0,1]
	v_pk_fma_f32 v[12:13], v[28:29], v[46:47], v[40:41] op_sel_hi:[1,0,1]
	;; [unrolled: 1-line block ×3, first 2 shown]
	v_pk_fma_f32 v[12:13], v[28:29], v[46:47], v[12:13] op_sel:[1,1,0] op_sel_hi:[0,1,1] neg_lo:[1,0,0]
	v_pk_fma_f32 v[28:29], v[30:31], v[48:49], v[12:13] op_sel_hi:[1,0,1]
	v_pk_fma_f32 v[12:13], v[20:21], v[46:47], v[32:33] op_sel_hi:[1,0,1]
	v_pk_fma_f32 v[24:25], v[24:25], v[46:47], v[42:43] op_sel:[1,1,0] op_sel_hi:[0,1,1] neg_lo:[1,0,0]
	v_pk_fma_f32 v[12:13], v[20:21], v[46:47], v[12:13] op_sel:[1,1,0] op_sel_hi:[0,1,1] neg_lo:[1,0,0]
	v_pk_fma_f32 v[94:95], v[26:27], v[48:49], v[24:25] op_sel_hi:[1,0,1]
	v_xor_b32_e32 v30, 0x80000000, v23
	v_mov_b32_e32 v31, v22
	v_pk_fma_f32 v[32:33], v[22:23], v[48:49], v[12:13] op_sel_hi:[1,0,1]
	v_mov_b32_e32 v48, v49
	v_pk_fma_f32 v[50:51], v[50:51], v[48:49], v[94:95] op_sel_hi:[1,0,1]
	v_pk_fma_f32 v[94:95], v[96:97], v[48:49], v[34:35] op_sel_hi:[1,0,1]
	;; [unrolled: 1-line block ×4, first 2 shown]
	global_load_dwordx4 v[32:35], v[92:93], off offset:16
	v_xor_b32_e32 v98, 0x80000000, v7
	v_mov_b32_e32 v99, v6
	global_load_dwordx4 v[24:27], v[44:45], off offset:96
	global_load_dwordx4 v[40:43], v[44:45], off offset:80
	;; [unrolled: 1-line block ×4, first 2 shown]
	s_waitcnt vmcnt(4)
	v_pk_fma_f32 v[28:29], v[4:5], v[32:33], v[50:51] op_sel_hi:[1,0,1]
	s_nop 0
	v_pk_fma_f32 v[4:5], v[4:5], v[32:33], v[28:29] op_sel:[1,1,0] op_sel_hi:[0,1,1] neg_lo:[1,0,0]
	v_pk_fma_f32 v[92:93], v[6:7], v[34:35], v[4:5] op_sel_hi:[1,0,1]
	v_pk_fma_f32 v[4:5], v[0:1], v[32:33], v[94:95] op_sel_hi:[1,0,1]
	global_load_dwordx4 v[28:31], v[74:75], off offset:16
	v_pk_fma_f32 v[0:1], v[0:1], v[32:33], v[4:5] op_sel:[1,1,0] op_sel_hi:[0,1,1] neg_lo:[1,0,0]
	v_pk_fma_f32 v[94:95], v[2:3], v[34:35], v[0:1] op_sel_hi:[1,0,1]
	v_pk_fma_f32 v[0:1], v[16:17], v[32:33], v[96:97] op_sel_hi:[1,0,1]
	;; [unrolled: 1-line block ×3, first 2 shown]
	v_pk_fma_f32 v[0:1], v[16:17], v[32:33], v[0:1] op_sel:[1,1,0] op_sel_hi:[0,1,1] neg_lo:[1,0,0]
	v_pk_fma_f32 v[4:5], v[8:9], v[32:33], v[4:5] op_sel:[1,1,0] op_sel_hi:[0,1,1] neg_lo:[1,0,0]
	v_pk_fma_f32 v[16:17], v[18:19], v[34:35], v[0:1] op_sel_hi:[1,0,1]
	v_mov_b32_e32 v19, v10
	v_pk_fma_f32 v[8:9], v[10:11], v[34:35], v[4:5] op_sel_hi:[1,0,1]
	v_mov_b32_e32 v10, v35
	v_xor_b32_e32 v18, 0x80000000, v11
	v_pk_fma_f32 v[32:33], v[98:99], v[10:11], v[92:93] op_sel_hi:[1,0,1]
	global_load_dword v11, v[76:77], off offset:256
	global_load_dwordx4 v[4:7], v[70:71], off
	global_load_dwordx4 v[44:47], v[74:75], off offset:32
	global_load_dwordx4 v[0:3], v[74:75], off offset:112
	;; [unrolled: 1-line block ×3, first 2 shown]
	v_xor_b32_e32 v98, 0x80000000, v87
	v_mov_b32_e32 v99, v86
	s_waitcnt vmcnt(4)
	v_pk_fma_f32 v[70:71], v[100:101], v[10:11], v[94:95] op_sel_hi:[1,0,1]
	v_subrev_u32_e32 v11, s10, v11
	v_lshlrev_b32_e32 v34, 2, v11
	v_ashrrev_i32_e32 v35, 31, v34
	v_lshl_add_u64 v[94:95], v[34:35], 3, s[12:13]
	v_pk_fma_f32 v[16:17], v[102:103], v[10:11], v[16:17] op_sel_hi:[1,0,1]
	v_pk_fma_f32 v[18:19], v[18:19], v[10:11], v[8:9] op_sel_hi:[1,0,1]
	global_load_dwordx4 v[8:11], v[94:95], off
	s_waitcnt vmcnt(4)
	v_xor_b32_e32 v92, 0x80000000, v7
	v_mov_b32_e32 v93, v6
	s_waitcnt vmcnt(0)
	v_pk_fma_f32 v[32:33], v[4:5], v[8:9], v[32:33] op_sel_hi:[1,0,1]
	s_nop 0
	v_pk_fma_f32 v[4:5], v[4:5], v[8:9], v[32:33] op_sel:[1,1,0] op_sel_hi:[0,1,1] neg_lo:[1,0,0]
	v_pk_fma_f32 v[96:97], v[6:7], v[10:11], v[4:5] op_sel_hi:[1,0,1]
	v_pk_fma_f32 v[4:5], v[84:85], v[8:9], v[70:71] op_sel_hi:[1,0,1]
	global_load_dwordx4 v[32:35], v[74:75], off offset:80
	v_pk_fma_f32 v[4:5], v[84:85], v[8:9], v[4:5] op_sel:[1,1,0] op_sel_hi:[0,1,1] neg_lo:[1,0,0]
	v_pk_fma_f32 v[70:71], v[86:87], v[10:11], v[4:5] op_sel_hi:[1,0,1]
	v_pk_fma_f32 v[4:5], v[20:21], v[8:9], v[16:17] op_sel_hi:[1,0,1]
	global_load_dwordx4 v[84:87], v[74:75], off offset:64
	v_pk_fma_f32 v[4:5], v[20:21], v[8:9], v[4:5] op_sel:[1,1,0] op_sel_hi:[0,1,1] neg_lo:[1,0,0]
	v_pk_fma_f32 v[20:21], v[22:23], v[10:11], v[4:5] op_sel_hi:[1,0,1]
	v_pk_fma_f32 v[4:5], v[24:25], v[8:9], v[18:19] op_sel_hi:[1,0,1]
	v_xor_b32_e32 v74, 0x80000000, v23
	v_pk_fma_f32 v[4:5], v[24:25], v[8:9], v[4:5] op_sel:[1,1,0] op_sel_hi:[0,1,1] neg_lo:[1,0,0]
	v_mov_b32_e32 v23, v26
	v_pk_fma_f32 v[24:25], v[26:27], v[10:11], v[4:5] op_sel_hi:[1,0,1]
	v_mov_b32_e32 v26, v11
	v_pk_fma_f32 v[96:97], v[92:93], v[26:27], v[96:97] op_sel_hi:[1,0,1]
	global_load_dwordx4 v[92:95], v[94:95], off offset:16
	v_mov_b32_e32 v75, v22
	v_xor_b32_e32 v22, 0x80000000, v27
	v_pk_fma_f32 v[70:71], v[98:99], v[26:27], v[70:71] op_sel_hi:[1,0,1]
	v_pk_fma_f32 v[98:99], v[22:23], v[26:27], v[24:25] op_sel_hi:[1,0,1]
	;; [unrolled: 1-line block ×3, first 2 shown]
	global_load_dwordx4 v[16:19], v[72:73], off offset:32
	global_load_dwordx4 v[4:7], v[72:73], off offset:16
	;; [unrolled: 1-line block ×4, first 2 shown]
	v_xor_b32_e32 v74, 0x80000000, v91
	v_mov_b32_e32 v75, v90
	v_xor_b32_e32 v100, 0x80000000, v51
	v_mov_b32_e32 v101, v50
	s_waitcnt vmcnt(4)
	v_pk_fma_f32 v[22:23], v[88:89], v[92:93], v[96:97] op_sel_hi:[1,0,1]
	s_nop 0
	v_pk_fma_f32 v[22:23], v[88:89], v[92:93], v[22:23] op_sel:[1,1,0] op_sel_hi:[0,1,1] neg_lo:[1,0,0]
	v_pk_fma_f32 v[88:89], v[90:91], v[94:95], v[22:23] op_sel_hi:[1,0,1]
	v_pk_fma_f32 v[22:23], v[80:81], v[92:93], v[70:71] op_sel_hi:[1,0,1]
	;; [unrolled: 1-line block ×3, first 2 shown]
	v_pk_fma_f32 v[22:23], v[80:81], v[92:93], v[22:23] op_sel:[1,1,0] op_sel_hi:[0,1,1] neg_lo:[1,0,0]
	v_pk_fma_f32 v[20:21], v[40:41], v[92:93], v[20:21] op_sel:[1,1,0] op_sel_hi:[0,1,1] neg_lo:[1,0,0]
	v_pk_fma_f32 v[80:81], v[82:83], v[94:95], v[22:23] op_sel_hi:[1,0,1]
	v_pk_fma_f32 v[96:97], v[42:43], v[94:95], v[20:21] op_sel_hi:[1,0,1]
	global_load_dwordx4 v[20:23], v[72:73], off offset:80
	global_load_dword v63, v[76:77], off offset:512
	global_load_dword v67, v[76:77], off offset:768
	v_pk_fma_f32 v[40:41], v[36:37], v[92:93], v[98:99] op_sel_hi:[1,0,1]
	v_xor_b32_e32 v90, 0x80000000, v83
	v_pk_fma_f32 v[36:37], v[36:37], v[92:93], v[40:41] op_sel:[1,1,0] op_sel_hi:[0,1,1] neg_lo:[1,0,0]
	v_mov_b32_e32 v91, v82
	v_xor_b32_e32 v82, 0x80000000, v43
	v_mov_b32_e32 v83, v42
	v_xor_b32_e32 v76, 0x80000000, v39
	v_mov_b32_e32 v77, v38
	v_pk_fma_f32 v[92:93], v[38:39], v[94:95], v[36:37] op_sel_hi:[1,0,1]
	global_load_dwordx4 v[36:39], v[72:73], off offset:48
	global_load_dwordx4 v[40:43], v[72:73], off offset:64
	v_mov_b32_e32 v94, v95
	global_load_dwordx4 v[70:73], v[52:53], off
	v_pk_fma_f32 v[82:83], v[82:83], v[94:95], v[96:97] op_sel_hi:[1,0,1]
	v_pk_fma_f32 v[88:89], v[74:75], v[94:95], v[88:89] op_sel_hi:[1,0,1]
	;; [unrolled: 1-line block ×4, first 2 shown]
	v_xor_b32_e32 v94, 0x80000000, v47
	v_mov_b32_e32 v95, v46
	v_xor_b32_e32 v98, 0x80000000, v87
	v_mov_b32_e32 v99, v86
	s_waitcnt vmcnt(4)
	v_subrev_u32_e32 v52, s10, v63
	v_lshlrev_b32_e32 v52, 2, v52
	v_ashrrev_i32_e32 v53, 31, v52
	v_lshl_add_u64 v[96:97], v[52:53], 3, s[12:13]
	global_load_dwordx4 v[74:77], v[96:97], off
	s_waitcnt vmcnt(1)
	v_xor_b32_e32 v90, 0x80000000, v73
	v_mov_b32_e32 v91, v72
	s_waitcnt vmcnt(0)
	v_pk_fma_f32 v[52:53], v[70:71], v[74:75], v[88:89] op_sel_hi:[1,0,1]
	s_nop 0
	v_pk_fma_f32 v[52:53], v[70:71], v[74:75], v[52:53] op_sel:[1,1,0] op_sel_hi:[0,1,1] neg_lo:[1,0,0]
	v_pk_fma_f32 v[70:71], v[44:45], v[74:75], v[80:81] op_sel_hi:[1,0,1]
	v_pk_fma_f32 v[88:89], v[72:73], v[76:77], v[52:53] op_sel_hi:[1,0,1]
	v_pk_fma_f32 v[44:45], v[44:45], v[74:75], v[70:71] op_sel:[1,1,0] op_sel_hi:[0,1,1] neg_lo:[1,0,0]
	v_pk_fma_f32 v[80:81], v[46:47], v[76:77], v[44:45] op_sel_hi:[1,0,1]
	v_subrev_u32_e32 v44, s10, v67
	v_lshlrev_b32_e32 v44, 2, v44
	v_ashrrev_i32_e32 v45, 31, v44
	global_load_dwordx4 v[70:73], v[96:97], off offset:16
	v_lshl_add_u64 v[102:103], v[44:45], 3, s[12:13]
	v_pk_fma_f32 v[44:45], v[84:85], v[74:75], v[82:83] op_sel_hi:[1,0,1]
	global_load_dwordx4 v[52:55], v[54:55], off
	v_pk_fma_f32 v[44:45], v[84:85], v[74:75], v[44:45] op_sel:[1,1,0] op_sel_hi:[0,1,1] neg_lo:[1,0,0]
	v_pk_fma_f32 v[82:83], v[86:87], v[76:77], v[44:45] op_sel_hi:[1,0,1]
	v_pk_fma_f32 v[44:45], v[48:49], v[74:75], v[92:93] op_sel_hi:[1,0,1]
	v_xor_b32_e32 v84, 0x80000000, v31
	v_pk_fma_f32 v[44:45], v[48:49], v[74:75], v[44:45] op_sel:[1,1,0] op_sel_hi:[0,1,1] neg_lo:[1,0,0]
	v_pk_fma_f32 v[74:75], v[50:51], v[76:77], v[44:45] op_sel_hi:[1,0,1]
	global_load_dwordx4 v[48:51], v[102:103], off
	global_load_dwordx4 v[44:47], v[102:103], off offset:16
	v_mov_b32_e32 v76, v77
	v_pk_fma_f32 v[86:87], v[90:91], v[76:77], v[88:89] op_sel_hi:[1,0,1]
	v_pk_fma_f32 v[80:81], v[94:95], v[76:77], v[80:81] op_sel_hi:[1,0,1]
	;; [unrolled: 1-line block ×4, first 2 shown]
	v_mov_b32_e32 v85, v30
	v_xor_b32_e32 v88, 0x80000000, v15
	v_mov_b32_e32 v89, v14
	v_xor_b32_e32 v90, 0x80000000, v35
	;; [unrolled: 2-line block ×5, first 2 shown]
	v_mov_b32_e32 v77, v6
	s_waitcnt vmcnt(3)
	v_pk_fma_f32 v[86:87], v[28:29], v[70:71], v[86:87] op_sel_hi:[1,0,1]
	v_pk_fma_f32 v[80:81], v[12:13], v[70:71], v[80:81] op_sel_hi:[1,0,1]
	;; [unrolled: 1-line block ×4, first 2 shown]
	v_pk_fma_f32 v[28:29], v[28:29], v[70:71], v[86:87] op_sel:[1,1,0] op_sel_hi:[0,1,1] neg_lo:[1,0,0]
	v_pk_fma_f32 v[12:13], v[12:13], v[70:71], v[80:81] op_sel:[1,1,0] op_sel_hi:[0,1,1] neg_lo:[1,0,0]
	;; [unrolled: 1-line block ×4, first 2 shown]
	v_pk_fma_f32 v[28:29], v[30:31], v[72:73], v[28:29] op_sel_hi:[1,0,1]
	v_pk_fma_f32 v[12:13], v[14:15], v[72:73], v[12:13] op_sel_hi:[1,0,1]
	;; [unrolled: 1-line block ×4, first 2 shown]
	v_mov_b32_e32 v2, v73
	v_pk_fma_f32 v[28:29], v[84:85], v[2:3], v[28:29] op_sel_hi:[1,0,1]
	v_pk_fma_f32 v[12:13], v[88:89], v[2:3], v[12:13] op_sel_hi:[1,0,1]
	;; [unrolled: 1-line block ×4, first 2 shown]
	s_waitcnt vmcnt(1)
	v_pk_fma_f32 v[2:3], v[52:53], v[48:49], v[28:29] op_sel_hi:[1,0,1]
	v_pk_fma_f32 v[12:13], v[16:17], v[48:49], v[12:13] op_sel_hi:[1,0,1]
	;; [unrolled: 1-line block ×4, first 2 shown]
	v_pk_fma_f32 v[2:3], v[52:53], v[48:49], v[2:3] op_sel:[1,1,0] op_sel_hi:[0,1,1] neg_lo:[1,0,0]
	v_pk_fma_f32 v[12:13], v[16:17], v[48:49], v[12:13] op_sel:[1,1,0] op_sel_hi:[0,1,1] neg_lo:[1,0,0]
	;; [unrolled: 1-line block ×4, first 2 shown]
	v_xor_b32_e32 v86, 0x80000000, v43
	v_mov_b32_e32 v87, v42
	v_xor_b32_e32 v80, 0x80000000, v27
	v_mov_b32_e32 v81, v26
	;; [unrolled: 2-line block ×3, first 2 shown]
	v_mov_b32_e32 v70, v51
	v_pk_fma_f32 v[2:3], v[54:55], v[50:51], v[2:3] op_sel_hi:[1,0,1]
	v_pk_fma_f32 v[12:13], v[18:19], v[50:51], v[12:13] op_sel_hi:[1,0,1]
	;; [unrolled: 1-line block ×8, first 2 shown]
	s_waitcnt vmcnt(0)
	v_pk_fma_f32 v[2:3], v[4:5], v[44:45], v[2:3] op_sel_hi:[1,0,1]
	v_pk_fma_f32 v[12:13], v[36:37], v[44:45], v[12:13] op_sel_hi:[1,0,1]
	;; [unrolled: 1-line block ×4, first 2 shown]
	v_pk_fma_f32 v[2:3], v[4:5], v[44:45], v[2:3] op_sel:[1,1,0] op_sel_hi:[0,1,1] neg_lo:[1,0,0]
	v_pk_fma_f32 v[4:5], v[36:37], v[44:45], v[12:13] op_sel:[1,1,0] op_sel_hi:[0,1,1] neg_lo:[1,0,0]
	v_pk_fma_f32 v[12:13], v[20:21], v[44:45], v[16:17] op_sel:[1,1,0] op_sel_hi:[0,1,1] neg_lo:[1,0,0]
	v_pk_fma_f32 v[0:1], v[8:9], v[44:45], v[0:1] op_sel:[1,1,0] op_sel_hi:[0,1,1] neg_lo:[1,0,0]
	v_xor_b32_e32 v30, 0x80000000, v39
	v_mov_b32_e32 v31, v38
	v_xor_b32_e32 v14, 0x80000000, v23
	v_mov_b32_e32 v15, v22
	;; [unrolled: 2-line block ×3, first 2 shown]
	v_mov_b32_e32 v72, v47
	v_pk_fma_f32 v[2:3], v[6:7], v[46:47], v[2:3] op_sel_hi:[1,0,1]
	v_pk_fma_f32 v[4:5], v[38:39], v[46:47], v[4:5] op_sel_hi:[1,0,1]
	;; [unrolled: 1-line block ×8, first 2 shown]
	s_andn2_b64 exec, exec, s[20:21]
	s_cbranch_execnz .LBB14_17
; %bb.18:
	s_or_b64 exec, exec, s[20:21]
.LBB14_19:
	s_or_b64 exec, exec, s[18:19]
.LBB14_20:
	s_or_b64 exec, exec, s[14:15]
	s_cbranch_execz .LBB14_22
	s_branch .LBB14_33
.LBB14_21:
                                        ; implicit-def: $vgpr43
                                        ; implicit-def: $vgpr33
                                        ; implicit-def: $vgpr41
                                        ; implicit-def: $vgpr35
.LBB14_22:
	v_mov_b32_e32 v43, 0
	v_mov_b32_e32 v42, 0
	;; [unrolled: 1-line block ×8, first 2 shown]
	s_and_saveexec_b64 s[2:3], s[4:5]
	s_cbranch_execz .LBB14_32
; %bb.23:
	v_add_u32_e32 v0, v79, v61
	v_subrev_u32_e32 v0, s10, v0
	v_add_u32_e32 v0, 64, v0
	v_max_i32_e32 v0, v0, v78
	v_not_b32_e32 v1, v79
	v_add3_u32 v0, s10, v0, v1
	v_sub_u32_e32 v0, v0, v61
	v_mov_b32_e32 v34, 0
	s_movk_i32 s4, 0xc0
	v_and_b32_e32 v1, 0xc0, v0
	v_mov_b32_e32 v35, v34
	v_cmp_ne_u32_e32 vcc, s4, v1
	v_mov_b64_e32 v[42:43], v[34:35]
	v_mov_b64_e32 v[32:33], v[34:35]
	;; [unrolled: 1-line block ×3, first 2 shown]
	s_and_saveexec_b64 s[4:5], vcc
	s_cbranch_execz .LBB14_27
; %bb.24:
	v_lshrrev_b32_e32 v1, 6, v0
	v_add_u32_e32 v1, 1, v1
	v_and_b32_e32 v1, 3, v1
	v_sub_u32_e32 v1, 0, v1
	s_mov_b64 s[6:7], 0
	s_mov_b64 s[14:15], 0x2000
	v_mov_b32_e32 v35, v34
	v_mov_b32_e32 v40, v34
	;; [unrolled: 1-line block ×7, first 2 shown]
.LBB14_25:                              ; =>This Inner Loop Header: Depth=1
	v_ashrrev_i32_e32 v63, 31, v62
	v_lshl_add_u64 v[30:31], v[62:63], 2, s[16:17]
	global_load_dword v36, v[30:31], off
	global_load_dwordx4 v[2:5], v[64:65], off
	global_load_dwordx4 v[6:9], v[64:65], off offset:32
	global_load_dwordx4 v[10:13], v[64:65], off offset:64
	;; [unrolled: 1-line block ×6, first 2 shown]
	v_add_co_u32_e32 v1, vcc, 1, v1
	v_add_u32_e32 v62, 64, v62
	s_or_b64 s[6:7], vcc, s[6:7]
	s_waitcnt vmcnt(7)
	v_subrev_u32_e32 v30, s10, v36
	v_lshlrev_b32_e32 v30, 2, v30
	v_ashrrev_i32_e32 v31, 31, v30
	s_waitcnt lgkmcnt(0)
	v_lshl_add_u64 v[30:31], v[30:31], 3, s[12:13]
	global_load_dwordx4 v[36:39], v[30:31], off
	global_load_dwordx4 v[44:47], v[30:31], off offset:16
	global_load_dwordx4 v[48:51], v[64:65], off offset:112
	s_waitcnt vmcnt(9)
	v_xor_b32_e32 v30, 0x80000000, v5
	v_mov_b32_e32 v31, v4
	s_waitcnt vmcnt(4)
	v_xor_b32_e32 v68, 0x80000000, v25
	v_mov_b32_e32 v69, v24
	v_xor_b32_e32 v52, 0x80000000, v9
	v_mov_b32_e32 v53, v8
	;; [unrolled: 2-line block ×4, first 2 shown]
	s_waitcnt vmcnt(3)
	v_xor_b32_e32 v72, 0x80000000, v29
	v_mov_b32_e32 v73, v28
	v_xor_b32_e32 v66, 0x80000000, v17
	v_mov_b32_e32 v67, v16
	v_lshl_add_u64 v[64:65], v[64:65], 0, s[14:15]
	s_waitcnt vmcnt(2)
	v_pk_fma_f32 v[42:43], v[2:3], v[36:37], v[42:43] op_sel_hi:[1,0,1]
	v_pk_fma_f32 v[4:5], v[4:5], v[36:37], v[34:35] op_sel_hi:[1,0,1]
	;; [unrolled: 1-line block ×4, first 2 shown]
	v_pk_fma_f32 v[2:3], v[2:3], v[36:37], v[42:43] op_sel:[1,1,0] op_sel_hi:[0,1,1] neg_lo:[1,0,0]
	v_pk_fma_f32 v[4:5], v[30:31], v[36:37], v[4:5] op_sel:[0,1,0]
	v_pk_fma_f32 v[22:23], v[22:23], v[36:37], v[40:41] op_sel:[1,1,0] op_sel_hi:[0,1,1] neg_lo:[1,0,0]
	v_pk_fma_f32 v[24:25], v[68:69], v[36:37], v[24:25] op_sel:[0,1,0]
	v_mov_b32_e32 v34, v39
	v_pk_fma_f32 v[2:3], v[6:7], v[38:39], v[2:3] op_sel_hi:[1,0,1]
	v_pk_fma_f32 v[4:5], v[8:9], v[38:39], v[4:5] op_sel_hi:[1,0,1]
	;; [unrolled: 1-line block ×4, first 2 shown]
	v_pk_fma_f32 v[2:3], v[6:7], v[34:35], v[2:3] op_sel:[1,0,0] op_sel_hi:[0,0,1] neg_lo:[1,0,0]
	v_pk_fma_f32 v[4:5], v[52:53], v[34:35], v[4:5] op_sel_hi:[1,0,1]
	v_pk_fma_f32 v[6:7], v[18:19], v[34:35], v[8:9] op_sel:[1,0,0] op_sel_hi:[0,0,1] neg_lo:[1,0,0]
	v_pk_fma_f32 v[8:9], v[70:71], v[34:35], v[20:21] op_sel_hi:[1,0,1]
	s_waitcnt vmcnt(1)
	v_pk_fma_f32 v[2:3], v[10:11], v[44:45], v[2:3] op_sel_hi:[1,0,1]
	v_pk_fma_f32 v[4:5], v[12:13], v[44:45], v[4:5] op_sel_hi:[1,0,1]
	;; [unrolled: 1-line block ×4, first 2 shown]
	v_pk_fma_f32 v[2:3], v[10:11], v[44:45], v[2:3] op_sel:[1,1,0] op_sel_hi:[0,1,1] neg_lo:[1,0,0]
	v_pk_fma_f32 v[4:5], v[54:55], v[44:45], v[4:5] op_sel:[0,1,0]
	v_pk_fma_f32 v[6:7], v[26:27], v[44:45], v[6:7] op_sel:[1,1,0] op_sel_hi:[0,1,1] neg_lo:[1,0,0]
	v_pk_fma_f32 v[8:9], v[72:73], v[44:45], v[8:9] op_sel:[0,1,0]
	s_waitcnt vmcnt(0)
	v_xor_b32_e32 v74, 0x80000000, v51
	v_mov_b32_e32 v75, v50
	v_mov_b32_e32 v76, v47
	v_pk_fma_f32 v[2:3], v[14:15], v[46:47], v[2:3] op_sel_hi:[1,0,1]
	v_pk_fma_f32 v[4:5], v[16:17], v[46:47], v[4:5] op_sel_hi:[1,0,1]
	v_pk_fma_f32 v[6:7], v[48:49], v[46:47], v[6:7] op_sel_hi:[1,0,1]
	v_pk_fma_f32 v[8:9], v[50:51], v[46:47], v[8:9] op_sel_hi:[1,0,1]
	v_pk_fma_f32 v[42:43], v[14:15], v[76:77], v[2:3] op_sel:[1,0,0] op_sel_hi:[0,0,1] neg_lo:[1,0,0]
	v_pk_fma_f32 v[34:35], v[66:67], v[76:77], v[4:5] op_sel_hi:[1,0,1]
	v_pk_fma_f32 v[40:41], v[48:49], v[76:77], v[6:7] op_sel:[1,0,0] op_sel_hi:[0,0,1] neg_lo:[1,0,0]
	v_pk_fma_f32 v[32:33], v[74:75], v[76:77], v[8:9] op_sel_hi:[1,0,1]
	s_andn2_b64 exec, exec, s[6:7]
	s_cbranch_execnz .LBB14_25
; %bb.26:
	s_or_b64 exec, exec, s[6:7]
.LBB14_27:
	s_or_b64 exec, exec, s[4:5]
	s_movk_i32 s4, 0xbf
	v_cmp_lt_u32_e32 vcc, s4, v0
	s_and_saveexec_b64 s[4:5], vcc
	s_cbranch_execz .LBB14_31
; %bb.28:
	s_mov_b64 s[6:7], 0
	s_mov_b64 s[14:15], 0x2000
	s_movk_i32 s11, 0x2000
	s_mov_b64 s[18:19], 0x4000
	s_movk_i32 s24, 0x4000
	;; [unrolled: 2-line block ×3, first 2 shown]
	s_mov_b64 s[22:23], 0x8000
.LBB14_29:                              ; =>This Inner Loop Header: Depth=1
	v_ashrrev_i32_e32 v63, 31, v62
	v_lshl_add_u64 v[36:37], v[64:65], 0, s[14:15]
	v_add_co_u32_e32 v38, vcc, s11, v64
	global_load_dwordx4 v[8:11], v[64:65], off offset:48
	global_load_dwordx4 v[12:15], v[64:65], off offset:32
	;; [unrolled: 1-line block ×3, first 2 shown]
	global_load_dwordx4 v[28:31], v[64:65], off
	global_load_dwordx4 v[0:3], v[64:65], off offset:112
	global_load_dwordx4 v[4:7], v[64:65], off offset:96
	;; [unrolled: 1-line block ×4, first 2 shown]
	v_addc_co_u32_e32 v39, vcc, 0, v65, vcc
	v_lshl_add_u64 v[88:89], v[62:63], 2, s[16:17]
	global_load_dwordx4 v[52:55], v[36:37], off offset:32
	global_load_dwordx4 v[66:69], v[36:37], off offset:16
	global_load_dwordx4 v[70:73], v[38:39], off
	global_load_dwordx4 v[74:77], v[36:37], off offset:112
	global_load_dwordx4 v[80:83], v[36:37], off offset:96
	;; [unrolled: 1-line block ×3, first 2 shown]
	global_load_dword v63, v[88:89], off
	global_load_dword v79, v[88:89], off offset:256
	global_load_dword v100, v[88:89], off offset:512
	;; [unrolled: 1-line block ×3, first 2 shown]
	v_add_co_u32_e32 v46, vcc, s24, v64
	v_lshl_add_u64 v[44:45], v[64:65], 0, s[18:19]
	s_nop 0
	v_addc_co_u32_e32 v47, vcc, 0, v65, vcc
	v_add_co_u32_e32 v50, vcc, s25, v64
	v_lshl_add_u64 v[48:49], v[64:65], 0, s[20:21]
	s_nop 0
	v_addc_co_u32_e32 v51, vcc, 0, v65, vcc
	v_add_u32_e32 v62, 0x100, v62
	v_cmp_ge_i32_e32 vcc, v62, v78
	v_lshl_add_u64 v[64:65], v[64:65], 0, s[22:23]
	s_or_b64 s[6:7], vcc, s[6:7]
	s_waitcnt vmcnt(14)
	v_xor_b32_e32 v38, 0x80000000, v31
	v_mov_b32_e32 v39, v30
	s_waitcnt vmcnt(3)
	v_subrev_u32_e32 v63, s10, v63
	v_lshlrev_b32_e32 v88, 2, v63
	v_ashrrev_i32_e32 v89, 31, v88
	s_waitcnt lgkmcnt(0)
	v_lshl_add_u64 v[96:97], v[88:89], 3, s[12:13]
	global_load_dwordx4 v[88:91], v[96:97], off
	global_load_dwordx4 v[92:95], v[96:97], off offset:16
	v_xor_b32_e32 v96, 0x80000000, v27
	v_mov_b32_e32 v97, v26
	s_waitcnt vmcnt(2)
	v_subrev_u32_e32 v63, s10, v101
	s_waitcnt vmcnt(1)
	v_pk_fma_f32 v[42:43], v[28:29], v[88:89], v[42:43] op_sel_hi:[1,0,1]
	v_pk_fma_f32 v[34:35], v[30:31], v[88:89], v[34:35] op_sel_hi:[1,0,1]
	v_pk_fma_f32 v[42:43], v[28:29], v[88:89], v[42:43] op_sel:[1,1,0] op_sel_hi:[0,1,1] neg_lo:[1,0,0]
	v_pk_fma_f32 v[28:29], v[24:25], v[88:89], v[40:41] op_sel_hi:[1,0,1]
	v_pk_fma_f32 v[40:41], v[26:27], v[88:89], v[32:33] op_sel_hi:[1,0,1]
	v_pk_fma_f32 v[98:99], v[24:25], v[88:89], v[28:29] op_sel:[1,1,0] op_sel_hi:[0,1,1] neg_lo:[1,0,0]
	global_load_dwordx4 v[24:27], v[36:37], off offset:48
	global_load_dwordx4 v[28:31], v[36:37], off offset:64
	v_pk_fma_f32 v[36:37], v[38:39], v[88:89], v[34:35] op_sel:[0,1,0]
	global_load_dwordx4 v[32:35], v[46:47], off
	v_pk_fma_f32 v[38:39], v[96:97], v[88:89], v[40:41] op_sel:[0,1,0]
	v_xor_b32_e32 v40, 0x80000000, v15
	v_mov_b32_e32 v41, v14
	v_pk_fma_f32 v[36:37], v[14:15], v[90:91], v[36:37] op_sel_hi:[1,0,1]
	v_pk_fma_f32 v[46:47], v[8:9], v[90:91], v[98:99] op_sel_hi:[1,0,1]
	v_mov_b32_e32 v88, v91
	v_pk_fma_f32 v[42:43], v[12:13], v[90:91], v[42:43] op_sel_hi:[1,0,1]
	v_pk_fma_f32 v[38:39], v[10:11], v[90:91], v[38:39] op_sel_hi:[1,0,1]
	v_xor_b32_e32 v90, 0x80000000, v11
	v_mov_b32_e32 v91, v10
	v_pk_fma_f32 v[46:47], v[8:9], v[88:89], v[46:47] op_sel:[1,0,0] op_sel_hi:[0,0,1] neg_lo:[1,0,0]
	v_pk_fma_f32 v[40:41], v[40:41], v[88:89], v[36:37] op_sel_hi:[1,0,1]
	v_pk_fma_f32 v[42:43], v[12:13], v[88:89], v[42:43] op_sel:[1,0,0] op_sel_hi:[0,0,1] neg_lo:[1,0,0]
	v_pk_fma_f32 v[88:89], v[90:91], v[88:89], v[38:39] op_sel_hi:[1,0,1]
	v_xor_b32_e32 v90, 0x80000000, v23
	v_mov_b32_e32 v91, v22
	s_waitcnt vmcnt(3)
	v_pk_fma_f32 v[40:41], v[22:23], v[92:93], v[40:41] op_sel_hi:[1,0,1]
	v_pk_fma_f32 v[46:47], v[16:17], v[92:93], v[46:47] op_sel_hi:[1,0,1]
	;; [unrolled: 1-line block ×3, first 2 shown]
	v_pk_fma_f32 v[40:41], v[90:91], v[92:93], v[40:41] op_sel:[0,1,0]
	v_xor_b32_e32 v90, 0x80000000, v19
	v_mov_b32_e32 v91, v18
	v_pk_fma_f32 v[88:89], v[18:19], v[92:93], v[88:89] op_sel_hi:[1,0,1]
	v_pk_fma_f32 v[46:47], v[16:17], v[92:93], v[46:47] op_sel:[1,1,0] op_sel_hi:[0,1,1] neg_lo:[1,0,0]
	v_pk_fma_f32 v[42:43], v[20:21], v[92:93], v[42:43] op_sel:[1,1,0] op_sel_hi:[0,1,1] neg_lo:[1,0,0]
	v_pk_fma_f32 v[88:89], v[90:91], v[92:93], v[88:89] op_sel:[0,1,0]
	v_pk_fma_f32 v[46:47], v[0:1], v[94:95], v[46:47] op_sel_hi:[1,0,1]
	v_mov_b32_e32 v92, v95
	v_pk_fma_f32 v[96:97], v[0:1], v[92:93], v[46:47] op_sel:[1,0,0] op_sel_hi:[0,0,1] neg_lo:[1,0,0]
	v_subrev_u32_e32 v0, s10, v79
	v_lshlrev_b32_e32 v0, 2, v0
	v_pk_fma_f32 v[42:43], v[4:5], v[94:95], v[42:43] op_sel_hi:[1,0,1]
	v_ashrrev_i32_e32 v1, 31, v0
	v_xor_b32_e32 v90, 0x80000000, v7
	v_mov_b32_e32 v91, v6
	v_pk_fma_f32 v[40:41], v[6:7], v[94:95], v[40:41] op_sel_hi:[1,0,1]
	v_pk_fma_f32 v[88:89], v[2:3], v[94:95], v[88:89] op_sel_hi:[1,0,1]
	v_pk_fma_f32 v[94:95], v[4:5], v[92:93], v[42:43] op_sel:[1,0,0] op_sel_hi:[0,0,1] neg_lo:[1,0,0]
	v_xor_b32_e32 v42, 0x80000000, v3
	v_mov_b32_e32 v43, v2
	v_lshl_add_u64 v[46:47], v[0:1], 3, s[12:13]
	global_load_dwordx4 v[12:15], v[44:45], off offset:32
	global_load_dwordx4 v[8:11], v[44:45], off offset:16
	;; [unrolled: 1-line block ×6, first 2 shown]
	v_pk_fma_f32 v[90:91], v[90:91], v[92:93], v[40:41] op_sel_hi:[1,0,1]
	v_pk_fma_f32 v[88:89], v[42:43], v[92:93], v[88:89] op_sel_hi:[1,0,1]
	global_load_dwordx4 v[0:3], v[46:47], off
	global_load_dwordx4 v[40:43], v[46:47], off offset:16
	v_xor_b32_e32 v98, 0x80000000, v73
	v_mov_b32_e32 v99, v72
	v_xor_b32_e32 v92, 0x80000000, v69
	v_mov_b32_e32 v93, v68
	s_waitcnt vmcnt(1)
	v_pk_fma_f32 v[46:47], v[70:71], v[0:1], v[94:95] op_sel_hi:[1,0,1]
	v_pk_fma_f32 v[72:73], v[72:73], v[0:1], v[90:91] op_sel_hi:[1,0,1]
	v_pk_fma_f32 v[90:91], v[70:71], v[0:1], v[46:47] op_sel:[1,1,0] op_sel_hi:[0,1,1] neg_lo:[1,0,0]
	v_pk_fma_f32 v[70:71], v[66:67], v[0:1], v[96:97] op_sel_hi:[1,0,1]
	v_pk_fma_f32 v[88:89], v[68:69], v[0:1], v[88:89] op_sel_hi:[1,0,1]
	v_pk_fma_f32 v[94:95], v[66:67], v[0:1], v[70:71] op_sel:[1,1,0] op_sel_hi:[0,1,1] neg_lo:[1,0,0]
	global_load_dwordx4 v[66:69], v[50:51], off
	v_pk_fma_f32 v[50:51], v[98:99], v[0:1], v[72:73] op_sel:[0,1,0]
	v_pk_fma_f32 v[0:1], v[92:93], v[0:1], v[88:89] op_sel:[0,1,0]
	v_xor_b32_e32 v88, 0x80000000, v55
	v_mov_b32_e32 v89, v54
	v_pk_fma_f32 v[90:91], v[52:53], v[2:3], v[90:91] op_sel_hi:[1,0,1]
	v_pk_fma_f32 v[50:51], v[54:55], v[2:3], v[50:51] op_sel_hi:[1,0,1]
	;; [unrolled: 1-line block ×3, first 2 shown]
	v_mov_b32_e32 v94, v3
	v_pk_fma_f32 v[92:93], v[26:27], v[2:3], v[0:1] op_sel_hi:[1,0,1]
	v_pk_fma_f32 v[90:91], v[52:53], v[94:95], v[90:91] op_sel:[1,0,0] op_sel_hi:[0,0,1] neg_lo:[1,0,0]
	v_xor_b32_e32 v52, 0x80000000, v27
	v_mov_b32_e32 v53, v26
	v_pk_fma_f32 v[88:89], v[88:89], v[94:95], v[50:51] op_sel_hi:[1,0,1]
	v_pk_fma_f32 v[54:55], v[24:25], v[94:95], v[54:55] op_sel:[1,0,0] op_sel_hi:[0,0,1] neg_lo:[1,0,0]
	v_pk_fma_f32 v[92:93], v[52:53], v[94:95], v[92:93] op_sel_hi:[1,0,1]
	v_xor_b32_e32 v94, 0x80000000, v31
	v_mov_b32_e32 v95, v30
	s_waitcnt vmcnt(1)
	v_pk_fma_f32 v[90:91], v[28:29], v[40:41], v[90:91] op_sel_hi:[1,0,1]
	v_pk_fma_f32 v[88:89], v[30:31], v[40:41], v[88:89] op_sel_hi:[1,0,1]
	v_pk_fma_f32 v[96:97], v[28:29], v[40:41], v[90:91] op_sel:[1,1,0] op_sel_hi:[0,1,1] neg_lo:[1,0,0]
	v_pk_fma_f32 v[94:95], v[94:95], v[40:41], v[88:89] op_sel:[0,1,0]
	v_xor_b32_e32 v88, 0x80000000, v87
	v_mov_b32_e32 v89, v86
	v_pk_fma_f32 v[54:55], v[84:85], v[40:41], v[54:55] op_sel_hi:[1,0,1]
	v_pk_fma_f32 v[90:91], v[86:87], v[40:41], v[92:93] op_sel_hi:[1,0,1]
	v_pk_fma_f32 v[54:55], v[84:85], v[40:41], v[54:55] op_sel:[1,1,0] op_sel_hi:[0,1,1] neg_lo:[1,0,0]
	v_pk_fma_f32 v[40:41], v[88:89], v[40:41], v[90:91] op_sel:[0,1,0]
	global_load_dwordx4 v[44:47], v[44:45], off offset:64
	v_pk_fma_f32 v[92:93], v[82:83], v[42:43], v[94:95] op_sel_hi:[1,0,1]
	global_load_dwordx4 v[70:73], v[48:49], off offset:48
	global_load_dwordx4 v[0:3], v[48:49], off offset:32
	;; [unrolled: 1-line block ×7, first 2 shown]
	v_pk_fma_f32 v[48:49], v[80:81], v[42:43], v[96:97] op_sel_hi:[1,0,1]
	v_pk_fma_f32 v[54:55], v[74:75], v[42:43], v[54:55] op_sel_hi:[1,0,1]
	;; [unrolled: 1-line block ×3, first 2 shown]
	v_mov_b32_e32 v42, v43
	v_pk_fma_f32 v[48:49], v[80:81], v[42:43], v[48:49] op_sel:[1,0,0] op_sel_hi:[0,0,1] neg_lo:[1,0,0]
	v_pk_fma_f32 v[54:55], v[74:75], v[42:43], v[54:55] op_sel:[1,0,0] op_sel_hi:[0,0,1] neg_lo:[1,0,0]
	v_subrev_u32_e32 v43, s10, v100
	v_lshlrev_b32_e32 v74, 2, v43
	v_ashrrev_i32_e32 v75, 31, v74
	v_xor_b32_e32 v94, 0x80000000, v83
	v_mov_b32_e32 v95, v82
	v_xor_b32_e32 v80, 0x80000000, v77
	v_mov_b32_e32 v81, v76
	v_lshl_add_u64 v[100:101], v[74:75], 3, s[12:13]
	v_pk_fma_f32 v[92:93], v[94:95], v[42:43], v[92:93] op_sel_hi:[1,0,1]
	v_pk_fma_f32 v[80:81], v[80:81], v[42:43], v[40:41] op_sel_hi:[1,0,1]
	global_load_dwordx4 v[40:43], v[100:101], off
	global_load_dwordx4 v[74:77], v[100:101], off offset:16
	v_xor_b32_e32 v82, 0x80000000, v35
	v_mov_b32_e32 v83, v34
	v_xor_b32_e32 v96, 0x80000000, v11
	v_mov_b32_e32 v97, v10
	;; [unrolled: 2-line block ×3, first 2 shown]
	s_waitcnt vmcnt(1)
	v_pk_fma_f32 v[48:49], v[32:33], v[40:41], v[48:49] op_sel_hi:[1,0,1]
	s_nop 0
	v_pk_fma_f32 v[48:49], v[32:33], v[40:41], v[48:49] op_sel:[1,1,0] op_sel_hi:[0,1,1] neg_lo:[1,0,0]
	v_lshlrev_b32_e32 v32, 2, v63
	v_ashrrev_i32_e32 v33, 31, v32
	v_lshl_add_u64 v[94:95], v[32:33], 3, s[12:13]
	v_pk_fma_f32 v[32:33], v[8:9], v[40:41], v[54:55] op_sel_hi:[1,0,1]
	v_pk_fma_f32 v[92:93], v[34:35], v[40:41], v[92:93] op_sel_hi:[1,0,1]
	;; [unrolled: 1-line block ×3, first 2 shown]
	v_pk_fma_f32 v[80:81], v[8:9], v[40:41], v[32:33] op_sel:[1,1,0] op_sel_hi:[0,1,1] neg_lo:[1,0,0]
	global_load_dwordx4 v[8:11], v[94:95], off
	global_load_dwordx4 v[32:35], v[94:95], off offset:16
	v_pk_fma_f32 v[82:83], v[82:83], v[40:41], v[92:93] op_sel:[0,1,0]
	v_pk_fma_f32 v[40:41], v[96:97], v[40:41], v[54:55] op_sel:[0,1,0]
	v_xor_b32_e32 v92, 0x80000000, v7
	v_mov_b32_e32 v93, v6
	v_pk_fma_f32 v[48:49], v[12:13], v[42:43], v[48:49] op_sel_hi:[1,0,1]
	v_pk_fma_f32 v[14:15], v[14:15], v[42:43], v[82:83] op_sel_hi:[1,0,1]
	;; [unrolled: 1-line block ×4, first 2 shown]
	v_mov_b32_e32 v40, v43
	v_pk_fma_f32 v[12:13], v[12:13], v[40:41], v[48:49] op_sel:[1,0,0] op_sel_hi:[0,0,1] neg_lo:[1,0,0]
	v_pk_fma_f32 v[4:5], v[4:5], v[40:41], v[80:81] op_sel:[1,0,0] op_sel_hi:[0,0,1] neg_lo:[1,0,0]
	v_pk_fma_f32 v[14:15], v[98:99], v[40:41], v[14:15] op_sel_hi:[1,0,1]
	v_pk_fma_f32 v[6:7], v[92:93], v[40:41], v[6:7] op_sel_hi:[1,0,1]
	v_xor_b32_e32 v54, 0x80000000, v47
	v_mov_b32_e32 v55, v46
	v_xor_b32_e32 v48, 0x80000000, v19
	v_mov_b32_e32 v49, v18
	s_waitcnt vmcnt(2)
	v_pk_fma_f32 v[12:13], v[44:45], v[74:75], v[12:13] op_sel_hi:[1,0,1]
	v_pk_fma_f32 v[14:15], v[46:47], v[74:75], v[14:15] op_sel_hi:[1,0,1]
	;; [unrolled: 1-line block ×4, first 2 shown]
	v_pk_fma_f32 v[12:13], v[44:45], v[74:75], v[12:13] op_sel:[1,1,0] op_sel_hi:[0,1,1] neg_lo:[1,0,0]
	v_pk_fma_f32 v[4:5], v[16:17], v[74:75], v[4:5] op_sel:[1,1,0] op_sel_hi:[0,1,1] neg_lo:[1,0,0]
	v_pk_fma_f32 v[14:15], v[54:55], v[74:75], v[14:15] op_sel:[0,1,0]
	v_pk_fma_f32 v[6:7], v[48:49], v[74:75], v[6:7] op_sel:[0,1,0]
	v_xor_b32_e32 v42, 0x80000000, v23
	v_mov_b32_e32 v43, v22
	v_xor_b32_e32 v82, 0x80000000, v39
	v_mov_b32_e32 v83, v38
	v_mov_b32_e32 v18, v77
	v_pk_fma_f32 v[12:13], v[20:21], v[76:77], v[12:13] op_sel_hi:[1,0,1]
	v_pk_fma_f32 v[14:15], v[22:23], v[76:77], v[14:15] op_sel_hi:[1,0,1]
	;; [unrolled: 1-line block ×4, first 2 shown]
	v_pk_fma_f32 v[12:13], v[20:21], v[18:19], v[12:13] op_sel:[1,0,0] op_sel_hi:[0,0,1] neg_lo:[1,0,0]
	v_pk_fma_f32 v[4:5], v[36:37], v[18:19], v[4:5] op_sel:[1,0,0] op_sel_hi:[0,0,1] neg_lo:[1,0,0]
	v_pk_fma_f32 v[14:15], v[42:43], v[18:19], v[14:15] op_sel_hi:[1,0,1]
	v_pk_fma_f32 v[6:7], v[82:83], v[18:19], v[6:7] op_sel_hi:[1,0,1]
	v_xor_b32_e32 v80, 0x80000000, v69
	v_mov_b32_e32 v81, v68
	v_xor_b32_e32 v92, 0x80000000, v27
	v_mov_b32_e32 v93, v26
	;; [unrolled: 2-line block ×8, first 2 shown]
	s_waitcnt vmcnt(1)
	v_pk_fma_f32 v[12:13], v[66:67], v[8:9], v[12:13] op_sel_hi:[1,0,1]
	v_pk_fma_f32 v[14:15], v[68:69], v[8:9], v[14:15] op_sel_hi:[1,0,1]
	;; [unrolled: 1-line block ×4, first 2 shown]
	v_pk_fma_f32 v[12:13], v[66:67], v[8:9], v[12:13] op_sel:[1,1,0] op_sel_hi:[0,1,1] neg_lo:[1,0,0]
	v_pk_fma_f32 v[14:15], v[80:81], v[8:9], v[14:15] op_sel:[0,1,0]
	v_pk_fma_f32 v[4:5], v[24:25], v[8:9], v[4:5] op_sel:[1,1,0] op_sel_hi:[0,1,1] neg_lo:[1,0,0]
	v_pk_fma_f32 v[6:7], v[92:93], v[8:9], v[6:7] op_sel:[0,1,0]
	v_mov_b32_e32 v54, v11
	v_pk_fma_f32 v[8:9], v[0:1], v[10:11], v[12:13] op_sel_hi:[1,0,1]
	v_pk_fma_f32 v[2:3], v[2:3], v[10:11], v[14:15] op_sel_hi:[1,0,1]
	;; [unrolled: 1-line block ×4, first 2 shown]
	v_pk_fma_f32 v[0:1], v[0:1], v[54:55], v[8:9] op_sel:[1,0,0] op_sel_hi:[0,0,1] neg_lo:[1,0,0]
	v_pk_fma_f32 v[2:3], v[94:95], v[54:55], v[2:3] op_sel_hi:[1,0,1]
	v_pk_fma_f32 v[4:5], v[70:71], v[54:55], v[4:5] op_sel:[1,0,0] op_sel_hi:[0,0,1] neg_lo:[1,0,0]
	v_pk_fma_f32 v[6:7], v[44:45], v[54:55], v[6:7] op_sel_hi:[1,0,1]
	s_waitcnt vmcnt(0)
	v_pk_fma_f32 v[0:1], v[84:85], v[32:33], v[0:1] op_sel_hi:[1,0,1]
	v_pk_fma_f32 v[2:3], v[86:87], v[32:33], v[2:3] op_sel_hi:[1,0,1]
	;; [unrolled: 1-line block ×4, first 2 shown]
	v_pk_fma_f32 v[0:1], v[84:85], v[32:33], v[0:1] op_sel:[1,1,0] op_sel_hi:[0,1,1] neg_lo:[1,0,0]
	v_pk_fma_f32 v[2:3], v[96:97], v[32:33], v[2:3] op_sel:[0,1,0]
	v_pk_fma_f32 v[4:5], v[28:29], v[32:33], v[4:5] op_sel:[1,1,0] op_sel_hi:[0,1,1] neg_lo:[1,0,0]
	v_pk_fma_f32 v[6:7], v[46:47], v[32:33], v[6:7] op_sel:[0,1,0]
	v_mov_b32_e32 v48, v35
	v_pk_fma_f32 v[0:1], v[50:51], v[34:35], v[0:1] op_sel_hi:[1,0,1]
	v_pk_fma_f32 v[2:3], v[52:53], v[34:35], v[2:3] op_sel_hi:[1,0,1]
	;; [unrolled: 1-line block ×4, first 2 shown]
	v_pk_fma_f32 v[42:43], v[50:51], v[48:49], v[0:1] op_sel:[1,0,0] op_sel_hi:[0,0,1] neg_lo:[1,0,0]
	v_pk_fma_f32 v[34:35], v[40:41], v[48:49], v[2:3] op_sel_hi:[1,0,1]
	v_pk_fma_f32 v[40:41], v[88:89], v[48:49], v[4:5] op_sel:[1,0,0] op_sel_hi:[0,0,1] neg_lo:[1,0,0]
	v_pk_fma_f32 v[32:33], v[16:17], v[48:49], v[6:7] op_sel_hi:[1,0,1]
	s_andn2_b64 exec, exec, s[6:7]
	s_cbranch_execnz .LBB14_29
; %bb.30:
	s_or_b64 exec, exec, s[6:7]
.LBB14_31:
	s_or_b64 exec, exec, s[4:5]
.LBB14_32:
	s_or_b64 exec, exec, s[2:3]
.LBB14_33:
	v_mov_b32_dpp v6, v35 row_shr:1 row_mask:0xf bank_mask:0xf
	v_add_f32_e32 v6, v35, v6
	v_mov_b32_dpp v0, v42 row_shr:1 row_mask:0xf bank_mask:0xf
	v_mov_b32_dpp v2, v43 row_shr:1 row_mask:0xf bank_mask:0xf
	;; [unrolled: 1-line block ×3, first 2 shown]
	v_add_f32_e32 v6, v6, v7
	v_mov_b32_dpp v4, v34 row_shr:1 row_mask:0xf bank_mask:0xf
	v_add_f32_e32 v0, v42, v0
	v_mov_b32_dpp v7, v6 row_shr:4 row_mask:0xf bank_mask:0xe
	v_add_f32_e32 v6, v6, v7
	v_add_f32_e32 v2, v43, v2
	;; [unrolled: 1-line block ×3, first 2 shown]
	v_mov_b32_dpp v7, v6 row_shr:8 row_mask:0xf bank_mask:0xc
	v_add_f32_e32 v6, v6, v7
	v_mov_b32_dpp v1, v0 row_shr:2 row_mask:0xf bank_mask:0xf
	v_mov_b32_dpp v3, v2 row_shr:2 row_mask:0xf bank_mask:0xf
	v_mov_b32_dpp v7, v6 row_bcast:15 row_mask:0xa bank_mask:0xf
	v_add_f32_e32 v7, v6, v7
	v_mov_b32_dpp v6, v40 row_shr:1 row_mask:0xf bank_mask:0xf
	v_add_f32_e32 v6, v40, v6
	v_mov_b32_dpp v5, v4 row_shr:2 row_mask:0xf bank_mask:0xf
	;; [unrolled: 2-line block ×3, first 2 shown]
	v_add_f32_e32 v6, v6, v9
	v_add_f32_e32 v2, v2, v3
	;; [unrolled: 1-line block ×3, first 2 shown]
	v_mov_b32_dpp v9, v6 row_shr:4 row_mask:0xf bank_mask:0xe
	v_add_f32_e32 v6, v6, v9
	v_mov_b32_dpp v1, v0 row_shr:4 row_mask:0xf bank_mask:0xe
	v_mov_b32_dpp v3, v2 row_shr:4 row_mask:0xf bank_mask:0xe
	;; [unrolled: 1-line block ×3, first 2 shown]
	v_add_f32_e32 v6, v6, v9
	v_mov_b32_dpp v5, v4 row_shr:4 row_mask:0xf bank_mask:0xe
	v_add_f32_e32 v0, v0, v1
	v_mov_b32_dpp v9, v6 row_bcast:15 row_mask:0xa bank_mask:0xf
	v_add_f32_e32 v9, v6, v9
	v_mov_b32_dpp v6, v41 row_shr:1 row_mask:0xf bank_mask:0xf
	v_add_f32_e32 v6, v41, v6
	v_add_f32_e32 v2, v2, v3
	;; [unrolled: 1-line block ×3, first 2 shown]
	v_mov_b32_dpp v11, v6 row_shr:2 row_mask:0xf bank_mask:0xf
	v_add_f32_e32 v6, v6, v11
	v_mov_b32_dpp v1, v0 row_shr:8 row_mask:0xf bank_mask:0xc
	v_mov_b32_dpp v3, v2 row_shr:8 row_mask:0xf bank_mask:0xc
	;; [unrolled: 1-line block ×3, first 2 shown]
	v_add_f32_e32 v6, v6, v11
	v_mov_b32_dpp v5, v4 row_shr:8 row_mask:0xf bank_mask:0xc
	v_add_f32_e32 v0, v0, v1
	v_mov_b32_dpp v11, v6 row_shr:8 row_mask:0xf bank_mask:0xc
	v_add_f32_e32 v6, v6, v11
	v_add_f32_e32 v2, v2, v3
	;; [unrolled: 1-line block ×3, first 2 shown]
	v_mov_b32_dpp v11, v6 row_bcast:15 row_mask:0xa bank_mask:0xf
	v_add_f32_e32 v11, v6, v11
	v_mov_b32_dpp v6, v32 row_shr:1 row_mask:0xf bank_mask:0xf
	v_add_f32_e32 v6, v32, v6
	v_mov_b32_dpp v1, v0 row_bcast:15 row_mask:0xa bank_mask:0xf
	v_mov_b32_dpp v3, v2 row_bcast:15 row_mask:0xa bank_mask:0xf
	v_mov_b32_dpp v12, v6 row_shr:2 row_mask:0xf bank_mask:0xf
	v_add_f32_e32 v6, v6, v12
	v_mov_b32_dpp v5, v4 row_bcast:15 row_mask:0xa bank_mask:0xf
	v_add_f32_e32 v0, v0, v1
	v_mov_b32_dpp v12, v6 row_shr:4 row_mask:0xf bank_mask:0xe
	v_add_f32_e32 v6, v6, v12
	v_add_f32_e32 v2, v2, v3
	;; [unrolled: 1-line block ×3, first 2 shown]
	v_mov_b32_dpp v12, v6 row_shr:8 row_mask:0xf bank_mask:0xc
	v_add_f32_e32 v6, v6, v12
	v_mov_b32_dpp v1, v0 row_bcast:31 row_mask:0xc bank_mask:0xf
	v_mov_b32_dpp v3, v2 row_bcast:31 row_mask:0xc bank_mask:0xf
	v_mov_b32_dpp v12, v6 row_bcast:15 row_mask:0xa bank_mask:0xf
	v_add_f32_e32 v15, v6, v12
	v_mov_b32_dpp v6, v33 row_shr:1 row_mask:0xf bank_mask:0xf
	v_add_f32_e32 v6, v33, v6
	v_mov_b32_dpp v5, v4 row_bcast:31 row_mask:0xc bank_mask:0xf
	v_mov_b32_dpp v8, v7 row_bcast:31 row_mask:0xc bank_mask:0xf
	v_mov_b32_dpp v12, v6 row_shr:2 row_mask:0xf bank_mask:0xf
	v_add_f32_e32 v6, v6, v12
	v_mov_b32_dpp v10, v9 row_bcast:31 row_mask:0xc bank_mask:0xf
	v_mov_b32_dpp v13, v11 row_bcast:31 row_mask:0xc bank_mask:0xf
	v_mov_b32_dpp v12, v6 row_shr:4 row_mask:0xf bank_mask:0xe
	v_add_f32_e32 v6, v6, v12
	v_mov_b32_dpp v16, v15 row_bcast:31 row_mask:0xc bank_mask:0xf
	v_cmp_eq_u32_e32 vcc, 63, v61
	v_mov_b32_dpp v12, v6 row_shr:8 row_mask:0xf bank_mask:0xc
	v_add_f32_e32 v6, v6, v12
	s_nop 1
	v_mov_b32_dpp v12, v6 row_bcast:15 row_mask:0xa bank_mask:0xf
	v_add_f32_e32 v17, v6, v12
	s_nop 1
	v_mov_b32_dpp v18, v17 row_bcast:31 row_mask:0xc bank_mask:0xf
	s_and_b64 exec, exec, vcc
	s_cbranch_execz .LBB14_6
; %bb.34:
	s_load_dwordx2 s[0:1], s[0:1], 0x50
	v_cmp_eq_f32_e32 vcc, 0, v58
	s_xor_b64 s[2:3], s[8:9], -1
	v_add_f32_e32 v6, v0, v1
	v_add_f32_e32 v14, v2, v3
	;; [unrolled: 1-line block ×8, first 2 shown]
	s_and_b64 s[2:3], vcc, s[2:3]
	v_lshlrev_b32_e32 v16, 2, v60
	s_and_saveexec_b64 s[4:5], s[2:3]
	s_xor_b64 s[2:3], exec, s[4:5]
	s_cbranch_execz .LBB14_36
; %bb.35:
	v_xor_b32_e32 v18, 0x80000000, v57
	v_mov_b32_e32 v19, v56
	v_pk_mul_f32 v[14:15], v[14:15], v[18:19] op_sel_hi:[0,1]
	v_ashrrev_i32_e32 v17, 31, v16
	v_pk_fma_f32 v[14:15], v[56:57], v[6:7], v[14:15] op_sel_hi:[1,0,1]
	v_pk_mul_f32 v[6:7], v[12:13], v[18:19] op_sel_hi:[0,1]
	s_waitcnt lgkmcnt(0)
	v_lshl_add_u64 v[20:21], v[16:17], 3, s[0:1]
	v_pk_fma_f32 v[16:17], v[56:57], v[4:5], v[6:7] op_sel_hi:[1,0,1]
	v_pk_mul_f32 v[4:5], v[10:11], v[18:19] op_sel_hi:[0,1]
	v_pk_fma_f32 v[2:3], v[56:57], v[2:3], v[4:5] op_sel_hi:[1,0,1]
	v_pk_mul_f32 v[4:5], v[8:9], v[18:19] op_sel_hi:[0,1]
	v_pk_fma_f32 v[4:5], v[56:57], v[0:1], v[4:5] op_sel_hi:[1,0,1]
	global_store_dwordx4 v[20:21], v[14:17], off
	global_store_dwordx4 v[20:21], v[2:5], off offset:16
                                        ; implicit-def: $vgpr6
                                        ; implicit-def: $vgpr14
                                        ; implicit-def: $vgpr4
                                        ; implicit-def: $vgpr12
                                        ; implicit-def: $vgpr2
                                        ; implicit-def: $vgpr10
                                        ; implicit-def: $vgpr0
                                        ; implicit-def: $vgpr8
                                        ; implicit-def: $vgpr56_vgpr57
                                        ; implicit-def: $vgpr58_vgpr59
                                        ; implicit-def: $vgpr16
.LBB14_36:
	s_andn2_saveexec_b64 s[2:3], s[2:3]
	s_cbranch_execz .LBB14_6
; %bb.37:
	v_ashrrev_i32_e32 v17, 31, v16
	s_waitcnt lgkmcnt(0)
	v_lshl_add_u64 v[24:25], v[16:17], 3, s[0:1]
	global_load_dwordx4 v[16:19], v[24:25], off
	global_load_dwordx4 v[20:23], v[24:25], off offset:16
	v_xor_b32_e32 v26, 0x80000000, v57
	v_mov_b32_e32 v27, v56
	v_pk_mul_f32 v[14:15], v[14:15], v[26:27] op_sel_hi:[0,1]
	v_pk_mul_f32 v[12:13], v[12:13], v[26:27] op_sel_hi:[0,1]
	;; [unrolled: 1-line block ×4, first 2 shown]
	v_pk_fma_f32 v[6:7], v[56:57], v[6:7], v[14:15] op_sel_hi:[1,0,1]
	v_pk_fma_f32 v[4:5], v[56:57], v[4:5], v[12:13] op_sel_hi:[1,0,1]
	v_xor_b32_e32 v28, 0x80000000, v59
	v_mov_b32_e32 v29, v58
	v_pk_fma_f32 v[2:3], v[56:57], v[2:3], v[10:11] op_sel_hi:[1,0,1]
	v_pk_fma_f32 v[0:1], v[56:57], v[0:1], v[8:9] op_sel_hi:[1,0,1]
	s_waitcnt vmcnt(1)
	v_pk_fma_f32 v[6:7], v[58:59], v[16:17], v[6:7] op_sel_hi:[1,0,1]
	v_pk_fma_f32 v[4:5], v[58:59], v[18:19], v[4:5] op_sel_hi:[1,0,1]
	v_mov_b32_e32 v8, v19
	s_waitcnt vmcnt(0)
	v_pk_fma_f32 v[10:11], v[58:59], v[20:21], v[2:3] op_sel_hi:[1,0,1]
	v_pk_fma_f32 v[12:13], v[58:59], v[22:23], v[0:1] op_sel_hi:[1,0,1]
	v_mov_b32_e32 v14, v23
	v_pk_fma_f32 v[0:1], v[28:29], v[16:17], v[6:7] op_sel:[0,1,0]
	v_pk_fma_f32 v[2:3], v[28:29], v[8:9], v[4:5] op_sel_hi:[1,0,1]
	v_pk_fma_f32 v[4:5], v[28:29], v[20:21], v[10:11] op_sel:[0,1,0]
	v_pk_fma_f32 v[6:7], v[28:29], v[14:15], v[12:13] op_sel_hi:[1,0,1]
	global_store_dwordx4 v[24:25], v[0:3], off
	global_store_dwordx4 v[24:25], v[4:7], off offset:16
	s_endpgm
	.section	.rodata,"a",@progbits
	.p2align	6, 0x0
	.amdhsa_kernel _ZN9rocsparseL18bsrxmvn_4x4_kernelILj128ELj64E21rocsparse_complex_numIfEiiS2_S2_S2_EEvT3_20rocsparse_direction_NS_24const_host_device_scalarIT1_EES3_PKS3_PKT2_SC_S9_PKT4_PKT5_S7_PT6_21rocsparse_index_base_b
		.amdhsa_group_segment_fixed_size 0
		.amdhsa_private_segment_fixed_size 0
		.amdhsa_kernarg_size 96
		.amdhsa_user_sgpr_count 2
		.amdhsa_user_sgpr_dispatch_ptr 0
		.amdhsa_user_sgpr_queue_ptr 0
		.amdhsa_user_sgpr_kernarg_segment_ptr 1
		.amdhsa_user_sgpr_dispatch_id 0
		.amdhsa_user_sgpr_kernarg_preload_length 0
		.amdhsa_user_sgpr_kernarg_preload_offset 0
		.amdhsa_user_sgpr_private_segment_size 0
		.amdhsa_uses_dynamic_stack 0
		.amdhsa_enable_private_segment 0
		.amdhsa_system_sgpr_workgroup_id_x 1
		.amdhsa_system_sgpr_workgroup_id_y 0
		.amdhsa_system_sgpr_workgroup_id_z 0
		.amdhsa_system_sgpr_workgroup_info 0
		.amdhsa_system_vgpr_workitem_id 0
		.amdhsa_next_free_vgpr 104
		.amdhsa_next_free_sgpr 32
		.amdhsa_accum_offset 104
		.amdhsa_reserve_vcc 1
		.amdhsa_float_round_mode_32 0
		.amdhsa_float_round_mode_16_64 0
		.amdhsa_float_denorm_mode_32 3
		.amdhsa_float_denorm_mode_16_64 3
		.amdhsa_dx10_clamp 1
		.amdhsa_ieee_mode 1
		.amdhsa_fp16_overflow 0
		.amdhsa_tg_split 0
		.amdhsa_exception_fp_ieee_invalid_op 0
		.amdhsa_exception_fp_denorm_src 0
		.amdhsa_exception_fp_ieee_div_zero 0
		.amdhsa_exception_fp_ieee_overflow 0
		.amdhsa_exception_fp_ieee_underflow 0
		.amdhsa_exception_fp_ieee_inexact 0
		.amdhsa_exception_int_div_zero 0
	.end_amdhsa_kernel
	.section	.text._ZN9rocsparseL18bsrxmvn_4x4_kernelILj128ELj64E21rocsparse_complex_numIfEiiS2_S2_S2_EEvT3_20rocsparse_direction_NS_24const_host_device_scalarIT1_EES3_PKS3_PKT2_SC_S9_PKT4_PKT5_S7_PT6_21rocsparse_index_base_b,"axG",@progbits,_ZN9rocsparseL18bsrxmvn_4x4_kernelILj128ELj64E21rocsparse_complex_numIfEiiS2_S2_S2_EEvT3_20rocsparse_direction_NS_24const_host_device_scalarIT1_EES3_PKS3_PKT2_SC_S9_PKT4_PKT5_S7_PT6_21rocsparse_index_base_b,comdat
.Lfunc_end14:
	.size	_ZN9rocsparseL18bsrxmvn_4x4_kernelILj128ELj64E21rocsparse_complex_numIfEiiS2_S2_S2_EEvT3_20rocsparse_direction_NS_24const_host_device_scalarIT1_EES3_PKS3_PKT2_SC_S9_PKT4_PKT5_S7_PT6_21rocsparse_index_base_b, .Lfunc_end14-_ZN9rocsparseL18bsrxmvn_4x4_kernelILj128ELj64E21rocsparse_complex_numIfEiiS2_S2_S2_EEvT3_20rocsparse_direction_NS_24const_host_device_scalarIT1_EES3_PKS3_PKT2_SC_S9_PKT4_PKT5_S7_PT6_21rocsparse_index_base_b
                                        ; -- End function
	.set _ZN9rocsparseL18bsrxmvn_4x4_kernelILj128ELj64E21rocsparse_complex_numIfEiiS2_S2_S2_EEvT3_20rocsparse_direction_NS_24const_host_device_scalarIT1_EES3_PKS3_PKT2_SC_S9_PKT4_PKT5_S7_PT6_21rocsparse_index_base_b.num_vgpr, 104
	.set _ZN9rocsparseL18bsrxmvn_4x4_kernelILj128ELj64E21rocsparse_complex_numIfEiiS2_S2_S2_EEvT3_20rocsparse_direction_NS_24const_host_device_scalarIT1_EES3_PKS3_PKT2_SC_S9_PKT4_PKT5_S7_PT6_21rocsparse_index_base_b.num_agpr, 0
	.set _ZN9rocsparseL18bsrxmvn_4x4_kernelILj128ELj64E21rocsparse_complex_numIfEiiS2_S2_S2_EEvT3_20rocsparse_direction_NS_24const_host_device_scalarIT1_EES3_PKS3_PKT2_SC_S9_PKT4_PKT5_S7_PT6_21rocsparse_index_base_b.numbered_sgpr, 32
	.set _ZN9rocsparseL18bsrxmvn_4x4_kernelILj128ELj64E21rocsparse_complex_numIfEiiS2_S2_S2_EEvT3_20rocsparse_direction_NS_24const_host_device_scalarIT1_EES3_PKS3_PKT2_SC_S9_PKT4_PKT5_S7_PT6_21rocsparse_index_base_b.num_named_barrier, 0
	.set _ZN9rocsparseL18bsrxmvn_4x4_kernelILj128ELj64E21rocsparse_complex_numIfEiiS2_S2_S2_EEvT3_20rocsparse_direction_NS_24const_host_device_scalarIT1_EES3_PKS3_PKT2_SC_S9_PKT4_PKT5_S7_PT6_21rocsparse_index_base_b.private_seg_size, 0
	.set _ZN9rocsparseL18bsrxmvn_4x4_kernelILj128ELj64E21rocsparse_complex_numIfEiiS2_S2_S2_EEvT3_20rocsparse_direction_NS_24const_host_device_scalarIT1_EES3_PKS3_PKT2_SC_S9_PKT4_PKT5_S7_PT6_21rocsparse_index_base_b.uses_vcc, 1
	.set _ZN9rocsparseL18bsrxmvn_4x4_kernelILj128ELj64E21rocsparse_complex_numIfEiiS2_S2_S2_EEvT3_20rocsparse_direction_NS_24const_host_device_scalarIT1_EES3_PKS3_PKT2_SC_S9_PKT4_PKT5_S7_PT6_21rocsparse_index_base_b.uses_flat_scratch, 0
	.set _ZN9rocsparseL18bsrxmvn_4x4_kernelILj128ELj64E21rocsparse_complex_numIfEiiS2_S2_S2_EEvT3_20rocsparse_direction_NS_24const_host_device_scalarIT1_EES3_PKS3_PKT2_SC_S9_PKT4_PKT5_S7_PT6_21rocsparse_index_base_b.has_dyn_sized_stack, 0
	.set _ZN9rocsparseL18bsrxmvn_4x4_kernelILj128ELj64E21rocsparse_complex_numIfEiiS2_S2_S2_EEvT3_20rocsparse_direction_NS_24const_host_device_scalarIT1_EES3_PKS3_PKT2_SC_S9_PKT4_PKT5_S7_PT6_21rocsparse_index_base_b.has_recursion, 0
	.set _ZN9rocsparseL18bsrxmvn_4x4_kernelILj128ELj64E21rocsparse_complex_numIfEiiS2_S2_S2_EEvT3_20rocsparse_direction_NS_24const_host_device_scalarIT1_EES3_PKS3_PKT2_SC_S9_PKT4_PKT5_S7_PT6_21rocsparse_index_base_b.has_indirect_call, 0
	.section	.AMDGPU.csdata,"",@progbits
; Kernel info:
; codeLenInByte = 7148
; TotalNumSgprs: 38
; NumVgprs: 104
; NumAgprs: 0
; TotalNumVgprs: 104
; ScratchSize: 0
; MemoryBound: 0
; FloatMode: 240
; IeeeMode: 1
; LDSByteSize: 0 bytes/workgroup (compile time only)
; SGPRBlocks: 4
; VGPRBlocks: 12
; NumSGPRsForWavesPerEU: 38
; NumVGPRsForWavesPerEU: 104
; AccumOffset: 104
; Occupancy: 4
; WaveLimiterHint : 1
; COMPUTE_PGM_RSRC2:SCRATCH_EN: 0
; COMPUTE_PGM_RSRC2:USER_SGPR: 2
; COMPUTE_PGM_RSRC2:TRAP_HANDLER: 0
; COMPUTE_PGM_RSRC2:TGID_X_EN: 1
; COMPUTE_PGM_RSRC2:TGID_Y_EN: 0
; COMPUTE_PGM_RSRC2:TGID_Z_EN: 0
; COMPUTE_PGM_RSRC2:TIDIG_COMP_CNT: 0
; COMPUTE_PGM_RSRC3_GFX90A:ACCUM_OFFSET: 25
; COMPUTE_PGM_RSRC3_GFX90A:TG_SPLIT: 0
	.section	.text._ZN9rocsparseL18bsrxmvn_4x4_kernelILj128ELj4E21rocsparse_complex_numIdEiiS2_S2_S2_EEvT3_20rocsparse_direction_NS_24const_host_device_scalarIT1_EES3_PKS3_PKT2_SC_S9_PKT4_PKT5_S7_PT6_21rocsparse_index_base_b,"axG",@progbits,_ZN9rocsparseL18bsrxmvn_4x4_kernelILj128ELj4E21rocsparse_complex_numIdEiiS2_S2_S2_EEvT3_20rocsparse_direction_NS_24const_host_device_scalarIT1_EES3_PKS3_PKT2_SC_S9_PKT4_PKT5_S7_PT6_21rocsparse_index_base_b,comdat
	.globl	_ZN9rocsparseL18bsrxmvn_4x4_kernelILj128ELj4E21rocsparse_complex_numIdEiiS2_S2_S2_EEvT3_20rocsparse_direction_NS_24const_host_device_scalarIT1_EES3_PKS3_PKT2_SC_S9_PKT4_PKT5_S7_PT6_21rocsparse_index_base_b ; -- Begin function _ZN9rocsparseL18bsrxmvn_4x4_kernelILj128ELj4E21rocsparse_complex_numIdEiiS2_S2_S2_EEvT3_20rocsparse_direction_NS_24const_host_device_scalarIT1_EES3_PKS3_PKT2_SC_S9_PKT4_PKT5_S7_PT6_21rocsparse_index_base_b
	.p2align	8
	.type	_ZN9rocsparseL18bsrxmvn_4x4_kernelILj128ELj4E21rocsparse_complex_numIdEiiS2_S2_S2_EEvT3_20rocsparse_direction_NS_24const_host_device_scalarIT1_EES3_PKS3_PKT2_SC_S9_PKT4_PKT5_S7_PT6_21rocsparse_index_base_b,@function
_ZN9rocsparseL18bsrxmvn_4x4_kernelILj128ELj4E21rocsparse_complex_numIdEiiS2_S2_S2_EEvT3_20rocsparse_direction_NS_24const_host_device_scalarIT1_EES3_PKS3_PKT2_SC_S9_PKT4_PKT5_S7_PT6_21rocsparse_index_base_b: ; @_ZN9rocsparseL18bsrxmvn_4x4_kernelILj128ELj4E21rocsparse_complex_numIdEiiS2_S2_S2_EEvT3_20rocsparse_direction_NS_24const_host_device_scalarIT1_EES3_PKS3_PKT2_SC_S9_PKT4_PKT5_S7_PT6_21rocsparse_index_base_b
; %bb.0:
	s_load_dwordx2 s[4:5], s[0:1], 0x8
	s_load_dwordx2 s[12:13], s[0:1], 0x68
	s_add_u32 s3, s0, 8
	s_addc_u32 s8, s1, 0
	s_add_u32 s9, s0, 0x50
	s_load_dwordx2 s[6:7], s[0:1], 0x50
	s_addc_u32 s10, s1, 0
	s_waitcnt lgkmcnt(0)
	s_bitcmp1_b32 s13, 0
	s_cselect_b32 s5, s8, s5
	s_cselect_b32 s3, s3, s4
	v_mov_b32_e32 v2, s3
	v_mov_b32_e32 v3, s5
	flat_load_dwordx4 v[6:9], v[2:3]
	s_cselect_b32 s3, s10, s7
	s_cselect_b32 s4, s9, s6
	v_mov_b32_e32 v2, s4
	v_mov_b32_e32 v3, s3
	flat_load_dwordx4 v[2:5], v[2:3]
	s_waitcnt vmcnt(0) lgkmcnt(0)
	v_cmp_eq_f64_e32 vcc, 0, v[6:7]
	v_cmp_eq_f64_e64 s[4:5], 0, v[8:9]
	s_and_b64 s[8:9], vcc, s[4:5]
	s_mov_b64 s[4:5], -1
	s_and_saveexec_b64 s[6:7], s[8:9]
; %bb.1:
	v_cmp_neq_f64_e32 vcc, 1.0, v[2:3]
	v_cmp_neq_f64_e64 s[4:5], 0, v[4:5]
	s_or_b64 s[4:5], vcc, s[4:5]
	s_orn2_b64 s[4:5], s[4:5], exec
; %bb.2:
	s_or_b64 exec, exec, s[6:7]
	s_and_saveexec_b64 s[6:7], s[4:5]
	s_cbranch_execz .LBB15_8
; %bb.3:
	s_load_dwordx2 s[4:5], s[0:1], 0x20
	s_load_dwordx2 s[14:15], s[0:1], 0x0
	v_lshrrev_b32_e32 v1, 2, v0
	v_lshl_or_b32 v70, s2, 5, v1
	s_mov_b64 s[2:3], 0
	s_waitcnt lgkmcnt(0)
	s_cmp_lg_u64 s[4:5], 0
	s_cbranch_scc0 .LBB15_9
; %bb.4:
	s_load_dword s6, s[0:1], 0x18
                                        ; implicit-def: $vgpr1
	s_waitcnt lgkmcnt(0)
	v_cmp_gt_i32_e32 vcc, s6, v70
	s_and_saveexec_b64 s[6:7], vcc
	s_xor_b64 s[6:7], exec, s[6:7]
	s_cbranch_execz .LBB15_6
; %bb.5:
	v_ashrrev_i32_e32 v71, 31, v70
	v_lshl_add_u64 v[10:11], v[70:71], 2, s[4:5]
	global_load_dword v1, v[10:11], off
	s_mov_b64 s[2:3], exec
	s_waitcnt vmcnt(0)
	v_subrev_u32_e32 v1, s12, v1
.LBB15_6:
	s_or_b64 exec, exec, s[6:7]
	s_branch .LBB15_10
.LBB15_7:
	v_cmp_gt_i32_e32 vcc, s14, v70
	s_andn2_b64 s[2:3], s[2:3], exec
	s_and_b64 s[4:5], vcc, exec
	s_or_b64 s[2:3], s[2:3], s[4:5]
	s_and_b64 exec, exec, s[2:3]
	s_cbranch_execnz .LBB15_11
.LBB15_8:
	s_endpgm
.LBB15_9:
                                        ; implicit-def: $vgpr1
	s_cbranch_execnz .LBB15_7
.LBB15_10:
	v_mov_b32_e32 v70, v1
	s_and_b64 exec, exec, s[2:3]
	s_cbranch_execz .LBB15_8
.LBB15_11:
	s_load_dwordx8 s[4:11], s[0:1], 0x28
	v_ashrrev_i32_e32 v71, 31, v70
	v_lshlrev_b64 v[10:11], 2, v[70:71]
	v_and_b32_e32 v71, 3, v0
	s_waitcnt lgkmcnt(0)
	v_lshl_add_u64 v[12:13], s[4:5], 0, v[10:11]
	s_cmp_eq_u64 s[6:7], 0
	global_load_dword v40, v[12:13], off
	v_lshl_add_u64 v[12:13], v[12:13], 0, 4
	v_lshl_add_u64 v[10:11], s[6:7], 0, v[10:11]
	s_cselect_b64 vcc, -1, 0
	v_cndmask_b32_e32 v11, v11, v13, vcc
	v_cndmask_b32_e32 v10, v10, v12, vcc
	global_load_dword v1, v[10:11], off
	s_load_dwordx2 s[4:5], s[0:1], 0x48
	s_cmp_eq_u32 s15, 1
	s_waitcnt vmcnt(1)
	v_subrev_u32_e32 v0, s12, v40
	v_add_u32_e32 v72, v0, v71
	v_ashrrev_i32_e32 v73, 31, v72
	s_waitcnt vmcnt(0)
	v_subrev_u32_e32 v92, s12, v1
	v_lshlrev_b64 v[0:1], 8, v[72:73]
	v_lshl_add_u64 v[74:75], s[10:11], 0, v[0:1]
	v_cmp_lt_i32_e64 s[2:3], v72, v92
	s_cbranch_scc1 .LBB15_23
; %bb.12:
	v_mov_b64_e32 v[76:77], 0
	v_mov_b64_e32 v[84:85], 0
	;; [unrolled: 1-line block ×8, first 2 shown]
	s_and_saveexec_b64 s[6:7], s[2:3]
	s_cbranch_execz .LBB15_22
; %bb.13:
	v_add_u32_e32 v0, v40, v71
	v_subrev_u32_e32 v0, s12, v0
	v_add_u32_e32 v0, 4, v0
	v_max_i32_e32 v0, v0, v92
	v_not_b32_e32 v1, v40
	v_add3_u32 v0, s12, v0, v1
	v_sub_u32_e32 v14, v0, v71
	v_and_b32_e32 v0, 12, v14
	v_cmp_ne_u32_e32 vcc, 12, v0
	v_mov_b64_e32 v[80:81], 0
	v_mov_b64_e32 v[68:69], 0
	;; [unrolled: 1-line block ×9, first 2 shown]
	v_mov_b32_e32 v26, v72
	s_and_saveexec_b64 s[10:11], vcc
	s_cbranch_execz .LBB15_17
; %bb.14:
	v_lshrrev_b32_e32 v0, 2, v14
	v_add_u32_e32 v0, 1, v0
	v_and_b32_e32 v0, 3, v0
	v_sub_u32_e32 v15, 0, v0
	v_mov_b64_e32 v[76:77], 0
	s_mov_b64 s[14:15], 0
	s_mov_b64 s[16:17], 0x400
	v_mov_b32_e32 v26, v72
	v_mov_b64_e32 v[28:29], v[74:75]
	v_mov_b64_e32 v[84:85], 0
	;; [unrolled: 1-line block ×8, first 2 shown]
.LBB15_15:                              ; =>This Inner Loop Header: Depth=1
	v_ashrrev_i32_e32 v27, 31, v26
	v_lshl_add_u64 v[24:25], v[26:27], 2, s[8:9]
	global_load_dwordx4 v[10:13], v[28:29], off offset:16
	global_load_dwordx4 v[16:19], v[28:29], off
	global_load_dwordx4 v[20:23], v[28:29], off offset:80
	global_load_dwordx4 v[30:33], v[28:29], off offset:64
	;; [unrolled: 1-line block ×13, first 2 shown]
	v_add_co_u32_e32 v15, vcc, 1, v15
	global_load_dword v24, v[24:25], off
	v_add_u32_e32 v26, 4, v26
	s_or_b64 s[14:15], vcc, s[14:15]
	s_waitcnt vmcnt(0)
	v_subrev_u32_e32 v24, s12, v24
	v_lshlrev_b32_e32 v24, 2, v24
	v_ashrrev_i32_e32 v25, 31, v24
	s_waitcnt lgkmcnt(0)
	v_lshl_add_u64 v[24:25], v[24:25], 4, s[4:5]
	global_load_dwordx4 v[106:109], v[24:25], off
	global_load_dwordx4 v[110:113], v[24:25], off offset:16
	s_waitcnt vmcnt(1)
	v_fmac_f64_e32 v[84:85], v[16:17], v[106:107]
	v_fmac_f64_e32 v[76:77], v[18:19], v[106:107]
	;; [unrolled: 1-line block ×4, first 2 shown]
	v_fma_f64 v[38:39], -v[18:19], v[108:109], v[84:85]
	v_fmac_f64_e32 v[76:77], v[16:17], v[108:109]
	global_load_dwordx4 v[16:19], v[28:29], off offset:224
	v_fma_f64 v[68:69], -v[32:33], v[108:109], v[68:69]
	v_fmac_f64_e32 v[80:81], v[30:31], v[108:109]
	global_load_dwordx4 v[30:33], v[24:25], off offset:32
	v_fmac_f64_e32 v[82:83], v[42:43], v[106:107]
	v_fmac_f64_e32 v[78:79], v[44:45], v[106:107]
	v_fma_f64 v[82:83], -v[44:45], v[108:109], v[82:83]
	v_fmac_f64_e32 v[78:79], v[42:43], v[108:109]
	global_load_dwordx4 v[42:45], v[24:25], off offset:48
	v_fmac_f64_e32 v[66:67], v[50:51], v[106:107]
	v_fmac_f64_e32 v[0:1], v[52:53], v[106:107]
	v_fma_f64 v[24:25], -v[52:53], v[108:109], v[66:67]
	v_fmac_f64_e32 v[0:1], v[50:51], v[108:109]
	s_waitcnt vmcnt(3)
	v_fmac_f64_e32 v[38:39], v[10:11], v[110:111]
	v_fmac_f64_e32 v[76:77], v[12:13], v[110:111]
	;; [unrolled: 1-line block ×8, first 2 shown]
	v_fma_f64 v[12:13], -v[12:13], v[112:113], v[38:39]
	v_fmac_f64_e32 v[76:77], v[10:11], v[112:113]
	v_fma_f64 v[10:11], -v[22:23], v[112:113], v[68:69]
	v_fmac_f64_e32 v[80:81], v[20:21], v[112:113]
	;; [unrolled: 2-line block ×4, first 2 shown]
	v_lshl_add_u64 v[28:29], v[28:29], 0, s[16:17]
	s_waitcnt vmcnt(1)
	v_fmac_f64_e32 v[12:13], v[58:59], v[30:31]
	v_fmac_f64_e32 v[76:77], v[60:61], v[30:31]
	;; [unrolled: 1-line block ×8, first 2 shown]
	v_fma_f64 v[12:13], -v[60:61], v[32:33], v[12:13]
	v_fmac_f64_e32 v[76:77], v[58:59], v[32:33]
	v_fma_f64 v[10:11], -v[88:89], v[32:33], v[10:11]
	v_fmac_f64_e32 v[80:81], v[86:87], v[32:33]
	;; [unrolled: 2-line block ×4, first 2 shown]
	s_waitcnt vmcnt(0)
	v_fmac_f64_e32 v[12:13], v[54:55], v[42:43]
	v_fmac_f64_e32 v[76:77], v[56:57], v[42:43]
	;; [unrolled: 1-line block ×8, first 2 shown]
	v_fma_f64 v[84:85], -v[56:57], v[44:45], v[12:13]
	v_fmac_f64_e32 v[76:77], v[54:55], v[44:45]
	v_fma_f64 v[68:69], -v[64:65], v[44:45], v[10:11]
	v_fmac_f64_e32 v[80:81], v[62:63], v[44:45]
	;; [unrolled: 2-line block ×4, first 2 shown]
	s_andn2_b64 exec, exec, s[14:15]
	s_cbranch_execnz .LBB15_15
; %bb.16:
	s_or_b64 exec, exec, s[14:15]
.LBB15_17:
	s_or_b64 exec, exec, s[10:11]
	v_cmp_lt_u32_e32 vcc, 11, v14
	s_and_saveexec_b64 s[10:11], vcc
	s_cbranch_execz .LBB15_21
; %bb.18:
	s_mov_b64 s[14:15], 0
	s_mov_b64 s[16:17], 0x1000
.LBB15_19:                              ; =>This Inner Loop Header: Depth=1
	v_ashrrev_i32_e32 v27, 31, v26
	v_lshl_add_u64 v[30:31], v[26:27], 2, s[8:9]
	global_load_dword v10, v[30:31], off
	global_load_dwordx4 v[34:37], v[28:29], off offset:48
	global_load_dwordx4 v[42:45], v[28:29], off offset:32
	;; [unrolled: 1-line block ×3, first 2 shown]
	global_load_dwordx4 v[50:53], v[28:29], off
	v_add_u32_e32 v26, 16, v26
	v_cmp_ge_i32_e32 vcc, v26, v92
	s_or_b64 s[14:15], vcc, s[14:15]
	s_waitcnt vmcnt(4)
	v_subrev_u32_e32 v10, s12, v10
	v_lshlrev_b32_e32 v10, 2, v10
	v_ashrrev_i32_e32 v11, 31, v10
	s_waitcnt lgkmcnt(0)
	v_lshl_add_u64 v[32:33], v[10:11], 4, s[4:5]
	global_load_dwordx4 v[10:13], v[32:33], off offset:48
	global_load_dwordx4 v[14:17], v[32:33], off offset:32
	;; [unrolled: 1-line block ×3, first 2 shown]
	global_load_dwordx4 v[22:25], v[32:33], off
	s_waitcnt vmcnt(0)
	v_fmac_f64_e32 v[84:85], v[50:51], v[22:23]
	v_fma_f64 v[32:33], -v[52:53], v[24:25], v[84:85]
	v_fmac_f64_e32 v[76:77], v[52:53], v[22:23]
	v_fmac_f64_e32 v[76:77], v[50:51], v[24:25]
	v_fmac_f64_e32 v[32:33], v[46:47], v[18:19]
	v_fma_f64 v[32:33], -v[48:49], v[20:21], v[32:33]
	v_fmac_f64_e32 v[76:77], v[48:49], v[18:19]
	v_fmac_f64_e32 v[76:77], v[46:47], v[20:21]
	;; [unrolled: 4-line block ×3, first 2 shown]
	v_fmac_f64_e32 v[32:33], v[34:35], v[10:11]
	v_fma_f64 v[32:33], -v[36:37], v[12:13], v[32:33]
	v_fmac_f64_e32 v[76:77], v[36:37], v[10:11]
	global_load_dwordx4 v[36:39], v[28:29], off offset:112
	global_load_dwordx4 v[42:45], v[28:29], off offset:96
	;; [unrolled: 1-line block ×4, first 2 shown]
	v_fmac_f64_e32 v[76:77], v[34:35], v[12:13]
	s_waitcnt vmcnt(0)
	v_fmac_f64_e32 v[68:69], v[50:51], v[22:23]
	v_fmac_f64_e32 v[80:81], v[52:53], v[22:23]
	v_fma_f64 v[34:35], -v[52:53], v[24:25], v[68:69]
	v_fmac_f64_e32 v[80:81], v[50:51], v[24:25]
	v_fmac_f64_e32 v[34:35], v[46:47], v[18:19]
	v_fmac_f64_e32 v[80:81], v[48:49], v[18:19]
	v_fma_f64 v[34:35], -v[48:49], v[20:21], v[34:35]
	v_fmac_f64_e32 v[80:81], v[46:47], v[20:21]
	v_fmac_f64_e32 v[34:35], v[42:43], v[14:15]
	v_fmac_f64_e32 v[80:81], v[44:45], v[14:15]
	v_fma_f64 v[34:35], -v[44:45], v[16:17], v[34:35]
	v_fmac_f64_e32 v[80:81], v[42:43], v[16:17]
	v_fmac_f64_e32 v[34:35], v[36:37], v[10:11]
	v_fmac_f64_e32 v[80:81], v[38:39], v[10:11]
	v_fma_f64 v[34:35], -v[38:39], v[12:13], v[34:35]
	v_fmac_f64_e32 v[80:81], v[36:37], v[12:13]
	global_load_dwordx4 v[42:45], v[28:29], off offset:176
	global_load_dwordx4 v[36:39], v[28:29], off offset:160
	;; [unrolled: 1-line block ×4, first 2 shown]
	s_waitcnt vmcnt(0)
	v_fmac_f64_e32 v[82:83], v[50:51], v[22:23]
	v_fmac_f64_e32 v[78:79], v[52:53], v[22:23]
	v_fma_f64 v[54:55], -v[52:53], v[24:25], v[82:83]
	v_fmac_f64_e32 v[78:79], v[50:51], v[24:25]
	v_fmac_f64_e32 v[54:55], v[46:47], v[18:19]
	v_fmac_f64_e32 v[78:79], v[48:49], v[18:19]
	v_fma_f64 v[50:51], -v[48:49], v[20:21], v[54:55]
	v_fmac_f64_e32 v[78:79], v[46:47], v[20:21]
	;; [unrolled: 4-line block ×4, first 2 shown]
	global_load_dwordx4 v[42:45], v[28:29], off offset:240
	global_load_dwordx4 v[46:49], v[28:29], off offset:224
	global_load_dwordx4 v[50:53], v[28:29], off offset:208
	global_load_dwordx4 v[54:57], v[28:29], off offset:192
	s_waitcnt vmcnt(0)
	v_fmac_f64_e32 v[66:67], v[54:55], v[22:23]
	v_fmac_f64_e32 v[0:1], v[56:57], v[22:23]
	v_fma_f64 v[38:39], -v[56:57], v[24:25], v[66:67]
	v_fmac_f64_e32 v[0:1], v[54:55], v[24:25]
	v_fmac_f64_e32 v[38:39], v[50:51], v[18:19]
	v_fmac_f64_e32 v[0:1], v[52:53], v[18:19]
	v_fma_f64 v[22:23], -v[52:53], v[20:21], v[38:39]
	v_fmac_f64_e32 v[0:1], v[50:51], v[20:21]
	;; [unrolled: 4-line block ×3, first 2 shown]
	v_fmac_f64_e32 v[18:19], v[42:43], v[10:11]
	v_fmac_f64_e32 v[0:1], v[44:45], v[10:11]
	global_load_dword v10, v[30:31], off offset:16
	v_fma_f64 v[62:63], -v[44:45], v[12:13], v[18:19]
	v_fmac_f64_e32 v[0:1], v[42:43], v[12:13]
	global_load_dwordx4 v[12:15], v[28:29], off offset:1072
	global_load_dwordx4 v[16:19], v[28:29], off offset:1056
	;; [unrolled: 1-line block ×4, first 2 shown]
	s_waitcnt vmcnt(4)
	v_subrev_u32_e32 v10, s12, v10
	v_lshlrev_b32_e32 v10, 2, v10
	v_ashrrev_i32_e32 v11, 31, v10
	v_lshl_add_u64 v[10:11], v[10:11], 4, s[4:5]
	global_load_dwordx4 v[46:49], v[10:11], off offset:48
	global_load_dwordx4 v[50:53], v[10:11], off offset:32
	;; [unrolled: 1-line block ×3, first 2 shown]
	global_load_dwordx4 v[58:61], v[10:11], off
	s_waitcnt vmcnt(0)
	v_fmac_f64_e32 v[32:33], v[42:43], v[58:59]
	v_fma_f64 v[10:11], -v[44:45], v[60:61], v[32:33]
	v_fmac_f64_e32 v[76:77], v[44:45], v[58:59]
	v_fmac_f64_e32 v[76:77], v[42:43], v[60:61]
	v_fmac_f64_e32 v[10:11], v[20:21], v[54:55]
	v_fma_f64 v[10:11], -v[22:23], v[56:57], v[10:11]
	v_fmac_f64_e32 v[76:77], v[22:23], v[54:55]
	v_fmac_f64_e32 v[76:77], v[20:21], v[56:57]
	v_fmac_f64_e32 v[10:11], v[16:17], v[50:51]
	v_fma_f64 v[10:11], -v[18:19], v[52:53], v[10:11]
	v_fmac_f64_e32 v[76:77], v[18:19], v[50:51]
	v_fmac_f64_e32 v[76:77], v[16:17], v[52:53]
	v_fmac_f64_e32 v[10:11], v[12:13], v[46:47]
	v_fma_f64 v[10:11], -v[14:15], v[48:49], v[10:11]
	v_fmac_f64_e32 v[76:77], v[14:15], v[46:47]
	global_load_dwordx4 v[14:17], v[28:29], off offset:1136
	global_load_dwordx4 v[18:21], v[28:29], off offset:1120
	global_load_dwordx4 v[22:25], v[28:29], off offset:1104
	global_load_dwordx4 v[42:45], v[28:29], off offset:1088
	v_fmac_f64_e32 v[76:77], v[12:13], v[48:49]
	s_waitcnt vmcnt(0)
	v_fmac_f64_e32 v[34:35], v[42:43], v[58:59]
	v_fma_f64 v[12:13], -v[44:45], v[60:61], v[34:35]
	v_fmac_f64_e32 v[80:81], v[44:45], v[58:59]
	v_fmac_f64_e32 v[80:81], v[42:43], v[60:61]
	v_fmac_f64_e32 v[12:13], v[22:23], v[54:55]
	v_fma_f64 v[12:13], -v[24:25], v[56:57], v[12:13]
	v_fmac_f64_e32 v[80:81], v[24:25], v[54:55]
	v_fmac_f64_e32 v[80:81], v[22:23], v[56:57]
	v_fmac_f64_e32 v[12:13], v[18:19], v[50:51]
	v_fma_f64 v[12:13], -v[20:21], v[52:53], v[12:13]
	v_fmac_f64_e32 v[80:81], v[20:21], v[50:51]
	v_fmac_f64_e32 v[80:81], v[18:19], v[52:53]
	v_fmac_f64_e32 v[12:13], v[14:15], v[46:47]
	v_fma_f64 v[12:13], -v[16:17], v[48:49], v[12:13]
	v_fmac_f64_e32 v[80:81], v[16:17], v[46:47]
	global_load_dwordx4 v[16:19], v[28:29], off offset:1200
	global_load_dwordx4 v[20:23], v[28:29], off offset:1184
	global_load_dwordx4 v[32:35], v[28:29], off offset:1168
	global_load_dwordx4 v[42:45], v[28:29], off offset:1152
	v_fmac_f64_e32 v[80:81], v[14:15], v[48:49]
	;; [unrolled: 21-line block ×3, first 2 shown]
	s_waitcnt vmcnt(0)
	v_fmac_f64_e32 v[0:1], v[38:39], v[58:59]
	v_fmac_f64_e32 v[62:63], v[36:37], v[58:59]
	v_fmac_f64_e32 v[0:1], v[36:37], v[60:61]
	v_fma_f64 v[16:17], -v[38:39], v[60:61], v[62:63]
	v_fmac_f64_e32 v[0:1], v[34:35], v[54:55]
	v_fmac_f64_e32 v[16:17], v[32:33], v[54:55]
	v_fmac_f64_e32 v[0:1], v[32:33], v[56:57]
	v_fma_f64 v[16:17], -v[34:35], v[56:57], v[16:17]
	;; [unrolled: 4-line block ×3, first 2 shown]
	v_fmac_f64_e32 v[0:1], v[20:21], v[46:47]
	v_fmac_f64_e32 v[16:17], v[18:19], v[46:47]
	;; [unrolled: 1-line block ×3, first 2 shown]
	global_load_dword v18, v[30:31], off offset:32
	v_fma_f64 v[16:17], -v[20:21], v[48:49], v[16:17]
	s_waitcnt vmcnt(0)
	v_subrev_u32_e32 v18, s12, v18
	v_lshlrev_b32_e32 v42, 2, v18
	v_ashrrev_i32_e32 v43, 31, v42
	v_lshl_add_u64 v[58:59], v[42:43], 4, s[4:5]
	global_load_dwordx4 v[18:21], v[28:29], off offset:2096
	global_load_dwordx4 v[22:25], v[28:29], off offset:2080
	;; [unrolled: 1-line block ×7, first 2 shown]
	global_load_dwordx4 v[54:57], v[58:59], off
	s_waitcnt vmcnt(0)
	v_fmac_f64_e32 v[10:11], v[36:37], v[54:55]
	v_fmac_f64_e32 v[76:77], v[38:39], v[54:55]
	v_fma_f64 v[10:11], -v[38:39], v[56:57], v[10:11]
	v_fmac_f64_e32 v[76:77], v[36:37], v[56:57]
	v_fmac_f64_e32 v[10:11], v[32:33], v[50:51]
	v_fmac_f64_e32 v[76:77], v[34:35], v[50:51]
	v_fma_f64 v[10:11], -v[34:35], v[52:53], v[10:11]
	v_fmac_f64_e32 v[76:77], v[32:33], v[52:53]
	v_fmac_f64_e32 v[10:11], v[22:23], v[46:47]
	v_fmac_f64_e32 v[76:77], v[24:25], v[46:47]
	v_fma_f64 v[10:11], -v[24:25], v[48:49], v[10:11]
	v_fmac_f64_e32 v[76:77], v[22:23], v[48:49]
	v_fmac_f64_e32 v[10:11], v[18:19], v[42:43]
	v_fmac_f64_e32 v[76:77], v[20:21], v[42:43]
	v_fma_f64 v[38:39], -v[20:21], v[44:45], v[10:11]
	v_fmac_f64_e32 v[76:77], v[18:19], v[44:45]
	global_load_dwordx4 v[18:21], v[28:29], off offset:2160
	global_load_dwordx4 v[22:25], v[28:29], off offset:2144
	global_load_dwordx4 v[32:35], v[28:29], off offset:2128
	global_load_dwordx4 v[58:61], v[28:29], off offset:2112
	s_waitcnt vmcnt(0)
	v_fmac_f64_e32 v[12:13], v[58:59], v[54:55]
	v_fmac_f64_e32 v[80:81], v[60:61], v[54:55]
	v_fma_f64 v[10:11], -v[60:61], v[56:57], v[12:13]
	v_fmac_f64_e32 v[80:81], v[58:59], v[56:57]
	v_fmac_f64_e32 v[10:11], v[32:33], v[50:51]
	v_fmac_f64_e32 v[80:81], v[34:35], v[50:51]
	v_fma_f64 v[10:11], -v[34:35], v[52:53], v[10:11]
	v_fmac_f64_e32 v[80:81], v[32:33], v[52:53]
	v_fmac_f64_e32 v[10:11], v[22:23], v[46:47]
	v_fmac_f64_e32 v[80:81], v[24:25], v[46:47]
	v_fma_f64 v[10:11], -v[24:25], v[48:49], v[10:11]
	v_fmac_f64_e32 v[80:81], v[22:23], v[48:49]
	v_fmac_f64_e32 v[10:11], v[18:19], v[42:43]
	v_fmac_f64_e32 v[80:81], v[20:21], v[42:43]
	v_fma_f64 v[36:37], -v[20:21], v[44:45], v[10:11]
	v_fmac_f64_e32 v[80:81], v[18:19], v[44:45]
	global_load_dwordx4 v[10:13], v[28:29], off offset:2224
	global_load_dwordx4 v[18:21], v[28:29], off offset:2208
	global_load_dwordx4 v[22:25], v[28:29], off offset:2192
	global_load_dwordx4 v[32:35], v[28:29], off offset:2176
	;; [unrolled: 21-line block ×3, first 2 shown]
	s_waitcnt vmcnt(0)
	v_fmac_f64_e32 v[0:1], v[60:61], v[54:55]
	v_fmac_f64_e32 v[16:17], v[58:59], v[54:55]
	v_fmac_f64_e32 v[0:1], v[58:59], v[56:57]
	v_fma_f64 v[14:15], -v[60:61], v[56:57], v[16:17]
	v_fmac_f64_e32 v[0:1], v[24:25], v[50:51]
	v_fmac_f64_e32 v[14:15], v[22:23], v[50:51]
	v_fmac_f64_e32 v[0:1], v[22:23], v[52:53]
	v_fma_f64 v[14:15], -v[24:25], v[52:53], v[14:15]
	v_fmac_f64_e32 v[0:1], v[20:21], v[46:47]
	v_fmac_f64_e32 v[14:15], v[18:19], v[46:47]
	v_fmac_f64_e32 v[0:1], v[18:19], v[48:49]
	v_fma_f64 v[14:15], -v[20:21], v[48:49], v[14:15]
	v_fmac_f64_e32 v[0:1], v[12:13], v[42:43]
	v_fmac_f64_e32 v[14:15], v[10:11], v[42:43]
	;; [unrolled: 1-line block ×3, first 2 shown]
	global_load_dword v10, v[30:31], off offset:48
	v_fma_f64 v[32:33], -v[12:13], v[44:45], v[14:15]
	global_load_dwordx4 v[42:45], v[28:29], off offset:3120
	global_load_dwordx4 v[46:49], v[28:29], off offset:3104
	;; [unrolled: 1-line block ×4, first 2 shown]
	s_waitcnt vmcnt(4)
	v_subrev_u32_e32 v10, s12, v10
	v_lshlrev_b32_e32 v10, 2, v10
	v_ashrrev_i32_e32 v11, 31, v10
	v_lshl_add_u64 v[30:31], v[10:11], 4, s[4:5]
	global_load_dwordx4 v[10:13], v[30:31], off offset:48
	global_load_dwordx4 v[14:17], v[30:31], off offset:32
	;; [unrolled: 1-line block ×3, first 2 shown]
	global_load_dwordx4 v[22:25], v[30:31], off
	s_waitcnt vmcnt(0)
	v_fmac_f64_e32 v[38:39], v[54:55], v[22:23]
	v_fmac_f64_e32 v[76:77], v[56:57], v[22:23]
	v_fma_f64 v[30:31], -v[56:57], v[24:25], v[38:39]
	v_fmac_f64_e32 v[76:77], v[54:55], v[24:25]
	v_fmac_f64_e32 v[30:31], v[50:51], v[18:19]
	v_fmac_f64_e32 v[76:77], v[52:53], v[18:19]
	v_fma_f64 v[30:31], -v[52:53], v[20:21], v[30:31]
	v_fmac_f64_e32 v[76:77], v[50:51], v[20:21]
	v_fmac_f64_e32 v[30:31], v[46:47], v[14:15]
	v_fmac_f64_e32 v[76:77], v[48:49], v[14:15]
	v_fma_f64 v[30:31], -v[48:49], v[16:17], v[30:31]
	v_fmac_f64_e32 v[76:77], v[46:47], v[16:17]
	v_fmac_f64_e32 v[30:31], v[42:43], v[10:11]
	v_fmac_f64_e32 v[76:77], v[44:45], v[10:11]
	v_fma_f64 v[84:85], -v[44:45], v[12:13], v[30:31]
	v_fmac_f64_e32 v[76:77], v[42:43], v[12:13]
	global_load_dwordx4 v[42:45], v[28:29], off offset:3184
	global_load_dwordx4 v[46:49], v[28:29], off offset:3168
	;; [unrolled: 1-line block ×4, first 2 shown]
	s_waitcnt vmcnt(0)
	v_fmac_f64_e32 v[36:37], v[54:55], v[22:23]
	v_fmac_f64_e32 v[80:81], v[56:57], v[22:23]
	v_fma_f64 v[30:31], -v[56:57], v[24:25], v[36:37]
	v_fmac_f64_e32 v[80:81], v[54:55], v[24:25]
	v_fmac_f64_e32 v[30:31], v[50:51], v[18:19]
	v_fmac_f64_e32 v[80:81], v[52:53], v[18:19]
	v_fma_f64 v[30:31], -v[52:53], v[20:21], v[30:31]
	v_fmac_f64_e32 v[80:81], v[50:51], v[20:21]
	v_fmac_f64_e32 v[30:31], v[46:47], v[14:15]
	v_fmac_f64_e32 v[80:81], v[48:49], v[14:15]
	v_fma_f64 v[30:31], -v[48:49], v[16:17], v[30:31]
	v_fmac_f64_e32 v[80:81], v[46:47], v[16:17]
	v_fmac_f64_e32 v[30:31], v[42:43], v[10:11]
	v_fmac_f64_e32 v[80:81], v[44:45], v[10:11]
	v_fma_f64 v[68:69], -v[44:45], v[12:13], v[30:31]
	v_fmac_f64_e32 v[80:81], v[42:43], v[12:13]
	global_load_dwordx4 v[36:39], v[28:29], off offset:3248
	global_load_dwordx4 v[42:45], v[28:29], off offset:3232
	;; [unrolled: 1-line block ×4, first 2 shown]
	s_waitcnt vmcnt(0)
	v_fmac_f64_e32 v[78:79], v[52:53], v[22:23]
	v_fmac_f64_e32 v[34:35], v[50:51], v[22:23]
	v_fmac_f64_e32 v[78:79], v[50:51], v[24:25]
	v_fma_f64 v[30:31], -v[52:53], v[24:25], v[34:35]
	v_fmac_f64_e32 v[78:79], v[48:49], v[18:19]
	v_fmac_f64_e32 v[30:31], v[46:47], v[18:19]
	v_fmac_f64_e32 v[78:79], v[46:47], v[20:21]
	v_fma_f64 v[30:31], -v[48:49], v[20:21], v[30:31]
	;; [unrolled: 4-line block ×3, first 2 shown]
	v_fmac_f64_e32 v[78:79], v[38:39], v[10:11]
	v_fmac_f64_e32 v[30:31], v[36:37], v[10:11]
	;; [unrolled: 1-line block ×3, first 2 shown]
	global_load_dwordx4 v[34:37], v[28:29], off offset:3312
	global_load_dwordx4 v[42:45], v[28:29], off offset:3296
	;; [unrolled: 1-line block ×4, first 2 shown]
	v_fma_f64 v[82:83], -v[38:39], v[12:13], v[30:31]
	v_lshl_add_u64 v[28:29], v[28:29], 0, s[16:17]
	s_waitcnt vmcnt(0)
	v_fmac_f64_e32 v[32:33], v[50:51], v[22:23]
	v_fmac_f64_e32 v[0:1], v[52:53], v[22:23]
	v_fma_f64 v[30:31], -v[52:53], v[24:25], v[32:33]
	v_fmac_f64_e32 v[0:1], v[50:51], v[24:25]
	v_fmac_f64_e32 v[30:31], v[46:47], v[18:19]
	v_fmac_f64_e32 v[0:1], v[48:49], v[18:19]
	v_fma_f64 v[22:23], -v[48:49], v[20:21], v[30:31]
	v_fmac_f64_e32 v[0:1], v[46:47], v[20:21]
	;; [unrolled: 4-line block ×4, first 2 shown]
	s_andn2_b64 exec, exec, s[14:15]
	s_cbranch_execnz .LBB15_19
; %bb.20:
	s_or_b64 exec, exec, s[14:15]
.LBB15_21:
	s_or_b64 exec, exec, s[10:11]
.LBB15_22:
	s_or_b64 exec, exec, s[6:7]
	s_cbranch_execz .LBB15_24
	s_branch .LBB15_35
.LBB15_23:
                                        ; implicit-def: $vgpr76_vgpr77
                                        ; implicit-def: $vgpr84_vgpr85
                                        ; implicit-def: $vgpr66_vgpr67
                                        ; implicit-def: $vgpr0_vgpr1
                                        ; implicit-def: $vgpr82_vgpr83
                                        ; implicit-def: $vgpr78_vgpr79
                                        ; implicit-def: $vgpr68_vgpr69
                                        ; implicit-def: $vgpr80_vgpr81
.LBB15_24:
	v_mov_b64_e32 v[76:77], 0
	v_mov_b64_e32 v[84:85], 0
	;; [unrolled: 1-line block ×8, first 2 shown]
	s_and_saveexec_b64 s[6:7], s[2:3]
	s_cbranch_execz .LBB15_34
; %bb.25:
	v_add_u32_e32 v0, v40, v71
	v_subrev_u32_e32 v0, s12, v0
	v_add_u32_e32 v0, 4, v0
	v_max_i32_e32 v0, v0, v92
	v_not_b32_e32 v1, v40
	v_add3_u32 v0, s12, v0, v1
	v_sub_u32_e32 v10, v0, v71
	v_and_b32_e32 v0, 12, v10
	v_cmp_ne_u32_e32 vcc, 12, v0
	v_mov_b64_e32 v[80:81], 0
	v_mov_b64_e32 v[68:69], 0
	;; [unrolled: 1-line block ×8, first 2 shown]
	s_and_saveexec_b64 s[2:3], vcc
	s_cbranch_execz .LBB15_29
; %bb.26:
	v_lshrrev_b32_e32 v0, 2, v10
	v_add_u32_e32 v0, 1, v0
	v_and_b32_e32 v0, 3, v0
	v_sub_u32_e32 v11, 0, v0
	v_mov_b64_e32 v[76:77], 0
	s_mov_b64 s[10:11], 0
	s_mov_b64 s[14:15], 0x400
	v_mov_b64_e32 v[84:85], 0
	v_mov_b64_e32 v[66:67], 0
	;; [unrolled: 1-line block ×7, first 2 shown]
.LBB15_27:                              ; =>This Inner Loop Header: Depth=1
	v_ashrrev_i32_e32 v73, 31, v72
	v_lshl_add_u64 v[64:65], v[72:73], 2, s[8:9]
	global_load_dword v73, v[64:65], off
	global_load_dwordx4 v[12:15], v[74:75], off offset:48
	global_load_dwordx4 v[16:19], v[74:75], off offset:32
	;; [unrolled: 1-line block ×3, first 2 shown]
	global_load_dwordx4 v[24:27], v[74:75], off
	global_load_dwordx4 v[28:31], v[74:75], off offset:112
	global_load_dwordx4 v[32:35], v[74:75], off offset:96
	global_load_dwordx4 v[36:39], v[74:75], off offset:80
	global_load_dwordx4 v[40:43], v[74:75], off offset:64
	global_load_dwordx4 v[44:47], v[74:75], off offset:176
	global_load_dwordx4 v[48:51], v[74:75], off offset:160
	global_load_dwordx4 v[52:55], v[74:75], off offset:144
	global_load_dwordx4 v[56:59], v[74:75], off offset:128
	global_load_dwordx4 v[60:63], v[74:75], off offset:208
	global_load_dwordx4 v[86:89], v[74:75], off offset:192
                                        ; kill: killed $vgpr64_vgpr65
	global_load_dwordx4 v[94:97], v[74:75], off offset:224
	global_load_dwordx4 v[98:101], v[74:75], off offset:240
	v_add_co_u32_e32 v11, vcc, 1, v11
	v_lshl_add_u64 v[74:75], v[74:75], 0, s[14:15]
	v_add_u32_e32 v72, 4, v72
	s_or_b64 s[10:11], vcc, s[10:11]
	s_waitcnt vmcnt(16)
	v_subrev_u32_e32 v64, s12, v73
	v_lshlrev_b32_e32 v64, 2, v64
	v_ashrrev_i32_e32 v65, 31, v64
	s_waitcnt lgkmcnt(0)
	v_lshl_add_u64 v[64:65], v[64:65], 4, s[4:5]
	global_load_dwordx4 v[102:105], v[64:65], off
	global_load_dwordx4 v[106:109], v[64:65], off offset:16
	global_load_dwordx4 v[110:113], v[64:65], off offset:32
	;; [unrolled: 1-line block ×3, first 2 shown]
	s_waitcnt vmcnt(3)
	v_fmac_f64_e32 v[84:85], v[24:25], v[102:103]
	v_fmac_f64_e32 v[76:77], v[26:27], v[102:103]
	v_fmac_f64_e32 v[68:69], v[20:21], v[102:103]
	v_fmac_f64_e32 v[80:81], v[22:23], v[102:103]
	v_fmac_f64_e32 v[82:83], v[16:17], v[102:103]
	v_fmac_f64_e32 v[78:79], v[18:19], v[102:103]
	v_fmac_f64_e32 v[66:67], v[12:13], v[102:103]
	v_fmac_f64_e32 v[0:1], v[14:15], v[102:103]
	v_fma_f64 v[26:27], -v[26:27], v[104:105], v[84:85]
	v_fmac_f64_e32 v[76:77], v[24:25], v[104:105]
	v_fma_f64 v[22:23], -v[22:23], v[104:105], v[68:69]
	v_fmac_f64_e32 v[80:81], v[20:21], v[104:105]
	v_fma_f64 v[18:19], -v[18:19], v[104:105], v[82:83]
	v_fmac_f64_e32 v[78:79], v[16:17], v[104:105]
	v_fma_f64 v[14:15], -v[14:15], v[104:105], v[66:67]
	v_fmac_f64_e32 v[0:1], v[12:13], v[104:105]
	s_waitcnt vmcnt(2)
	v_fmac_f64_e32 v[26:27], v[40:41], v[106:107]
	v_fmac_f64_e32 v[76:77], v[42:43], v[106:107]
	v_fmac_f64_e32 v[22:23], v[36:37], v[106:107]
	v_fmac_f64_e32 v[80:81], v[38:39], v[106:107]
	v_fmac_f64_e32 v[18:19], v[32:33], v[106:107]
	v_fmac_f64_e32 v[78:79], v[34:35], v[106:107]
	v_fmac_f64_e32 v[14:15], v[28:29], v[106:107]
	v_fmac_f64_e32 v[0:1], v[30:31], v[106:107]
	v_fma_f64 v[12:13], -v[42:43], v[108:109], v[26:27]
	v_fmac_f64_e32 v[76:77], v[40:41], v[108:109]
	v_fma_f64 v[16:17], -v[38:39], v[108:109], v[22:23]
	v_fmac_f64_e32 v[80:81], v[36:37], v[108:109]
	v_fma_f64 v[18:19], -v[34:35], v[108:109], v[18:19]
	v_fmac_f64_e32 v[78:79], v[32:33], v[108:109]
	v_fma_f64 v[14:15], -v[30:31], v[108:109], v[14:15]
	v_fmac_f64_e32 v[0:1], v[28:29], v[108:109]
	;; [unrolled: 17-line block ×4, first 2 shown]
	s_andn2_b64 exec, exec, s[10:11]
	s_cbranch_execnz .LBB15_27
; %bb.28:
	s_or_b64 exec, exec, s[10:11]
.LBB15_29:
	s_or_b64 exec, exec, s[2:3]
	v_cmp_lt_u32_e32 vcc, 11, v10
	s_and_saveexec_b64 s[2:3], vcc
	s_cbranch_execz .LBB15_33
; %bb.30:
	s_mov_b64 s[10:11], 0
	s_mov_b64 s[14:15], 0x1000
.LBB15_31:                              ; =>This Inner Loop Header: Depth=1
	v_ashrrev_i32_e32 v73, 31, v72
	v_lshl_add_u64 v[86:87], v[72:73], 2, s[8:9]
	global_load_dwordx4 v[10:13], v[74:75], off offset:48
	global_load_dwordx4 v[14:17], v[74:75], off offset:32
	;; [unrolled: 1-line block ×3, first 2 shown]
	global_load_dwordx4 v[94:97], v[74:75], off
	global_load_dwordx4 v[22:25], v[74:75], off offset:112
	global_load_dwordx4 v[26:29], v[74:75], off offset:96
	;; [unrolled: 1-line block ×10, first 2 shown]
	global_load_dword v62, v[86:87], off
	v_add_u32_e32 v72, 16, v72
	v_cmp_ge_i32_e32 vcc, v72, v92
	s_or_b64 s[10:11], vcc, s[10:11]
	s_waitcnt vmcnt(0)
	v_subrev_u32_e32 v62, s12, v62
	v_lshlrev_b32_e32 v62, 2, v62
	v_ashrrev_i32_e32 v63, 31, v62
	s_waitcnt lgkmcnt(0)
	v_lshl_add_u64 v[88:89], v[62:63], 4, s[4:5]
	global_load_dwordx4 v[62:65], v[88:89], off
	s_waitcnt vmcnt(0)
	v_fmac_f64_e32 v[84:85], v[94:95], v[62:63]
	v_fmac_f64_e32 v[76:77], v[96:97], v[62:63]
	v_fmac_f64_e32 v[68:69], v[18:19], v[62:63]
	v_fmac_f64_e32 v[80:81], v[20:21], v[62:63]
	v_fmac_f64_e32 v[82:83], v[14:15], v[62:63]
	v_fmac_f64_e32 v[78:79], v[16:17], v[62:63]
	v_fmac_f64_e32 v[66:67], v[10:11], v[62:63]
	v_fmac_f64_e32 v[0:1], v[12:13], v[62:63]
	v_fma_f64 v[84:85], -v[96:97], v[64:65], v[84:85]
	v_fmac_f64_e32 v[76:77], v[94:95], v[64:65]
	global_load_dwordx4 v[94:97], v[74:75], off offset:208
	v_fma_f64 v[68:69], -v[20:21], v[64:65], v[68:69]
	v_fmac_f64_e32 v[80:81], v[18:19], v[64:65]
	global_load_dwordx4 v[18:21], v[74:75], off offset:192
	v_fma_f64 v[82:83], -v[16:17], v[64:65], v[82:83]
	v_fmac_f64_e32 v[78:79], v[14:15], v[64:65]
	global_load_dwordx4 v[14:17], v[74:75], off offset:1072
	v_fma_f64 v[66:67], -v[12:13], v[64:65], v[66:67]
	v_fmac_f64_e32 v[0:1], v[10:11], v[64:65]
	global_load_dwordx4 v[10:13], v[74:75], off offset:1056
	global_load_dwordx4 v[62:65], v[88:89], off offset:16
	s_waitcnt vmcnt(0)
	v_fmac_f64_e32 v[84:85], v[42:43], v[62:63]
	v_fmac_f64_e32 v[76:77], v[44:45], v[62:63]
	v_fmac_f64_e32 v[68:69], v[30:31], v[62:63]
	v_fmac_f64_e32 v[80:81], v[32:33], v[62:63]
	v_fmac_f64_e32 v[82:83], v[26:27], v[62:63]
	v_fmac_f64_e32 v[78:79], v[28:29], v[62:63]
	v_fmac_f64_e32 v[66:67], v[22:23], v[62:63]
	v_fmac_f64_e32 v[0:1], v[24:25], v[62:63]
	v_fma_f64 v[84:85], -v[44:45], v[64:65], v[84:85]
	v_fmac_f64_e32 v[76:77], v[42:43], v[64:65]
	global_load_dwordx4 v[42:45], v[74:75], off offset:1040
	v_fma_f64 v[68:69], -v[32:33], v[64:65], v[68:69]
	v_fmac_f64_e32 v[80:81], v[30:31], v[64:65]
	global_load_dwordx4 v[30:33], v[74:75], off offset:1024
	v_fma_f64 v[82:83], -v[28:29], v[64:65], v[82:83]
	v_fmac_f64_e32 v[78:79], v[26:27], v[64:65]
	global_load_dwordx4 v[26:29], v[74:75], off offset:1136
	v_fma_f64 v[66:67], -v[24:25], v[64:65], v[66:67]
	v_fmac_f64_e32 v[0:1], v[22:23], v[64:65]
	global_load_dwordx4 v[22:25], v[74:75], off offset:1120
	global_load_dwordx4 v[62:65], v[88:89], off offset:32
	;; [unrolled: 22-line block ×3, first 2 shown]
	s_waitcnt vmcnt(0)
	v_fmac_f64_e32 v[84:85], v[18:19], v[62:63]
	v_fmac_f64_e32 v[76:77], v[20:21], v[62:63]
	;; [unrolled: 1-line block ×7, first 2 shown]
	v_fma_f64 v[84:85], -v[20:21], v[64:65], v[84:85]
	v_fmac_f64_e32 v[76:77], v[18:19], v[64:65]
	global_load_dwordx4 v[18:21], v[74:75], off offset:1168
	v_fmac_f64_e32 v[80:81], v[96:97], v[62:63]
	v_fma_f64 v[88:89], -v[96:97], v[64:65], v[68:69]
	global_load_dwordx4 v[66:69], v[74:75], off offset:1152
	v_fma_f64 v[82:83], -v[60:61], v[64:65], v[82:83]
	v_fmac_f64_e32 v[78:79], v[58:59], v[64:65]
	global_load_dwordx4 v[58:61], v[74:75], off offset:1264
	v_fma_f64 v[90:91], -v[56:57], v[64:65], v[90:91]
	v_fmac_f64_e32 v[0:1], v[54:55], v[64:65]
	global_load_dwordx4 v[54:57], v[74:75], off offset:1248
	global_load_dword v62, v[86:87], off offset:16
	v_fmac_f64_e32 v[80:81], v[94:95], v[64:65]
	s_waitcnt vmcnt(0)
	v_subrev_u32_e32 v62, s12, v62
	v_lshlrev_b32_e32 v62, 2, v62
	v_ashrrev_i32_e32 v63, 31, v62
	v_lshl_add_u64 v[94:95], v[62:63], 4, s[4:5]
	global_load_dwordx4 v[62:65], v[94:95], off
	s_waitcnt vmcnt(0)
	v_fmac_f64_e32 v[84:85], v[30:31], v[62:63]
	v_fmac_f64_e32 v[76:77], v[32:33], v[62:63]
	v_fmac_f64_e32 v[88:89], v[42:43], v[62:63]
	v_fmac_f64_e32 v[80:81], v[44:45], v[62:63]
	v_fmac_f64_e32 v[82:83], v[10:11], v[62:63]
	v_fmac_f64_e32 v[78:79], v[12:13], v[62:63]
	v_fmac_f64_e32 v[90:91], v[14:15], v[62:63]
	v_fmac_f64_e32 v[0:1], v[16:17], v[62:63]
	v_fma_f64 v[84:85], -v[32:33], v[64:65], v[84:85]
	v_fmac_f64_e32 v[76:77], v[30:31], v[64:65]
	global_load_dwordx4 v[30:33], v[74:75], off offset:1232
	v_fma_f64 v[88:89], -v[44:45], v[64:65], v[88:89]
	v_fmac_f64_e32 v[80:81], v[42:43], v[64:65]
	global_load_dwordx4 v[42:45], v[74:75], off offset:1216
	v_fma_f64 v[82:83], -v[12:13], v[64:65], v[82:83]
	v_fmac_f64_e32 v[78:79], v[10:11], v[64:65]
	global_load_dwordx4 v[10:13], v[74:75], off offset:2096
	v_fma_f64 v[90:91], -v[16:17], v[64:65], v[90:91]
	v_fmac_f64_e32 v[0:1], v[14:15], v[64:65]
	global_load_dwordx4 v[14:17], v[74:75], off offset:2080
	global_load_dwordx4 v[62:65], v[94:95], off offset:16
	s_waitcnt vmcnt(0)
	v_fmac_f64_e32 v[84:85], v[46:47], v[62:63]
	v_fmac_f64_e32 v[76:77], v[48:49], v[62:63]
	v_fmac_f64_e32 v[88:89], v[50:51], v[62:63]
	v_fmac_f64_e32 v[80:81], v[52:53], v[62:63]
	v_fmac_f64_e32 v[82:83], v[22:23], v[62:63]
	v_fmac_f64_e32 v[78:79], v[24:25], v[62:63]
	v_fmac_f64_e32 v[90:91], v[26:27], v[62:63]
	v_fmac_f64_e32 v[0:1], v[28:29], v[62:63]
	v_fma_f64 v[84:85], -v[48:49], v[64:65], v[84:85]
	v_fmac_f64_e32 v[76:77], v[46:47], v[64:65]
	global_load_dwordx4 v[46:49], v[74:75], off offset:2064
	v_fma_f64 v[88:89], -v[52:53], v[64:65], v[88:89]
	v_fmac_f64_e32 v[80:81], v[50:51], v[64:65]
	global_load_dwordx4 v[50:53], v[74:75], off offset:2048
	v_fma_f64 v[82:83], -v[24:25], v[64:65], v[82:83]
	v_fmac_f64_e32 v[78:79], v[22:23], v[64:65]
	global_load_dwordx4 v[22:25], v[74:75], off offset:2160
	v_fma_f64 v[90:91], -v[28:29], v[64:65], v[90:91]
	v_fmac_f64_e32 v[0:1], v[26:27], v[64:65]
	global_load_dwordx4 v[26:29], v[74:75], off offset:2144
	global_load_dwordx4 v[62:65], v[94:95], off offset:32
	;; [unrolled: 22-line block ×3, first 2 shown]
	s_waitcnt vmcnt(0)
	v_fmac_f64_e32 v[84:85], v[42:43], v[62:63]
	v_fmac_f64_e32 v[76:77], v[44:45], v[62:63]
	;; [unrolled: 1-line block ×5, first 2 shown]
	v_fma_f64 v[84:85], -v[44:45], v[64:65], v[84:85]
	v_fmac_f64_e32 v[76:77], v[42:43], v[64:65]
	global_load_dwordx4 v[42:45], v[74:75], off offset:2192
	v_fma_f64 v[88:89], -v[32:33], v[64:65], v[88:89]
	v_fmac_f64_e32 v[80:81], v[30:31], v[64:65]
	global_load_dwordx4 v[30:33], v[74:75], off offset:2176
	v_fmac_f64_e32 v[82:83], v[54:55], v[62:63]
	v_fmac_f64_e32 v[78:79], v[54:55], v[64:65]
	global_load_dwordx4 v[94:97], v[74:75], off offset:2288
	global_load_dwordx4 v[98:101], v[74:75], off offset:2272
	global_load_dword v54, v[86:87], off offset:32
	v_fmac_f64_e32 v[90:91], v[58:59], v[62:63]
	v_fmac_f64_e32 v[0:1], v[60:61], v[62:63]
	v_fma_f64 v[60:61], -v[60:61], v[64:65], v[90:91]
	v_fma_f64 v[102:103], -v[56:57], v[64:65], v[82:83]
	v_fmac_f64_e32 v[0:1], v[58:59], v[64:65]
	s_waitcnt vmcnt(0)
	v_subrev_u32_e32 v54, s12, v54
	v_lshlrev_b32_e32 v54, 2, v54
	v_ashrrev_i32_e32 v55, 31, v54
	v_lshl_add_u64 v[90:91], v[54:55], 4, s[4:5]
	global_load_dwordx4 v[54:57], v[90:91], off
	s_waitcnt vmcnt(0)
	v_fmac_f64_e32 v[84:85], v[50:51], v[54:55]
	v_fmac_f64_e32 v[76:77], v[52:53], v[54:55]
	;; [unrolled: 1-line block ×8, first 2 shown]
	v_fma_f64 v[58:59], -v[52:53], v[56:57], v[84:85]
	v_fmac_f64_e32 v[76:77], v[50:51], v[56:57]
	global_load_dwordx4 v[82:85], v[74:75], off offset:2256
	v_fma_f64 v[62:63], -v[48:49], v[56:57], v[88:89]
	v_fmac_f64_e32 v[80:81], v[46:47], v[56:57]
	global_load_dwordx4 v[46:49], v[74:75], off offset:2240
	;; [unrolled: 3-line block ×4, first 2 shown]
	global_load_dwordx4 v[14:17], v[90:91], off offset:16
	global_load_dwordx4 v[10:13], v[74:75], off offset:3184
	s_waitcnt vmcnt(1)
	v_fmac_f64_e32 v[58:59], v[18:19], v[14:15]
	v_fmac_f64_e32 v[76:77], v[20:21], v[14:15]
	;; [unrolled: 1-line block ×6, first 2 shown]
	v_fma_f64 v[104:105], -v[20:21], v[16:17], v[58:59]
	v_fmac_f64_e32 v[76:77], v[18:19], v[16:17]
	global_load_dwordx4 v[58:61], v[74:75], off offset:3088
	v_fmac_f64_e32 v[80:81], v[68:69], v[14:15]
	v_fma_f64 v[68:69], -v[68:69], v[16:17], v[62:63]
	global_load_dwordx4 v[62:65], v[74:75], off offset:3072
	v_fmac_f64_e32 v[88:89], v[26:27], v[14:15]
	v_fmac_f64_e32 v[78:79], v[26:27], v[16:17]
	v_fma_f64 v[26:27], -v[24:25], v[16:17], v[102:103]
	v_fmac_f64_e32 v[0:1], v[22:23], v[16:17]
	global_load_dwordx4 v[18:21], v[74:75], off offset:3168
	global_load_dwordx4 v[22:25], v[90:91], off offset:32
	v_fmac_f64_e32 v[80:81], v[66:67], v[16:17]
	v_fma_f64 v[28:29], -v[28:29], v[16:17], v[88:89]
	global_load_dwordx4 v[14:17], v[74:75], off offset:3248
	s_waitcnt vmcnt(1)
	v_fmac_f64_e32 v[104:105], v[30:31], v[22:23]
	v_fmac_f64_e32 v[76:77], v[32:33], v[22:23]
	;; [unrolled: 1-line block ×8, first 2 shown]
	v_fma_f64 v[66:67], -v[32:33], v[24:25], v[104:105]
	v_fmac_f64_e32 v[76:77], v[30:31], v[24:25]
	global_load_dwordx4 v[30:33], v[74:75], off offset:3152
	v_fma_f64 v[68:69], -v[44:45], v[24:25], v[68:69]
	v_fmac_f64_e32 v[80:81], v[42:43], v[24:25]
	global_load_dwordx4 v[42:45], v[74:75], off offset:3136
	v_fma_f64 v[28:29], -v[40:41], v[24:25], v[28:29]
	v_fmac_f64_e32 v[78:79], v[38:39], v[24:25]
	v_fma_f64 v[102:103], -v[36:37], v[24:25], v[26:27]
	v_fmac_f64_e32 v[0:1], v[34:35], v[24:25]
	global_load_dwordx4 v[22:25], v[74:75], off offset:3232
	global_load_dwordx4 v[34:37], v[90:91], off offset:48
	;; [unrolled: 1-line block ×3, first 2 shown]
	s_waitcnt vmcnt(1)
	v_fmac_f64_e32 v[66:67], v[46:47], v[34:35]
	v_fmac_f64_e32 v[76:77], v[48:49], v[34:35]
	;; [unrolled: 1-line block ×8, first 2 shown]
	v_fma_f64 v[90:91], -v[48:49], v[36:37], v[66:67]
	v_fmac_f64_e32 v[76:77], v[46:47], v[36:37]
	v_fma_f64 v[88:89], -v[84:85], v[36:37], v[68:69]
	v_fmac_f64_e32 v[80:81], v[82:83], v[36:37]
	global_load_dwordx4 v[46:49], v[74:75], off offset:3200
	v_fma_f64 v[82:83], -v[100:101], v[36:37], v[28:29]
	v_fmac_f64_e32 v[78:79], v[98:99], v[36:37]
	global_load_dwordx4 v[26:29], v[74:75], off offset:3296
	v_fma_f64 v[84:85], -v[96:97], v[36:37], v[102:103]
	v_fmac_f64_e32 v[0:1], v[94:95], v[36:37]
	global_load_dwordx4 v[34:37], v[74:75], off offset:3280
	global_load_dword v66, v[86:87], off offset:48
	global_load_dwordx4 v[94:97], v[74:75], off offset:3264
	s_waitcnt vmcnt(1)
	v_subrev_u32_e32 v66, s12, v66
	v_lshlrev_b32_e32 v66, 2, v66
	v_ashrrev_i32_e32 v67, 31, v66
	v_lshl_add_u64 v[86:87], v[66:67], 4, s[4:5]
	global_load_dwordx4 v[66:69], v[86:87], off
	s_waitcnt vmcnt(0)
	v_fmac_f64_e32 v[82:83], v[54:55], v[66:67]
	v_fmac_f64_e32 v[78:79], v[56:57], v[66:67]
	v_fma_f64 v[82:83], -v[56:57], v[68:69], v[82:83]
	v_fmac_f64_e32 v[78:79], v[54:55], v[68:69]
	global_load_dwordx4 v[54:57], v[86:87], off offset:16
	v_fmac_f64_e32 v[90:91], v[62:63], v[66:67]
	v_fmac_f64_e32 v[76:77], v[64:65], v[66:67]
	;; [unrolled: 1-line block ×6, first 2 shown]
	v_fma_f64 v[64:65], -v[64:65], v[68:69], v[90:91]
	v_fmac_f64_e32 v[76:77], v[62:63], v[68:69]
	v_fma_f64 v[62:63], -v[60:61], v[68:69], v[88:89]
	v_fmac_f64_e32 v[80:81], v[58:59], v[68:69]
	global_load_dwordx4 v[58:61], v[74:75], off offset:3312
	v_fma_f64 v[66:67], -v[52:53], v[68:69], v[84:85]
	v_fmac_f64_e32 v[0:1], v[50:51], v[68:69]
	global_load_dwordx4 v[50:53], v[86:87], off offset:32
	global_load_dwordx4 v[88:91], v[86:87], off offset:48
	v_lshl_add_u64 v[74:75], v[74:75], 0, s[14:15]
	s_waitcnt vmcnt(3)
	v_fmac_f64_e32 v[64:65], v[42:43], v[54:55]
	v_fmac_f64_e32 v[76:77], v[44:45], v[54:55]
	v_fmac_f64_e32 v[62:63], v[30:31], v[54:55]
	v_fmac_f64_e32 v[80:81], v[32:33], v[54:55]
	v_fmac_f64_e32 v[82:83], v[18:19], v[54:55]
	v_fmac_f64_e32 v[78:79], v[20:21], v[54:55]
	v_fmac_f64_e32 v[66:67], v[10:11], v[54:55]
	v_fmac_f64_e32 v[0:1], v[12:13], v[54:55]
	v_fma_f64 v[44:45], -v[44:45], v[56:57], v[64:65]
	v_fmac_f64_e32 v[76:77], v[42:43], v[56:57]
	v_fma_f64 v[32:33], -v[32:33], v[56:57], v[62:63]
	v_fmac_f64_e32 v[80:81], v[30:31], v[56:57]
	v_fma_f64 v[20:21], -v[20:21], v[56:57], v[82:83]
	v_fmac_f64_e32 v[78:79], v[18:19], v[56:57]
	v_fma_f64 v[12:13], -v[12:13], v[56:57], v[66:67]
	v_fmac_f64_e32 v[0:1], v[10:11], v[56:57]
	s_waitcnt vmcnt(1)
	v_fmac_f64_e32 v[44:45], v[46:47], v[50:51]
	v_fmac_f64_e32 v[76:77], v[48:49], v[50:51]
	v_fmac_f64_e32 v[32:33], v[38:39], v[50:51]
	v_fmac_f64_e32 v[80:81], v[40:41], v[50:51]
	v_fmac_f64_e32 v[20:21], v[22:23], v[50:51]
	v_fmac_f64_e32 v[78:79], v[24:25], v[50:51]
	v_fmac_f64_e32 v[12:13], v[14:15], v[50:51]
	v_fmac_f64_e32 v[0:1], v[16:17], v[50:51]
	v_fma_f64 v[10:11], -v[48:49], v[52:53], v[44:45]
	v_fmac_f64_e32 v[76:77], v[46:47], v[52:53]
	v_fma_f64 v[18:19], -v[40:41], v[52:53], v[32:33]
	v_fmac_f64_e32 v[80:81], v[38:39], v[52:53]
	v_fma_f64 v[20:21], -v[24:25], v[52:53], v[20:21]
	v_fmac_f64_e32 v[78:79], v[22:23], v[52:53]
	v_fma_f64 v[12:13], -v[16:17], v[52:53], v[12:13]
	v_fmac_f64_e32 v[0:1], v[14:15], v[52:53]
	;; [unrolled: 17-line block ×3, first 2 shown]
	s_andn2_b64 exec, exec, s[10:11]
	s_cbranch_execnz .LBB15_31
; %bb.32:
	s_or_b64 exec, exec, s[10:11]
.LBB15_33:
	s_or_b64 exec, exec, s[2:3]
.LBB15_34:
	s_or_b64 exec, exec, s[6:7]
.LBB15_35:
	v_mov_b32_dpp v10, v84 row_shr:1 row_mask:0xf bank_mask:0xf
	v_mov_b32_dpp v11, v85 row_shr:1 row_mask:0xf bank_mask:0xf
	;; [unrolled: 1-line block ×16, first 2 shown]
	v_add_f64 v[10:11], v[84:85], v[10:11]
	v_add_f64 v[14:15], v[76:77], v[14:15]
	;; [unrolled: 1-line block ×8, first 2 shown]
	v_mov_b32_dpp v12, v10 row_shr:2 row_mask:0xf bank_mask:0xf
	v_mov_b32_dpp v13, v11 row_shr:2 row_mask:0xf bank_mask:0xf
	;; [unrolled: 1-line block ×16, first 2 shown]
	v_cmp_eq_u32_e32 vcc, 3, v71
	s_and_b64 exec, exec, vcc
	s_cbranch_execz .LBB15_8
; %bb.36:
	s_load_dwordx2 s[2:3], s[0:1], 0x60
	v_add_f64 v[40:41], v[10:11], v[12:13]
	v_add_f64 v[10:11], v[14:15], v[16:17]
	;; [unrolled: 1-line block ×8, first 2 shown]
	v_cmp_eq_f64_e32 vcc, 0, v[2:3]
	v_cmp_eq_f64_e64 s[0:1], 0, v[4:5]
	v_mul_f64 v[22:23], v[10:11], -v[8:9]
	v_mul_f64 v[24:25], v[6:7], v[10:11]
	v_mul_f64 v[18:19], v[12:13], -v[8:9]
	v_mul_f64 v[20:21], v[6:7], v[12:13]
	;; [unrolled: 2-line block ×4, first 2 shown]
	s_and_b64 s[0:1], vcc, s[0:1]
	v_fmac_f64_e32 v[22:23], v[6:7], v[40:41]
	v_fmac_f64_e32 v[24:25], v[8:9], v[40:41]
	v_lshlrev_b32_e32 v0, 2, v70
	v_fmac_f64_e32 v[18:19], v[6:7], v[42:43]
	v_fmac_f64_e32 v[20:21], v[8:9], v[42:43]
	;; [unrolled: 1-line block ×6, first 2 shown]
	s_waitcnt lgkmcnt(0)
	s_and_saveexec_b64 s[4:5], s[0:1]
	s_xor_b64 s[0:1], exec, s[4:5]
	s_cbranch_execz .LBB15_38
; %bb.37:
	v_ashrrev_i32_e32 v1, 31, v0
	v_lshl_add_u64 v[0:1], v[0:1], 4, s[2:3]
	global_store_dwordx4 v[0:1], v[22:25], off
	global_store_dwordx4 v[0:1], v[18:21], off offset:16
	global_store_dwordx4 v[0:1], v[14:17], off offset:32
	;; [unrolled: 1-line block ×3, first 2 shown]
                                        ; implicit-def: $vgpr4_vgpr5
                                        ; implicit-def: $vgpr22_vgpr23
                                        ; implicit-def: $vgpr0
                                        ; implicit-def: $vgpr18_vgpr19
                                        ; implicit-def: $vgpr14_vgpr15
                                        ; implicit-def: $vgpr10_vgpr11
.LBB15_38:
	s_andn2_saveexec_b64 s[0:1], s[0:1]
	s_cbranch_execz .LBB15_8
; %bb.39:
	v_ashrrev_i32_e32 v1, 31, v0
	v_lshl_add_u64 v[0:1], v[0:1], 4, s[2:3]
	global_load_dwordx4 v[6:9], v[0:1], off
	global_load_dwordx4 v[26:29], v[0:1], off offset:16
	global_load_dwordx4 v[30:33], v[0:1], off offset:32
	;; [unrolled: 1-line block ×3, first 2 shown]
	s_waitcnt vmcnt(3)
	v_fmac_f64_e32 v[22:23], v[2:3], v[6:7]
	v_fmac_f64_e32 v[24:25], v[4:5], v[6:7]
	s_waitcnt vmcnt(2)
	v_fmac_f64_e32 v[18:19], v[2:3], v[26:27]
	v_fmac_f64_e32 v[20:21], v[4:5], v[26:27]
	;; [unrolled: 3-line block ×4, first 2 shown]
	v_fma_f64 v[22:23], -v[4:5], v[8:9], v[22:23]
	v_fmac_f64_e32 v[24:25], v[2:3], v[8:9]
	v_fma_f64 v[18:19], -v[4:5], v[28:29], v[18:19]
	v_fmac_f64_e32 v[20:21], v[2:3], v[28:29]
	;; [unrolled: 2-line block ×4, first 2 shown]
	global_store_dwordx4 v[0:1], v[22:25], off
	global_store_dwordx4 v[0:1], v[18:21], off offset:16
	global_store_dwordx4 v[0:1], v[14:17], off offset:32
	;; [unrolled: 1-line block ×3, first 2 shown]
	s_endpgm
	.section	.rodata,"a",@progbits
	.p2align	6, 0x0
	.amdhsa_kernel _ZN9rocsparseL18bsrxmvn_4x4_kernelILj128ELj4E21rocsparse_complex_numIdEiiS2_S2_S2_EEvT3_20rocsparse_direction_NS_24const_host_device_scalarIT1_EES3_PKS3_PKT2_SC_S9_PKT4_PKT5_S7_PT6_21rocsparse_index_base_b
		.amdhsa_group_segment_fixed_size 0
		.amdhsa_private_segment_fixed_size 0
		.amdhsa_kernarg_size 112
		.amdhsa_user_sgpr_count 2
		.amdhsa_user_sgpr_dispatch_ptr 0
		.amdhsa_user_sgpr_queue_ptr 0
		.amdhsa_user_sgpr_kernarg_segment_ptr 1
		.amdhsa_user_sgpr_dispatch_id 0
		.amdhsa_user_sgpr_kernarg_preload_length 0
		.amdhsa_user_sgpr_kernarg_preload_offset 0
		.amdhsa_user_sgpr_private_segment_size 0
		.amdhsa_uses_dynamic_stack 0
		.amdhsa_enable_private_segment 0
		.amdhsa_system_sgpr_workgroup_id_x 1
		.amdhsa_system_sgpr_workgroup_id_y 0
		.amdhsa_system_sgpr_workgroup_id_z 0
		.amdhsa_system_sgpr_workgroup_info 0
		.amdhsa_system_vgpr_workitem_id 0
		.amdhsa_next_free_vgpr 118
		.amdhsa_next_free_sgpr 18
		.amdhsa_accum_offset 120
		.amdhsa_reserve_vcc 1
		.amdhsa_float_round_mode_32 0
		.amdhsa_float_round_mode_16_64 0
		.amdhsa_float_denorm_mode_32 3
		.amdhsa_float_denorm_mode_16_64 3
		.amdhsa_dx10_clamp 1
		.amdhsa_ieee_mode 1
		.amdhsa_fp16_overflow 0
		.amdhsa_tg_split 0
		.amdhsa_exception_fp_ieee_invalid_op 0
		.amdhsa_exception_fp_denorm_src 0
		.amdhsa_exception_fp_ieee_div_zero 0
		.amdhsa_exception_fp_ieee_overflow 0
		.amdhsa_exception_fp_ieee_underflow 0
		.amdhsa_exception_fp_ieee_inexact 0
		.amdhsa_exception_int_div_zero 0
	.end_amdhsa_kernel
	.section	.text._ZN9rocsparseL18bsrxmvn_4x4_kernelILj128ELj4E21rocsparse_complex_numIdEiiS2_S2_S2_EEvT3_20rocsparse_direction_NS_24const_host_device_scalarIT1_EES3_PKS3_PKT2_SC_S9_PKT4_PKT5_S7_PT6_21rocsparse_index_base_b,"axG",@progbits,_ZN9rocsparseL18bsrxmvn_4x4_kernelILj128ELj4E21rocsparse_complex_numIdEiiS2_S2_S2_EEvT3_20rocsparse_direction_NS_24const_host_device_scalarIT1_EES3_PKS3_PKT2_SC_S9_PKT4_PKT5_S7_PT6_21rocsparse_index_base_b,comdat
.Lfunc_end15:
	.size	_ZN9rocsparseL18bsrxmvn_4x4_kernelILj128ELj4E21rocsparse_complex_numIdEiiS2_S2_S2_EEvT3_20rocsparse_direction_NS_24const_host_device_scalarIT1_EES3_PKS3_PKT2_SC_S9_PKT4_PKT5_S7_PT6_21rocsparse_index_base_b, .Lfunc_end15-_ZN9rocsparseL18bsrxmvn_4x4_kernelILj128ELj4E21rocsparse_complex_numIdEiiS2_S2_S2_EEvT3_20rocsparse_direction_NS_24const_host_device_scalarIT1_EES3_PKS3_PKT2_SC_S9_PKT4_PKT5_S7_PT6_21rocsparse_index_base_b
                                        ; -- End function
	.set _ZN9rocsparseL18bsrxmvn_4x4_kernelILj128ELj4E21rocsparse_complex_numIdEiiS2_S2_S2_EEvT3_20rocsparse_direction_NS_24const_host_device_scalarIT1_EES3_PKS3_PKT2_SC_S9_PKT4_PKT5_S7_PT6_21rocsparse_index_base_b.num_vgpr, 118
	.set _ZN9rocsparseL18bsrxmvn_4x4_kernelILj128ELj4E21rocsparse_complex_numIdEiiS2_S2_S2_EEvT3_20rocsparse_direction_NS_24const_host_device_scalarIT1_EES3_PKS3_PKT2_SC_S9_PKT4_PKT5_S7_PT6_21rocsparse_index_base_b.num_agpr, 0
	.set _ZN9rocsparseL18bsrxmvn_4x4_kernelILj128ELj4E21rocsparse_complex_numIdEiiS2_S2_S2_EEvT3_20rocsparse_direction_NS_24const_host_device_scalarIT1_EES3_PKS3_PKT2_SC_S9_PKT4_PKT5_S7_PT6_21rocsparse_index_base_b.numbered_sgpr, 18
	.set _ZN9rocsparseL18bsrxmvn_4x4_kernelILj128ELj4E21rocsparse_complex_numIdEiiS2_S2_S2_EEvT3_20rocsparse_direction_NS_24const_host_device_scalarIT1_EES3_PKS3_PKT2_SC_S9_PKT4_PKT5_S7_PT6_21rocsparse_index_base_b.num_named_barrier, 0
	.set _ZN9rocsparseL18bsrxmvn_4x4_kernelILj128ELj4E21rocsparse_complex_numIdEiiS2_S2_S2_EEvT3_20rocsparse_direction_NS_24const_host_device_scalarIT1_EES3_PKS3_PKT2_SC_S9_PKT4_PKT5_S7_PT6_21rocsparse_index_base_b.private_seg_size, 0
	.set _ZN9rocsparseL18bsrxmvn_4x4_kernelILj128ELj4E21rocsparse_complex_numIdEiiS2_S2_S2_EEvT3_20rocsparse_direction_NS_24const_host_device_scalarIT1_EES3_PKS3_PKT2_SC_S9_PKT4_PKT5_S7_PT6_21rocsparse_index_base_b.uses_vcc, 1
	.set _ZN9rocsparseL18bsrxmvn_4x4_kernelILj128ELj4E21rocsparse_complex_numIdEiiS2_S2_S2_EEvT3_20rocsparse_direction_NS_24const_host_device_scalarIT1_EES3_PKS3_PKT2_SC_S9_PKT4_PKT5_S7_PT6_21rocsparse_index_base_b.uses_flat_scratch, 0
	.set _ZN9rocsparseL18bsrxmvn_4x4_kernelILj128ELj4E21rocsparse_complex_numIdEiiS2_S2_S2_EEvT3_20rocsparse_direction_NS_24const_host_device_scalarIT1_EES3_PKS3_PKT2_SC_S9_PKT4_PKT5_S7_PT6_21rocsparse_index_base_b.has_dyn_sized_stack, 0
	.set _ZN9rocsparseL18bsrxmvn_4x4_kernelILj128ELj4E21rocsparse_complex_numIdEiiS2_S2_S2_EEvT3_20rocsparse_direction_NS_24const_host_device_scalarIT1_EES3_PKS3_PKT2_SC_S9_PKT4_PKT5_S7_PT6_21rocsparse_index_base_b.has_recursion, 0
	.set _ZN9rocsparseL18bsrxmvn_4x4_kernelILj128ELj4E21rocsparse_complex_numIdEiiS2_S2_S2_EEvT3_20rocsparse_direction_NS_24const_host_device_scalarIT1_EES3_PKS3_PKT2_SC_S9_PKT4_PKT5_S7_PT6_21rocsparse_index_base_b.has_indirect_call, 0
	.section	.AMDGPU.csdata,"",@progbits
; Kernel info:
; codeLenInByte = 7156
; TotalNumSgprs: 24
; NumVgprs: 118
; NumAgprs: 0
; TotalNumVgprs: 118
; ScratchSize: 0
; MemoryBound: 1
; FloatMode: 240
; IeeeMode: 1
; LDSByteSize: 0 bytes/workgroup (compile time only)
; SGPRBlocks: 2
; VGPRBlocks: 14
; NumSGPRsForWavesPerEU: 24
; NumVGPRsForWavesPerEU: 118
; AccumOffset: 120
; Occupancy: 4
; WaveLimiterHint : 1
; COMPUTE_PGM_RSRC2:SCRATCH_EN: 0
; COMPUTE_PGM_RSRC2:USER_SGPR: 2
; COMPUTE_PGM_RSRC2:TRAP_HANDLER: 0
; COMPUTE_PGM_RSRC2:TGID_X_EN: 1
; COMPUTE_PGM_RSRC2:TGID_Y_EN: 0
; COMPUTE_PGM_RSRC2:TGID_Z_EN: 0
; COMPUTE_PGM_RSRC2:TIDIG_COMP_CNT: 0
; COMPUTE_PGM_RSRC3_GFX90A:ACCUM_OFFSET: 29
; COMPUTE_PGM_RSRC3_GFX90A:TG_SPLIT: 0
	.section	.text._ZN9rocsparseL18bsrxmvn_4x4_kernelILj128ELj8E21rocsparse_complex_numIdEiiS2_S2_S2_EEvT3_20rocsparse_direction_NS_24const_host_device_scalarIT1_EES3_PKS3_PKT2_SC_S9_PKT4_PKT5_S7_PT6_21rocsparse_index_base_b,"axG",@progbits,_ZN9rocsparseL18bsrxmvn_4x4_kernelILj128ELj8E21rocsparse_complex_numIdEiiS2_S2_S2_EEvT3_20rocsparse_direction_NS_24const_host_device_scalarIT1_EES3_PKS3_PKT2_SC_S9_PKT4_PKT5_S7_PT6_21rocsparse_index_base_b,comdat
	.globl	_ZN9rocsparseL18bsrxmvn_4x4_kernelILj128ELj8E21rocsparse_complex_numIdEiiS2_S2_S2_EEvT3_20rocsparse_direction_NS_24const_host_device_scalarIT1_EES3_PKS3_PKT2_SC_S9_PKT4_PKT5_S7_PT6_21rocsparse_index_base_b ; -- Begin function _ZN9rocsparseL18bsrxmvn_4x4_kernelILj128ELj8E21rocsparse_complex_numIdEiiS2_S2_S2_EEvT3_20rocsparse_direction_NS_24const_host_device_scalarIT1_EES3_PKS3_PKT2_SC_S9_PKT4_PKT5_S7_PT6_21rocsparse_index_base_b
	.p2align	8
	.type	_ZN9rocsparseL18bsrxmvn_4x4_kernelILj128ELj8E21rocsparse_complex_numIdEiiS2_S2_S2_EEvT3_20rocsparse_direction_NS_24const_host_device_scalarIT1_EES3_PKS3_PKT2_SC_S9_PKT4_PKT5_S7_PT6_21rocsparse_index_base_b,@function
_ZN9rocsparseL18bsrxmvn_4x4_kernelILj128ELj8E21rocsparse_complex_numIdEiiS2_S2_S2_EEvT3_20rocsparse_direction_NS_24const_host_device_scalarIT1_EES3_PKS3_PKT2_SC_S9_PKT4_PKT5_S7_PT6_21rocsparse_index_base_b: ; @_ZN9rocsparseL18bsrxmvn_4x4_kernelILj128ELj8E21rocsparse_complex_numIdEiiS2_S2_S2_EEvT3_20rocsparse_direction_NS_24const_host_device_scalarIT1_EES3_PKS3_PKT2_SC_S9_PKT4_PKT5_S7_PT6_21rocsparse_index_base_b
; %bb.0:
	s_load_dwordx2 s[4:5], s[0:1], 0x8
	s_load_dwordx2 s[12:13], s[0:1], 0x68
	s_add_u32 s3, s0, 8
	s_addc_u32 s8, s1, 0
	s_add_u32 s9, s0, 0x50
	s_load_dwordx2 s[6:7], s[0:1], 0x50
	s_addc_u32 s10, s1, 0
	s_waitcnt lgkmcnt(0)
	s_bitcmp1_b32 s13, 0
	s_cselect_b32 s5, s8, s5
	s_cselect_b32 s3, s3, s4
	v_mov_b32_e32 v2, s3
	v_mov_b32_e32 v3, s5
	flat_load_dwordx4 v[6:9], v[2:3]
	s_cselect_b32 s3, s10, s7
	s_cselect_b32 s4, s9, s6
	v_mov_b32_e32 v2, s4
	v_mov_b32_e32 v3, s3
	flat_load_dwordx4 v[2:5], v[2:3]
	s_waitcnt vmcnt(0) lgkmcnt(0)
	v_cmp_eq_f64_e32 vcc, 0, v[6:7]
	v_cmp_eq_f64_e64 s[4:5], 0, v[8:9]
	s_and_b64 s[8:9], vcc, s[4:5]
	s_mov_b64 s[4:5], -1
	s_and_saveexec_b64 s[6:7], s[8:9]
; %bb.1:
	v_cmp_neq_f64_e32 vcc, 1.0, v[2:3]
	v_cmp_neq_f64_e64 s[4:5], 0, v[4:5]
	s_or_b64 s[4:5], vcc, s[4:5]
	s_orn2_b64 s[4:5], s[4:5], exec
; %bb.2:
	s_or_b64 exec, exec, s[6:7]
	s_and_saveexec_b64 s[6:7], s[4:5]
	s_cbranch_execz .LBB16_8
; %bb.3:
	s_load_dwordx2 s[4:5], s[0:1], 0x20
	s_load_dwordx2 s[14:15], s[0:1], 0x0
	v_lshrrev_b32_e32 v1, 3, v0
	v_lshl_or_b32 v70, s2, 4, v1
	s_mov_b64 s[2:3], 0
	s_waitcnt lgkmcnt(0)
	s_cmp_lg_u64 s[4:5], 0
	s_cbranch_scc0 .LBB16_9
; %bb.4:
	s_load_dword s6, s[0:1], 0x18
                                        ; implicit-def: $vgpr1
	s_waitcnt lgkmcnt(0)
	v_cmp_gt_i32_e32 vcc, s6, v70
	s_and_saveexec_b64 s[6:7], vcc
	s_xor_b64 s[6:7], exec, s[6:7]
	s_cbranch_execz .LBB16_6
; %bb.5:
	v_ashrrev_i32_e32 v71, 31, v70
	v_lshl_add_u64 v[10:11], v[70:71], 2, s[4:5]
	global_load_dword v1, v[10:11], off
	s_mov_b64 s[2:3], exec
	s_waitcnt vmcnt(0)
	v_subrev_u32_e32 v1, s12, v1
.LBB16_6:
	s_or_b64 exec, exec, s[6:7]
	s_branch .LBB16_10
.LBB16_7:
	v_cmp_gt_i32_e32 vcc, s14, v70
	s_andn2_b64 s[2:3], s[2:3], exec
	s_and_b64 s[4:5], vcc, exec
	s_or_b64 s[2:3], s[2:3], s[4:5]
	s_and_b64 exec, exec, s[2:3]
	s_cbranch_execnz .LBB16_11
.LBB16_8:
	s_endpgm
.LBB16_9:
                                        ; implicit-def: $vgpr1
	s_cbranch_execnz .LBB16_7
.LBB16_10:
	v_mov_b32_e32 v70, v1
	s_and_b64 exec, exec, s[2:3]
	s_cbranch_execz .LBB16_8
.LBB16_11:
	s_load_dwordx8 s[4:11], s[0:1], 0x28
	v_ashrrev_i32_e32 v71, 31, v70
	v_lshlrev_b64 v[10:11], 2, v[70:71]
	v_and_b32_e32 v71, 7, v0
	s_waitcnt lgkmcnt(0)
	v_lshl_add_u64 v[12:13], s[4:5], 0, v[10:11]
	s_cmp_eq_u64 s[6:7], 0
	global_load_dword v38, v[12:13], off
	v_lshl_add_u64 v[12:13], v[12:13], 0, 4
	v_lshl_add_u64 v[10:11], s[6:7], 0, v[10:11]
	s_cselect_b64 vcc, -1, 0
	v_cndmask_b32_e32 v11, v11, v13, vcc
	v_cndmask_b32_e32 v10, v10, v12, vcc
	global_load_dword v1, v[10:11], off
	s_load_dwordx2 s[4:5], s[0:1], 0x48
	s_cmp_eq_u32 s15, 1
	s_waitcnt vmcnt(1)
	v_subrev_u32_e32 v0, s12, v38
	v_add_u32_e32 v78, v0, v71
	v_ashrrev_i32_e32 v79, 31, v78
	s_waitcnt vmcnt(0)
	v_subrev_u32_e32 v92, s12, v1
	v_lshlrev_b64 v[0:1], 8, v[78:79]
	v_lshl_add_u64 v[80:81], s[10:11], 0, v[0:1]
	v_cmp_lt_i32_e64 s[2:3], v78, v92
	s_cbranch_scc1 .LBB16_23
; %bb.12:
	v_mov_b64_e32 v[76:77], 0
	v_mov_b64_e32 v[84:85], 0
	;; [unrolled: 1-line block ×8, first 2 shown]
	s_and_saveexec_b64 s[6:7], s[2:3]
	s_cbranch_execz .LBB16_22
; %bb.13:
	v_add_u32_e32 v0, v38, v71
	v_subrev_u32_e32 v0, s12, v0
	v_add_u32_e32 v0, 8, v0
	v_max_i32_e32 v0, v0, v92
	v_not_b32_e32 v1, v38
	v_add3_u32 v0, s12, v0, v1
	v_sub_u32_e32 v14, v0, v71
	v_and_b32_e32 v0, 24, v14
	v_cmp_ne_u32_e32 vcc, 24, v0
	v_mov_b64_e32 v[74:75], 0
	v_mov_b64_e32 v[82:83], 0
	;; [unrolled: 1-line block ×9, first 2 shown]
	v_mov_b32_e32 v26, v78
	s_and_saveexec_b64 s[10:11], vcc
	s_cbranch_execz .LBB16_17
; %bb.14:
	v_lshrrev_b32_e32 v0, 3, v14
	v_add_u32_e32 v0, 1, v0
	v_and_b32_e32 v0, 3, v0
	v_sub_u32_e32 v15, 0, v0
	v_mov_b64_e32 v[76:77], 0
	s_mov_b64 s[14:15], 0
	s_mov_b64 s[16:17], 0x800
	v_mov_b32_e32 v26, v78
	v_mov_b64_e32 v[28:29], v[80:81]
	v_mov_b64_e32 v[84:85], 0
	;; [unrolled: 1-line block ×8, first 2 shown]
.LBB16_15:                              ; =>This Inner Loop Header: Depth=1
	v_ashrrev_i32_e32 v27, 31, v26
	v_lshl_add_u64 v[24:25], v[26:27], 2, s[8:9]
	global_load_dwordx4 v[10:13], v[28:29], off offset:16
	global_load_dwordx4 v[16:19], v[28:29], off
	global_load_dwordx4 v[20:23], v[28:29], off offset:80
	global_load_dwordx4 v[30:33], v[28:29], off offset:64
	;; [unrolled: 1-line block ×13, first 2 shown]
	v_add_co_u32_e32 v15, vcc, 1, v15
	global_load_dword v24, v[24:25], off
	v_add_u32_e32 v26, 8, v26
	s_or_b64 s[14:15], vcc, s[14:15]
	s_waitcnt vmcnt(0)
	v_subrev_u32_e32 v24, s12, v24
	v_lshlrev_b32_e32 v24, 2, v24
	v_ashrrev_i32_e32 v25, 31, v24
	s_waitcnt lgkmcnt(0)
	v_lshl_add_u64 v[24:25], v[24:25], 4, s[4:5]
	global_load_dwordx4 v[106:109], v[24:25], off
	global_load_dwordx4 v[110:113], v[24:25], off offset:16
	s_waitcnt vmcnt(1)
	v_fmac_f64_e32 v[84:85], v[16:17], v[106:107]
	v_fmac_f64_e32 v[76:77], v[18:19], v[106:107]
	;; [unrolled: 1-line block ×4, first 2 shown]
	v_fma_f64 v[64:65], -v[18:19], v[108:109], v[84:85]
	v_fmac_f64_e32 v[76:77], v[16:17], v[108:109]
	global_load_dwordx4 v[16:19], v[28:29], off offset:224
	v_fma_f64 v[82:83], -v[32:33], v[108:109], v[82:83]
	v_fmac_f64_e32 v[74:75], v[30:31], v[108:109]
	global_load_dwordx4 v[30:33], v[24:25], off offset:32
	v_fmac_f64_e32 v[68:69], v[40:41], v[106:107]
	v_fmac_f64_e32 v[72:73], v[42:43], v[106:107]
	v_fma_f64 v[68:69], -v[42:43], v[108:109], v[68:69]
	v_fmac_f64_e32 v[72:73], v[40:41], v[108:109]
	global_load_dwordx4 v[40:43], v[24:25], off offset:48
	v_fmac_f64_e32 v[66:67], v[48:49], v[106:107]
	v_fmac_f64_e32 v[0:1], v[50:51], v[106:107]
	v_fma_f64 v[24:25], -v[50:51], v[108:109], v[66:67]
	v_fmac_f64_e32 v[0:1], v[48:49], v[108:109]
	s_waitcnt vmcnt(3)
	v_fmac_f64_e32 v[64:65], v[10:11], v[110:111]
	v_fmac_f64_e32 v[76:77], v[12:13], v[110:111]
	;; [unrolled: 1-line block ×8, first 2 shown]
	v_fma_f64 v[12:13], -v[12:13], v[112:113], v[64:65]
	v_fmac_f64_e32 v[76:77], v[10:11], v[112:113]
	v_fma_f64 v[10:11], -v[22:23], v[112:113], v[82:83]
	v_fmac_f64_e32 v[74:75], v[20:21], v[112:113]
	;; [unrolled: 2-line block ×4, first 2 shown]
	v_lshl_add_u64 v[28:29], v[28:29], 0, s[16:17]
	s_waitcnt vmcnt(1)
	v_fmac_f64_e32 v[12:13], v[56:57], v[30:31]
	v_fmac_f64_e32 v[76:77], v[58:59], v[30:31]
	;; [unrolled: 1-line block ×8, first 2 shown]
	v_fma_f64 v[12:13], -v[58:59], v[32:33], v[12:13]
	v_fmac_f64_e32 v[76:77], v[56:57], v[32:33]
	v_fma_f64 v[10:11], -v[88:89], v[32:33], v[10:11]
	v_fmac_f64_e32 v[74:75], v[86:87], v[32:33]
	;; [unrolled: 2-line block ×4, first 2 shown]
	s_waitcnt vmcnt(0)
	v_fmac_f64_e32 v[12:13], v[52:53], v[40:41]
	v_fmac_f64_e32 v[76:77], v[54:55], v[40:41]
	;; [unrolled: 1-line block ×8, first 2 shown]
	v_fma_f64 v[84:85], -v[54:55], v[42:43], v[12:13]
	v_fmac_f64_e32 v[76:77], v[52:53], v[42:43]
	v_fma_f64 v[82:83], -v[62:63], v[42:43], v[10:11]
	v_fmac_f64_e32 v[74:75], v[60:61], v[42:43]
	;; [unrolled: 2-line block ×4, first 2 shown]
	s_andn2_b64 exec, exec, s[14:15]
	s_cbranch_execnz .LBB16_15
; %bb.16:
	s_or_b64 exec, exec, s[14:15]
.LBB16_17:
	s_or_b64 exec, exec, s[10:11]
	v_cmp_lt_u32_e32 vcc, 23, v14
	s_and_saveexec_b64 s[10:11], vcc
	s_cbranch_execz .LBB16_21
; %bb.18:
	s_mov_b64 s[14:15], 0
	s_mov_b64 s[16:17], 0x1000
	s_movk_i32 s13, 0x1000
	s_mov_b64 s[18:19], 0x2000
.LBB16_19:                              ; =>This Inner Loop Header: Depth=1
	v_ashrrev_i32_e32 v27, 31, v26
	v_lshl_add_u64 v[30:31], v[26:27], 2, s[8:9]
	global_load_dword v10, v[30:31], off
	global_load_dwordx4 v[34:37], v[28:29], off offset:48
	global_load_dwordx4 v[40:43], v[28:29], off offset:32
	global_load_dwordx4 v[44:47], v[28:29], off offset:16
	global_load_dwordx4 v[48:51], v[28:29], off
	v_add_u32_e32 v26, 32, v26
	s_waitcnt vmcnt(4)
	v_subrev_u32_e32 v10, s12, v10
	v_lshlrev_b32_e32 v10, 2, v10
	v_ashrrev_i32_e32 v11, 31, v10
	s_waitcnt lgkmcnt(0)
	v_lshl_add_u64 v[32:33], v[10:11], 4, s[4:5]
	global_load_dwordx4 v[10:13], v[32:33], off offset:48
	global_load_dwordx4 v[14:17], v[32:33], off offset:32
	;; [unrolled: 1-line block ×3, first 2 shown]
	global_load_dwordx4 v[22:25], v[32:33], off
	s_waitcnt vmcnt(0)
	v_fmac_f64_e32 v[84:85], v[48:49], v[22:23]
	v_fmac_f64_e32 v[76:77], v[50:51], v[22:23]
	v_fma_f64 v[32:33], -v[50:51], v[24:25], v[84:85]
	v_fmac_f64_e32 v[76:77], v[48:49], v[24:25]
	v_fmac_f64_e32 v[32:33], v[44:45], v[18:19]
	v_fmac_f64_e32 v[76:77], v[46:47], v[18:19]
	v_fma_f64 v[32:33], -v[46:47], v[20:21], v[32:33]
	v_fmac_f64_e32 v[76:77], v[44:45], v[20:21]
	v_fmac_f64_e32 v[32:33], v[40:41], v[14:15]
	v_fmac_f64_e32 v[76:77], v[42:43], v[14:15]
	v_fma_f64 v[32:33], -v[42:43], v[16:17], v[32:33]
	v_fmac_f64_e32 v[76:77], v[40:41], v[16:17]
	v_fmac_f64_e32 v[32:33], v[34:35], v[10:11]
	v_fmac_f64_e32 v[76:77], v[36:37], v[10:11]
	v_fma_f64 v[32:33], -v[36:37], v[12:13], v[32:33]
	v_fmac_f64_e32 v[76:77], v[34:35], v[12:13]
	global_load_dwordx4 v[40:43], v[28:29], off offset:112
	global_load_dwordx4 v[34:37], v[28:29], off offset:96
	global_load_dwordx4 v[44:47], v[28:29], off offset:80
	global_load_dwordx4 v[48:51], v[28:29], off offset:64
	s_waitcnt vmcnt(0)
	v_fmac_f64_e32 v[82:83], v[48:49], v[22:23]
	v_fmac_f64_e32 v[74:75], v[50:51], v[22:23]
	v_fma_f64 v[52:53], -v[50:51], v[24:25], v[82:83]
	v_fmac_f64_e32 v[74:75], v[48:49], v[24:25]
	v_fmac_f64_e32 v[52:53], v[44:45], v[18:19]
	v_fmac_f64_e32 v[74:75], v[46:47], v[18:19]
	v_fma_f64 v[48:49], -v[46:47], v[20:21], v[52:53]
	v_fmac_f64_e32 v[74:75], v[44:45], v[20:21]
	v_fmac_f64_e32 v[48:49], v[34:35], v[14:15]
	v_fmac_f64_e32 v[74:75], v[36:37], v[14:15]
	v_fma_f64 v[44:45], -v[36:37], v[16:17], v[48:49]
	v_fmac_f64_e32 v[74:75], v[34:35], v[16:17]
	v_fmac_f64_e32 v[44:45], v[40:41], v[10:11]
	v_fmac_f64_e32 v[74:75], v[42:43], v[10:11]
	v_fma_f64 v[34:35], -v[42:43], v[12:13], v[44:45]
	v_fmac_f64_e32 v[74:75], v[40:41], v[12:13]
	global_load_dwordx4 v[40:43], v[28:29], off offset:176
	global_load_dwordx4 v[44:47], v[28:29], off offset:160
	global_load_dwordx4 v[48:51], v[28:29], off offset:144
	global_load_dwordx4 v[52:55], v[28:29], off offset:128
	;; [unrolled: 21-line block ×3, first 2 shown]
	s_waitcnt vmcnt(0)
	v_fmac_f64_e32 v[66:67], v[52:53], v[22:23]
	v_fmac_f64_e32 v[0:1], v[54:55], v[22:23]
	v_fma_f64 v[56:57], -v[54:55], v[24:25], v[66:67]
	v_fmac_f64_e32 v[0:1], v[52:53], v[24:25]
	v_fmac_f64_e32 v[56:57], v[48:49], v[18:19]
	v_fmac_f64_e32 v[0:1], v[50:51], v[18:19]
	v_fma_f64 v[22:23], -v[50:51], v[20:21], v[56:57]
	v_fmac_f64_e32 v[0:1], v[48:49], v[20:21]
	;; [unrolled: 4-line block ×3, first 2 shown]
	v_fmac_f64_e32 v[18:19], v[40:41], v[10:11]
	v_fmac_f64_e32 v[0:1], v[42:43], v[10:11]
	global_load_dword v10, v[30:31], off offset:32
	v_fmac_f64_e32 v[0:1], v[40:41], v[12:13]
	v_fma_f64 v[64:65], -v[42:43], v[12:13], v[18:19]
	s_waitcnt vmcnt(0)
	v_subrev_u32_e32 v10, s12, v10
	v_lshlrev_b32_e32 v40, 2, v10
	v_ashrrev_i32_e32 v41, 31, v40
	v_lshl_add_u64 v[56:57], v[40:41], 4, s[4:5]
	global_load_dwordx4 v[14:17], v[28:29], off offset:2096
	global_load_dwordx4 v[10:13], v[28:29], off offset:2080
	;; [unrolled: 1-line block ×7, first 2 shown]
	global_load_dwordx4 v[52:55], v[56:57], off
	s_waitcnt vmcnt(0)
	v_fmac_f64_e32 v[32:33], v[22:23], v[52:53]
	v_fmac_f64_e32 v[76:77], v[24:25], v[52:53]
	v_fma_f64 v[32:33], -v[24:25], v[54:55], v[32:33]
	v_fmac_f64_e32 v[76:77], v[22:23], v[54:55]
	v_fmac_f64_e32 v[32:33], v[18:19], v[48:49]
	v_fmac_f64_e32 v[76:77], v[20:21], v[48:49]
	v_fma_f64 v[22:23], -v[20:21], v[50:51], v[32:33]
	v_fmac_f64_e32 v[76:77], v[18:19], v[50:51]
	v_fmac_f64_e32 v[22:23], v[10:11], v[44:45]
	v_fmac_f64_e32 v[76:77], v[12:13], v[44:45]
	v_fma_f64 v[18:19], -v[12:13], v[46:47], v[22:23]
	v_fmac_f64_e32 v[76:77], v[10:11], v[46:47]
	v_fmac_f64_e32 v[18:19], v[14:15], v[40:41]
	v_fmac_f64_e32 v[76:77], v[16:17], v[40:41]
	v_fma_f64 v[12:13], -v[16:17], v[42:43], v[18:19]
	v_fmac_f64_e32 v[76:77], v[14:15], v[42:43]
	global_load_dwordx4 v[18:21], v[28:29], off offset:2160
	global_load_dwordx4 v[14:17], v[28:29], off offset:2144
	;; [unrolled: 1-line block ×4, first 2 shown]
	s_waitcnt vmcnt(0)
	v_fmac_f64_e32 v[34:35], v[56:57], v[52:53]
	v_fma_f64 v[10:11], -v[58:59], v[54:55], v[34:35]
	v_fmac_f64_e32 v[74:75], v[58:59], v[52:53]
	v_fmac_f64_e32 v[74:75], v[56:57], v[54:55]
	v_fmac_f64_e32 v[10:11], v[22:23], v[48:49]
	v_fma_f64 v[10:11], -v[24:25], v[50:51], v[10:11]
	v_fmac_f64_e32 v[74:75], v[24:25], v[48:49]
	v_fmac_f64_e32 v[74:75], v[22:23], v[50:51]
	;; [unrolled: 4-line block ×3, first 2 shown]
	v_fmac_f64_e32 v[10:11], v[18:19], v[40:41]
	v_fma_f64 v[16:17], -v[20:21], v[42:43], v[10:11]
	v_fmac_f64_e32 v[74:75], v[20:21], v[40:41]
	global_load_dwordx4 v[20:23], v[28:29], off offset:2224
	global_load_dwordx4 v[32:35], v[28:29], off offset:2208
	;; [unrolled: 1-line block ×4, first 2 shown]
	v_fmac_f64_e32 v[74:75], v[18:19], v[42:43]
	s_waitcnt vmcnt(0)
	v_fmac_f64_e32 v[36:37], v[60:61], v[52:53]
	v_fma_f64 v[10:11], -v[62:63], v[54:55], v[36:37]
	v_fmac_f64_e32 v[72:73], v[62:63], v[52:53]
	v_fmac_f64_e32 v[72:73], v[60:61], v[54:55]
	v_fmac_f64_e32 v[10:11], v[56:57], v[48:49]
	v_fma_f64 v[10:11], -v[58:59], v[50:51], v[10:11]
	v_fmac_f64_e32 v[72:73], v[58:59], v[48:49]
	v_fmac_f64_e32 v[72:73], v[56:57], v[50:51]
	;; [unrolled: 4-line block ×3, first 2 shown]
	v_fmac_f64_e32 v[10:11], v[20:21], v[40:41]
	v_fma_f64 v[18:19], -v[22:23], v[42:43], v[10:11]
	v_fmac_f64_e32 v[72:73], v[22:23], v[40:41]
	global_load_dwordx4 v[22:25], v[28:29], off offset:2288
	global_load_dwordx4 v[32:35], v[28:29], off offset:2272
	;; [unrolled: 1-line block ×4, first 2 shown]
	global_load_dword v14, v[30:31], off offset:64
	v_add_co_u32_e32 v36, vcc, s13, v28
	v_fmac_f64_e32 v[72:73], v[20:21], v[42:43]
	s_nop 0
	v_addc_co_u32_e32 v37, vcc, 0, v29, vcc
	v_cmp_ge_i32_e32 vcc, v26, v92
	s_or_b64 s[14:15], vcc, s[14:15]
	s_waitcnt vmcnt(1)
	v_fmac_f64_e32 v[64:65], v[60:61], v[52:53]
	v_fmac_f64_e32 v[0:1], v[62:63], v[52:53]
	v_fma_f64 v[10:11], -v[62:63], v[54:55], v[64:65]
	v_fmac_f64_e32 v[0:1], v[60:61], v[54:55]
	v_fmac_f64_e32 v[10:11], v[56:57], v[48:49]
	;; [unrolled: 1-line block ×3, first 2 shown]
	v_fma_f64 v[10:11], -v[58:59], v[50:51], v[10:11]
	v_fmac_f64_e32 v[0:1], v[56:57], v[50:51]
	s_waitcnt vmcnt(0)
	v_subrev_u32_e32 v14, s12, v14
	v_fmac_f64_e32 v[10:11], v[32:33], v[44:45]
	v_fmac_f64_e32 v[0:1], v[34:35], v[44:45]
	v_lshlrev_b32_e32 v14, 2, v14
	v_fma_f64 v[10:11], -v[34:35], v[46:47], v[10:11]
	v_fmac_f64_e32 v[0:1], v[32:33], v[46:47]
	v_ashrrev_i32_e32 v15, 31, v14
	v_fmac_f64_e32 v[10:11], v[22:23], v[40:41]
	v_fmac_f64_e32 v[0:1], v[24:25], v[40:41]
	v_lshl_add_u64 v[14:15], v[14:15], 4, s[4:5]
	v_fma_f64 v[20:21], -v[24:25], v[42:43], v[10:11]
	v_fmac_f64_e32 v[0:1], v[22:23], v[42:43]
	v_lshl_add_u64 v[10:11], v[28:29], 0, s[16:17]
	global_load_dwordx4 v[22:25], v[36:37], off
	global_load_dwordx4 v[32:35], v[10:11], off offset:48
	global_load_dwordx4 v[40:43], v[10:11], off offset:32
	;; [unrolled: 1-line block ×6, first 2 shown]
	global_load_dwordx4 v[60:63], v[14:15], off
	v_lshl_add_u64 v[28:29], v[28:29], 0, s[18:19]
	s_waitcnt vmcnt(0)
	v_fmac_f64_e32 v[12:13], v[22:23], v[60:61]
	v_fmac_f64_e32 v[76:77], v[24:25], v[60:61]
	v_fma_f64 v[12:13], -v[24:25], v[62:63], v[12:13]
	v_fmac_f64_e32 v[76:77], v[22:23], v[62:63]
	v_fmac_f64_e32 v[12:13], v[44:45], v[56:57]
	v_fmac_f64_e32 v[76:77], v[46:47], v[56:57]
	v_fma_f64 v[12:13], -v[46:47], v[58:59], v[12:13]
	v_fmac_f64_e32 v[76:77], v[44:45], v[58:59]
	v_fmac_f64_e32 v[12:13], v[40:41], v[52:53]
	v_fmac_f64_e32 v[76:77], v[42:43], v[52:53]
	v_fma_f64 v[12:13], -v[42:43], v[54:55], v[12:13]
	v_fmac_f64_e32 v[76:77], v[40:41], v[54:55]
	v_fmac_f64_e32 v[12:13], v[32:33], v[48:49]
	v_fmac_f64_e32 v[76:77], v[34:35], v[48:49]
	v_fma_f64 v[14:15], -v[34:35], v[50:51], v[12:13]
	v_fmac_f64_e32 v[76:77], v[32:33], v[50:51]
	global_load_dwordx4 v[22:25], v[10:11], off offset:112
	global_load_dwordx4 v[32:35], v[10:11], off offset:96
	global_load_dwordx4 v[40:43], v[10:11], off offset:80
	global_load_dwordx4 v[44:47], v[10:11], off offset:64
	s_waitcnt vmcnt(0)
	v_fmac_f64_e32 v[16:17], v[44:45], v[60:61]
	v_fmac_f64_e32 v[74:75], v[46:47], v[60:61]
	v_fma_f64 v[12:13], -v[46:47], v[62:63], v[16:17]
	v_fmac_f64_e32 v[74:75], v[44:45], v[62:63]
	v_fmac_f64_e32 v[12:13], v[40:41], v[56:57]
	v_fmac_f64_e32 v[74:75], v[42:43], v[56:57]
	v_fma_f64 v[12:13], -v[42:43], v[58:59], v[12:13]
	v_fmac_f64_e32 v[74:75], v[40:41], v[58:59]
	v_fmac_f64_e32 v[12:13], v[32:33], v[52:53]
	v_fmac_f64_e32 v[74:75], v[34:35], v[52:53]
	v_fma_f64 v[12:13], -v[34:35], v[54:55], v[12:13]
	v_fmac_f64_e32 v[74:75], v[32:33], v[54:55]
	v_fmac_f64_e32 v[12:13], v[22:23], v[48:49]
	v_fmac_f64_e32 v[74:75], v[24:25], v[48:49]
	v_fma_f64 v[16:17], -v[24:25], v[50:51], v[12:13]
	v_fmac_f64_e32 v[74:75], v[22:23], v[50:51]
	global_load_dwordx4 v[22:25], v[10:11], off offset:176
	global_load_dwordx4 v[32:35], v[10:11], off offset:160
	global_load_dwordx4 v[40:43], v[10:11], off offset:144
	global_load_dwordx4 v[44:47], v[10:11], off offset:128
	;; [unrolled: 21-line block ×3, first 2 shown]
	s_waitcnt vmcnt(0)
	v_fmac_f64_e32 v[20:21], v[44:45], v[60:61]
	v_fma_f64 v[12:13], -v[46:47], v[62:63], v[20:21]
	global_load_dword v20, v[30:31], off offset:96
	v_fmac_f64_e32 v[0:1], v[46:47], v[60:61]
	v_fmac_f64_e32 v[0:1], v[44:45], v[62:63]
	v_fmac_f64_e32 v[12:13], v[40:41], v[56:57]
	v_fma_f64 v[12:13], -v[42:43], v[58:59], v[12:13]
	v_fmac_f64_e32 v[0:1], v[42:43], v[56:57]
	v_fmac_f64_e32 v[0:1], v[40:41], v[58:59]
	v_fmac_f64_e32 v[12:13], v[32:33], v[52:53]
	v_fma_f64 v[12:13], -v[34:35], v[54:55], v[12:13]
	;; [unrolled: 4-line block ×3, first 2 shown]
	v_fmac_f64_e32 v[0:1], v[24:25], v[48:49]
	v_fmac_f64_e32 v[0:1], v[22:23], v[50:51]
	s_waitcnt vmcnt(0)
	v_subrev_u32_e32 v20, s12, v20
	v_lshlrev_b32_e32 v24, 2, v20
	v_ashrrev_i32_e32 v25, 31, v24
	v_lshl_add_u64 v[24:25], v[24:25], 4, s[4:5]
	global_load_dwordx4 v[20:23], v[10:11], off offset:2096
	global_load_dwordx4 v[30:33], v[10:11], off offset:2080
	;; [unrolled: 1-line block ×7, first 2 shown]
	global_load_dwordx4 v[56:59], v[24:25], off
	s_waitcnt vmcnt(0)
	v_fmac_f64_e32 v[14:15], v[40:41], v[56:57]
	v_fmac_f64_e32 v[76:77], v[42:43], v[56:57]
	v_fma_f64 v[14:15], -v[42:43], v[58:59], v[14:15]
	v_fmac_f64_e32 v[76:77], v[40:41], v[58:59]
	v_fmac_f64_e32 v[14:15], v[34:35], v[52:53]
	v_fmac_f64_e32 v[76:77], v[36:37], v[52:53]
	v_fma_f64 v[14:15], -v[36:37], v[54:55], v[14:15]
	v_fmac_f64_e32 v[76:77], v[34:35], v[54:55]
	v_fmac_f64_e32 v[14:15], v[30:31], v[48:49]
	v_fmac_f64_e32 v[76:77], v[32:33], v[48:49]
	v_fma_f64 v[14:15], -v[32:33], v[50:51], v[14:15]
	v_fmac_f64_e32 v[76:77], v[30:31], v[50:51]
	v_fmac_f64_e32 v[14:15], v[20:21], v[44:45]
	v_fmac_f64_e32 v[76:77], v[22:23], v[44:45]
	v_fma_f64 v[84:85], -v[22:23], v[46:47], v[14:15]
	v_fmac_f64_e32 v[76:77], v[20:21], v[46:47]
	global_load_dwordx4 v[20:23], v[10:11], off offset:2160
	global_load_dwordx4 v[30:33], v[10:11], off offset:2144
	global_load_dwordx4 v[34:37], v[10:11], off offset:2128
	global_load_dwordx4 v[40:43], v[10:11], off offset:2112
	s_waitcnt vmcnt(0)
	v_fmac_f64_e32 v[16:17], v[40:41], v[56:57]
	v_fmac_f64_e32 v[74:75], v[42:43], v[56:57]
	v_fma_f64 v[14:15], -v[42:43], v[58:59], v[16:17]
	v_fmac_f64_e32 v[74:75], v[40:41], v[58:59]
	v_fmac_f64_e32 v[14:15], v[34:35], v[52:53]
	v_fmac_f64_e32 v[74:75], v[36:37], v[52:53]
	v_fma_f64 v[14:15], -v[36:37], v[54:55], v[14:15]
	v_fmac_f64_e32 v[74:75], v[34:35], v[54:55]
	v_fmac_f64_e32 v[14:15], v[30:31], v[48:49]
	v_fmac_f64_e32 v[74:75], v[32:33], v[48:49]
	v_fma_f64 v[14:15], -v[32:33], v[50:51], v[14:15]
	v_fmac_f64_e32 v[74:75], v[30:31], v[50:51]
	v_fmac_f64_e32 v[14:15], v[20:21], v[44:45]
	v_fmac_f64_e32 v[74:75], v[22:23], v[44:45]
	v_fma_f64 v[82:83], -v[22:23], v[46:47], v[14:15]
	v_fmac_f64_e32 v[74:75], v[20:21], v[46:47]
	global_load_dwordx4 v[14:17], v[10:11], off offset:2224
	global_load_dwordx4 v[20:23], v[10:11], off offset:2208
	global_load_dwordx4 v[30:33], v[10:11], off offset:2192
	global_load_dwordx4 v[34:37], v[10:11], off offset:2176
	;; [unrolled: 21-line block ×3, first 2 shown]
	s_waitcnt vmcnt(0)
	v_fmac_f64_e32 v[12:13], v[30:31], v[56:57]
	v_fmac_f64_e32 v[0:1], v[32:33], v[56:57]
	v_fma_f64 v[10:11], -v[32:33], v[58:59], v[12:13]
	v_fmac_f64_e32 v[0:1], v[30:31], v[58:59]
	v_fmac_f64_e32 v[10:11], v[22:23], v[52:53]
	v_fmac_f64_e32 v[0:1], v[24:25], v[52:53]
	v_fma_f64 v[10:11], -v[24:25], v[54:55], v[10:11]
	v_fmac_f64_e32 v[0:1], v[22:23], v[54:55]
	;; [unrolled: 4-line block ×4, first 2 shown]
	s_andn2_b64 exec, exec, s[14:15]
	s_cbranch_execnz .LBB16_19
; %bb.20:
	s_or_b64 exec, exec, s[14:15]
.LBB16_21:
	s_or_b64 exec, exec, s[10:11]
.LBB16_22:
	s_or_b64 exec, exec, s[6:7]
	s_cbranch_execz .LBB16_24
	s_branch .LBB16_35
.LBB16_23:
                                        ; implicit-def: $vgpr76_vgpr77
                                        ; implicit-def: $vgpr84_vgpr85
                                        ; implicit-def: $vgpr66_vgpr67
                                        ; implicit-def: $vgpr0_vgpr1
                                        ; implicit-def: $vgpr68_vgpr69
                                        ; implicit-def: $vgpr72_vgpr73
                                        ; implicit-def: $vgpr82_vgpr83
                                        ; implicit-def: $vgpr74_vgpr75
.LBB16_24:
	v_mov_b64_e32 v[76:77], 0
	v_mov_b64_e32 v[84:85], 0
	;; [unrolled: 1-line block ×8, first 2 shown]
	s_and_saveexec_b64 s[6:7], s[2:3]
	s_cbranch_execz .LBB16_34
; %bb.25:
	v_add_u32_e32 v0, v38, v71
	v_subrev_u32_e32 v0, s12, v0
	v_add_u32_e32 v0, 8, v0
	v_max_i32_e32 v0, v0, v92
	v_not_b32_e32 v1, v38
	v_add3_u32 v0, s12, v0, v1
	v_sub_u32_e32 v10, v0, v71
	v_and_b32_e32 v0, 24, v10
	v_cmp_ne_u32_e32 vcc, 24, v0
	v_mov_b64_e32 v[74:75], 0
	v_mov_b64_e32 v[82:83], 0
	;; [unrolled: 1-line block ×8, first 2 shown]
	s_and_saveexec_b64 s[2:3], vcc
	s_cbranch_execz .LBB16_29
; %bb.26:
	v_lshrrev_b32_e32 v0, 3, v10
	v_add_u32_e32 v0, 1, v0
	v_and_b32_e32 v0, 3, v0
	v_sub_u32_e32 v11, 0, v0
	v_mov_b64_e32 v[76:77], 0
	s_mov_b64 s[10:11], 0
	s_mov_b64 s[14:15], 0x800
	v_mov_b64_e32 v[84:85], 0
	v_mov_b64_e32 v[66:67], 0
	;; [unrolled: 1-line block ×7, first 2 shown]
.LBB16_27:                              ; =>This Inner Loop Header: Depth=1
	v_ashrrev_i32_e32 v79, 31, v78
	v_lshl_add_u64 v[64:65], v[78:79], 2, s[8:9]
	global_load_dword v79, v[64:65], off
	global_load_dwordx4 v[12:15], v[80:81], off offset:48
	global_load_dwordx4 v[16:19], v[80:81], off offset:32
	;; [unrolled: 1-line block ×3, first 2 shown]
	global_load_dwordx4 v[24:27], v[80:81], off
	global_load_dwordx4 v[28:31], v[80:81], off offset:112
	global_load_dwordx4 v[32:35], v[80:81], off offset:96
	;; [unrolled: 1-line block ×10, first 2 shown]
                                        ; kill: killed $vgpr64_vgpr65
	global_load_dwordx4 v[94:97], v[80:81], off offset:224
	global_load_dwordx4 v[98:101], v[80:81], off offset:240
	v_add_co_u32_e32 v11, vcc, 1, v11
	v_lshl_add_u64 v[80:81], v[80:81], 0, s[14:15]
	v_add_u32_e32 v78, 8, v78
	s_or_b64 s[10:11], vcc, s[10:11]
	s_waitcnt vmcnt(16)
	v_subrev_u32_e32 v64, s12, v79
	v_lshlrev_b32_e32 v64, 2, v64
	v_ashrrev_i32_e32 v65, 31, v64
	s_waitcnt lgkmcnt(0)
	v_lshl_add_u64 v[64:65], v[64:65], 4, s[4:5]
	global_load_dwordx4 v[102:105], v[64:65], off
	global_load_dwordx4 v[106:109], v[64:65], off offset:16
	global_load_dwordx4 v[110:113], v[64:65], off offset:32
	global_load_dwordx4 v[114:117], v[64:65], off offset:48
	s_waitcnt vmcnt(3)
	v_fmac_f64_e32 v[84:85], v[24:25], v[102:103]
	v_fmac_f64_e32 v[76:77], v[26:27], v[102:103]
	v_fmac_f64_e32 v[82:83], v[20:21], v[102:103]
	v_fmac_f64_e32 v[74:75], v[22:23], v[102:103]
	v_fmac_f64_e32 v[68:69], v[16:17], v[102:103]
	v_fmac_f64_e32 v[72:73], v[18:19], v[102:103]
	v_fmac_f64_e32 v[66:67], v[12:13], v[102:103]
	v_fmac_f64_e32 v[0:1], v[14:15], v[102:103]
	v_fma_f64 v[26:27], -v[26:27], v[104:105], v[84:85]
	v_fmac_f64_e32 v[76:77], v[24:25], v[104:105]
	v_fma_f64 v[22:23], -v[22:23], v[104:105], v[82:83]
	v_fmac_f64_e32 v[74:75], v[20:21], v[104:105]
	v_fma_f64 v[18:19], -v[18:19], v[104:105], v[68:69]
	v_fmac_f64_e32 v[72:73], v[16:17], v[104:105]
	v_fma_f64 v[14:15], -v[14:15], v[104:105], v[66:67]
	v_fmac_f64_e32 v[0:1], v[12:13], v[104:105]
	s_waitcnt vmcnt(2)
	v_fmac_f64_e32 v[26:27], v[40:41], v[106:107]
	v_fmac_f64_e32 v[76:77], v[42:43], v[106:107]
	v_fmac_f64_e32 v[22:23], v[36:37], v[106:107]
	v_fmac_f64_e32 v[74:75], v[38:39], v[106:107]
	v_fmac_f64_e32 v[18:19], v[32:33], v[106:107]
	v_fmac_f64_e32 v[72:73], v[34:35], v[106:107]
	v_fmac_f64_e32 v[14:15], v[28:29], v[106:107]
	v_fmac_f64_e32 v[0:1], v[30:31], v[106:107]
	v_fma_f64 v[12:13], -v[42:43], v[108:109], v[26:27]
	v_fmac_f64_e32 v[76:77], v[40:41], v[108:109]
	v_fma_f64 v[16:17], -v[38:39], v[108:109], v[22:23]
	v_fmac_f64_e32 v[74:75], v[36:37], v[108:109]
	v_fma_f64 v[18:19], -v[34:35], v[108:109], v[18:19]
	v_fmac_f64_e32 v[72:73], v[32:33], v[108:109]
	v_fma_f64 v[14:15], -v[30:31], v[108:109], v[14:15]
	v_fmac_f64_e32 v[0:1], v[28:29], v[108:109]
	;; [unrolled: 17-line block ×4, first 2 shown]
	s_andn2_b64 exec, exec, s[10:11]
	s_cbranch_execnz .LBB16_27
; %bb.28:
	s_or_b64 exec, exec, s[10:11]
.LBB16_29:
	s_or_b64 exec, exec, s[2:3]
	v_cmp_lt_u32_e32 vcc, 23, v10
	s_and_saveexec_b64 s[2:3], vcc
	s_cbranch_execz .LBB16_33
; %bb.30:
	s_mov_b64 s[10:11], 0
	s_mov_b64 s[14:15], 0x1000
	s_movk_i32 s13, 0x1000
	s_mov_b64 s[16:17], 0x2000
.LBB16_31:                              ; =>This Inner Loop Header: Depth=1
	v_ashrrev_i32_e32 v79, 31, v78
	v_lshl_add_u64 v[86:87], v[78:79], 2, s[8:9]
	global_load_dwordx4 v[10:13], v[80:81], off offset:48
	global_load_dwordx4 v[14:17], v[80:81], off offset:32
	;; [unrolled: 1-line block ×3, first 2 shown]
	global_load_dwordx4 v[94:97], v[80:81], off
	global_load_dwordx4 v[22:25], v[80:81], off offset:112
	global_load_dwordx4 v[26:29], v[80:81], off offset:96
	;; [unrolled: 1-line block ×10, first 2 shown]
	global_load_dword v62, v[86:87], off
	v_add_co_u32_e32 v98, vcc, s13, v80
	v_add_u32_e32 v78, 32, v78
	s_nop 0
	v_addc_co_u32_e32 v99, vcc, 0, v81, vcc
	v_cmp_ge_i32_e32 vcc, v78, v92
	s_or_b64 s[10:11], vcc, s[10:11]
	s_waitcnt vmcnt(0)
	v_subrev_u32_e32 v62, s12, v62
	v_lshlrev_b32_e32 v62, 2, v62
	v_ashrrev_i32_e32 v63, 31, v62
	s_waitcnt lgkmcnt(0)
	v_lshl_add_u64 v[88:89], v[62:63], 4, s[4:5]
	global_load_dwordx4 v[62:65], v[88:89], off
	s_waitcnt vmcnt(0)
	v_fmac_f64_e32 v[84:85], v[94:95], v[62:63]
	v_fmac_f64_e32 v[76:77], v[96:97], v[62:63]
	v_fmac_f64_e32 v[82:83], v[18:19], v[62:63]
	v_fmac_f64_e32 v[74:75], v[20:21], v[62:63]
	v_fmac_f64_e32 v[68:69], v[14:15], v[62:63]
	v_fmac_f64_e32 v[72:73], v[16:17], v[62:63]
	v_fmac_f64_e32 v[66:67], v[10:11], v[62:63]
	v_fmac_f64_e32 v[0:1], v[12:13], v[62:63]
	v_fma_f64 v[84:85], -v[96:97], v[64:65], v[84:85]
	v_fmac_f64_e32 v[76:77], v[94:95], v[64:65]
	global_load_dwordx4 v[94:97], v[80:81], off offset:208
	v_fma_f64 v[82:83], -v[20:21], v[64:65], v[82:83]
	v_fmac_f64_e32 v[74:75], v[18:19], v[64:65]
	global_load_dwordx4 v[18:21], v[80:81], off offset:192
	v_fma_f64 v[68:69], -v[16:17], v[64:65], v[68:69]
	v_fmac_f64_e32 v[72:73], v[14:15], v[64:65]
	global_load_dwordx4 v[14:17], v[80:81], off offset:2096
	v_fma_f64 v[66:67], -v[12:13], v[64:65], v[66:67]
	v_fmac_f64_e32 v[0:1], v[10:11], v[64:65]
	global_load_dwordx4 v[10:13], v[80:81], off offset:2080
	global_load_dwordx4 v[62:65], v[88:89], off offset:16
	s_waitcnt vmcnt(0)
	v_fmac_f64_e32 v[84:85], v[42:43], v[62:63]
	v_fmac_f64_e32 v[76:77], v[44:45], v[62:63]
	v_fmac_f64_e32 v[82:83], v[30:31], v[62:63]
	v_fmac_f64_e32 v[74:75], v[32:33], v[62:63]
	v_fmac_f64_e32 v[68:69], v[26:27], v[62:63]
	v_fmac_f64_e32 v[72:73], v[28:29], v[62:63]
	v_fmac_f64_e32 v[66:67], v[22:23], v[62:63]
	v_fmac_f64_e32 v[0:1], v[24:25], v[62:63]
	v_fma_f64 v[84:85], -v[44:45], v[64:65], v[84:85]
	v_fmac_f64_e32 v[76:77], v[42:43], v[64:65]
	global_load_dwordx4 v[42:45], v[80:81], off offset:2064
	v_fma_f64 v[82:83], -v[32:33], v[64:65], v[82:83]
	v_fmac_f64_e32 v[74:75], v[30:31], v[64:65]
	global_load_dwordx4 v[30:33], v[80:81], off offset:2048
	v_fma_f64 v[68:69], -v[28:29], v[64:65], v[68:69]
	v_fmac_f64_e32 v[72:73], v[26:27], v[64:65]
	global_load_dwordx4 v[26:29], v[80:81], off offset:2160
	v_fma_f64 v[66:67], -v[24:25], v[64:65], v[66:67]
	v_fmac_f64_e32 v[0:1], v[22:23], v[64:65]
	global_load_dwordx4 v[22:25], v[80:81], off offset:2144
	global_load_dwordx4 v[62:65], v[88:89], off offset:32
	;; [unrolled: 22-line block ×3, first 2 shown]
	s_waitcnt vmcnt(0)
	v_fmac_f64_e32 v[84:85], v[18:19], v[62:63]
	v_fmac_f64_e32 v[76:77], v[20:21], v[62:63]
	;; [unrolled: 1-line block ×8, first 2 shown]
	v_fma_f64 v[88:89], -v[20:21], v[64:65], v[84:85]
	v_fmac_f64_e32 v[76:77], v[18:19], v[64:65]
	global_load_dwordx4 v[18:21], v[80:81], off offset:2192
	v_fma_f64 v[90:91], -v[96:97], v[64:65], v[82:83]
	v_fmac_f64_e32 v[74:75], v[94:95], v[64:65]
	global_load_dwordx4 v[82:85], v[80:81], off offset:2176
	;; [unrolled: 3-line block ×4, first 2 shown]
	global_load_dword v62, v[86:87], off offset:32
	v_lshl_add_u64 v[66:67], v[80:81], 0, s[14:15]
	s_waitcnt vmcnt(0)
	v_subrev_u32_e32 v62, s12, v62
	v_lshlrev_b32_e32 v62, 2, v62
	v_ashrrev_i32_e32 v63, 31, v62
	v_lshl_add_u64 v[96:97], v[62:63], 4, s[4:5]
	global_load_dwordx4 v[62:65], v[96:97], off
	s_waitcnt vmcnt(0)
	v_fmac_f64_e32 v[88:89], v[30:31], v[62:63]
	v_fmac_f64_e32 v[76:77], v[32:33], v[62:63]
	;; [unrolled: 1-line block ×8, first 2 shown]
	v_fma_f64 v[88:89], -v[32:33], v[64:65], v[88:89]
	v_fmac_f64_e32 v[76:77], v[30:31], v[64:65]
	global_load_dwordx4 v[30:33], v[80:81], off offset:2256
	v_fma_f64 v[90:91], -v[44:45], v[64:65], v[90:91]
	v_fmac_f64_e32 v[74:75], v[42:43], v[64:65]
	global_load_dwordx4 v[42:45], v[80:81], off offset:2240
	v_fma_f64 v[68:69], -v[12:13], v[64:65], v[68:69]
	v_fmac_f64_e32 v[72:73], v[10:11], v[64:65]
	v_fma_f64 v[62:63], -v[16:17], v[64:65], v[94:95]
	v_fmac_f64_e32 v[0:1], v[14:15], v[64:65]
	global_load_dwordx4 v[14:17], v[66:67], off offset:48
	global_load_dwordx4 v[10:13], v[96:97], off offset:16
	v_lshl_add_u64 v[80:81], v[80:81], 0, s[16:17]
	s_waitcnt vmcnt(0)
	v_fmac_f64_e32 v[88:89], v[46:47], v[10:11]
	v_fmac_f64_e32 v[76:77], v[48:49], v[10:11]
	;; [unrolled: 1-line block ×8, first 2 shown]
	v_fma_f64 v[64:65], -v[48:49], v[12:13], v[88:89]
	v_fmac_f64_e32 v[76:77], v[46:47], v[12:13]
	global_load_dwordx4 v[46:49], v[66:67], off offset:32
	v_fma_f64 v[88:89], -v[52:53], v[12:13], v[90:91]
	v_fmac_f64_e32 v[74:75], v[50:51], v[12:13]
	global_load_dwordx4 v[50:53], v[66:67], off offset:16
	;; [unrolled: 3-line block ×4, first 2 shown]
	global_load_dwordx4 v[10:13], v[96:97], off offset:32
	s_waitcnt vmcnt(0)
	v_fmac_f64_e32 v[64:65], v[82:83], v[10:11]
	v_fmac_f64_e32 v[76:77], v[84:85], v[10:11]
	v_fmac_f64_e32 v[88:89], v[18:19], v[10:11]
	v_fmac_f64_e32 v[74:75], v[20:21], v[10:11]
	v_fmac_f64_e32 v[68:69], v[34:35], v[10:11]
	v_fmac_f64_e32 v[72:73], v[36:37], v[10:11]
	v_fmac_f64_e32 v[90:91], v[38:39], v[10:11]
	v_fmac_f64_e32 v[0:1], v[40:41], v[10:11]
	v_fma_f64 v[94:95], -v[84:85], v[12:13], v[64:65]
	v_fmac_f64_e32 v[76:77], v[82:83], v[12:13]
	global_load_dwordx4 v[62:65], v[66:67], off offset:80
	v_fma_f64 v[88:89], -v[20:21], v[12:13], v[88:89]
	v_fmac_f64_e32 v[74:75], v[18:19], v[12:13]
	global_load_dwordx4 v[18:21], v[66:67], off offset:64
	;; [unrolled: 3-line block ×4, first 2 shown]
	global_load_dwordx4 v[10:13], v[96:97], off offset:48
	global_load_dwordx4 v[38:41], v[66:67], off offset:144
	s_waitcnt vmcnt(1)
	v_fmac_f64_e32 v[94:95], v[42:43], v[10:11]
	v_fmac_f64_e32 v[76:77], v[44:45], v[10:11]
	v_fmac_f64_e32 v[88:89], v[30:31], v[10:11]
	v_fmac_f64_e32 v[74:75], v[32:33], v[10:11]
	v_fma_f64 v[100:101], -v[44:45], v[12:13], v[94:95]
	v_fmac_f64_e32 v[76:77], v[42:43], v[12:13]
	v_fma_f64 v[88:89], -v[32:33], v[12:13], v[88:89]
	v_fmac_f64_e32 v[74:75], v[30:31], v[12:13]
	global_load_dwordx4 v[30:33], v[66:67], off offset:128
	global_load_dwordx4 v[94:97], v[66:67], off offset:240
	global_load_dword v42, v[86:87], off offset:64
	v_fmac_f64_e32 v[68:69], v[54:55], v[10:11]
	v_fmac_f64_e32 v[72:73], v[56:57], v[10:11]
	v_fma_f64 v[56:57], -v[56:57], v[12:13], v[68:69]
	v_fmac_f64_e32 v[90:91], v[58:59], v[10:11]
	v_fmac_f64_e32 v[0:1], v[60:61], v[10:11]
	;; [unrolled: 1-line block ×3, first 2 shown]
	v_fma_f64 v[54:55], -v[60:61], v[12:13], v[90:91]
	v_fmac_f64_e32 v[0:1], v[58:59], v[12:13]
	global_load_dwordx4 v[10:13], v[98:99], off
	s_waitcnt vmcnt(1)
	v_subrev_u32_e32 v42, s12, v42
	v_lshlrev_b32_e32 v42, 2, v42
	v_ashrrev_i32_e32 v43, 31, v42
	v_lshl_add_u64 v[68:69], v[42:43], 4, s[4:5]
	global_load_dwordx4 v[42:45], v[68:69], off
	s_waitcnt vmcnt(0)
	v_fmac_f64_e32 v[100:101], v[10:11], v[42:43]
	v_fmac_f64_e32 v[76:77], v[12:13], v[42:43]
	;; [unrolled: 1-line block ×8, first 2 shown]
	v_fma_f64 v[58:59], -v[12:13], v[44:45], v[100:101]
	v_fmac_f64_e32 v[76:77], v[10:11], v[44:45]
	global_load_dwordx4 v[98:101], v[66:67], off offset:224
	v_fma_f64 v[52:53], -v[52:53], v[44:45], v[88:89]
	v_fmac_f64_e32 v[74:75], v[50:51], v[44:45]
	global_load_dwordx4 v[10:13], v[66:67], off offset:2288
	;; [unrolled: 3-line block ×4, first 2 shown]
	global_load_dwordx4 v[14:17], v[68:69], off offset:16
	global_load_dwordx4 v[54:57], v[66:67], off offset:2064
	s_waitcnt vmcnt(1)
	v_fmac_f64_e32 v[58:59], v[18:19], v[14:15]
	v_fmac_f64_e32 v[76:77], v[20:21], v[14:15]
	;; [unrolled: 1-line block ×5, first 2 shown]
	v_fma_f64 v[44:45], -v[20:21], v[16:17], v[58:59]
	v_fmac_f64_e32 v[76:77], v[18:19], v[16:17]
	global_load_dwordx4 v[58:61], v[66:67], off offset:2096
	v_fma_f64 v[102:103], -v[64:65], v[16:17], v[52:53]
	v_fmac_f64_e32 v[74:75], v[62:63], v[16:17]
	global_load_dwordx4 v[62:65], v[66:67], off offset:2080
	v_fmac_f64_e32 v[72:73], v[28:29], v[14:15]
	v_fma_f64 v[28:29], -v[28:29], v[16:17], v[50:51]
	global_load_dwordx4 v[50:53], v[66:67], off offset:2048
	global_load_dwordx4 v[18:21], v[68:69], off offset:32
	v_fmac_f64_e32 v[42:43], v[22:23], v[14:15]
	v_fmac_f64_e32 v[0:1], v[24:25], v[14:15]
	;; [unrolled: 1-line block ×3, first 2 shown]
	v_fma_f64 v[26:27], -v[24:25], v[16:17], v[42:43]
	v_fmac_f64_e32 v[0:1], v[22:23], v[16:17]
	global_load_dwordx4 v[14:17], v[66:67], off offset:2160
	global_load_dwordx4 v[22:25], v[66:67], off offset:2144
	s_waitcnt vmcnt(2)
	v_fmac_f64_e32 v[44:45], v[30:31], v[18:19]
	v_fmac_f64_e32 v[76:77], v[32:33], v[18:19]
	;; [unrolled: 1-line block ×8, first 2 shown]
	v_fma_f64 v[104:105], -v[32:33], v[20:21], v[44:45]
	v_fmac_f64_e32 v[76:77], v[30:31], v[20:21]
	v_fma_f64 v[40:41], -v[40:41], v[20:21], v[102:103]
	v_fmac_f64_e32 v[74:75], v[38:39], v[20:21]
	;; [unrolled: 2-line block ×3, first 2 shown]
	global_load_dwordx4 v[34:37], v[66:67], off offset:2128
	v_fma_f64 v[106:107], -v[84:85], v[20:21], v[26:27]
	v_fmac_f64_e32 v[0:1], v[82:83], v[20:21]
	global_load_dwordx4 v[42:45], v[66:67], off offset:2112
	global_load_dwordx4 v[18:21], v[66:67], off offset:2224
	;; [unrolled: 1-line block ×4, first 2 shown]
	s_waitcnt vmcnt(1)
	v_fmac_f64_e32 v[104:105], v[88:89], v[30:31]
	v_fmac_f64_e32 v[76:77], v[90:91], v[30:31]
	;; [unrolled: 1-line block ×8, first 2 shown]
	v_fma_f64 v[68:69], -v[90:91], v[32:33], v[104:105]
	v_fmac_f64_e32 v[76:77], v[88:89], v[32:33]
	v_fma_f64 v[84:85], -v[48:49], v[32:33], v[40:41]
	v_fmac_f64_e32 v[74:75], v[46:47], v[32:33]
	global_load_dwordx4 v[38:41], v[66:67], off offset:2192
	global_load_dwordx4 v[46:49], v[66:67], off offset:2176
	v_fma_f64 v[88:89], -v[100:101], v[32:33], v[102:103]
	v_fmac_f64_e32 v[72:73], v[98:99], v[32:33]
	v_fma_f64 v[90:91], -v[96:97], v[32:33], v[106:107]
	v_fmac_f64_e32 v[0:1], v[94:95], v[32:33]
	global_load_dwordx4 v[30:33], v[66:67], off offset:2256
	global_load_dword v79, v[86:87], off offset:96
	s_waitcnt vmcnt(0)
	v_subrev_u32_e32 v79, s12, v79
	v_lshlrev_b32_e32 v82, 2, v79
	v_ashrrev_i32_e32 v83, 31, v82
	v_lshl_add_u64 v[98:99], v[82:83], 4, s[4:5]
	global_load_dwordx4 v[94:97], v[98:99], off
	s_waitcnt vmcnt(0)
	v_fmac_f64_e32 v[68:69], v[50:51], v[94:95]
	v_fmac_f64_e32 v[76:77], v[52:53], v[94:95]
	;; [unrolled: 1-line block ×4, first 2 shown]
	v_fma_f64 v[82:83], -v[52:53], v[96:97], v[68:69]
	v_fmac_f64_e32 v[76:77], v[50:51], v[96:97]
	global_load_dwordx4 v[50:53], v[66:67], off offset:2240
	v_fma_f64 v[84:85], -v[56:57], v[96:97], v[84:85]
	v_fmac_f64_e32 v[74:75], v[54:55], v[96:97]
	global_load_dwordx4 v[54:57], v[66:67], off offset:2272
	v_fmac_f64_e32 v[88:89], v[62:63], v[94:95]
	global_load_dwordx4 v[66:69], v[98:99], off offset:16
	v_fmac_f64_e32 v[72:73], v[64:65], v[94:95]
	v_fmac_f64_e32 v[90:91], v[58:59], v[94:95]
	;; [unrolled: 1-line block ×3, first 2 shown]
	v_fma_f64 v[86:87], -v[64:65], v[96:97], v[88:89]
	v_fmac_f64_e32 v[72:73], v[62:63], v[96:97]
	v_fma_f64 v[88:89], -v[60:61], v[96:97], v[90:91]
	v_fmac_f64_e32 v[0:1], v[58:59], v[96:97]
	global_load_dwordx4 v[62:65], v[98:99], off offset:32
	global_load_dwordx4 v[58:61], v[98:99], off offset:48
	s_waitcnt vmcnt(2)
	v_fmac_f64_e32 v[82:83], v[42:43], v[66:67]
	v_fmac_f64_e32 v[76:77], v[44:45], v[66:67]
	v_fmac_f64_e32 v[84:85], v[34:35], v[66:67]
	v_fmac_f64_e32 v[74:75], v[36:37], v[66:67]
	v_fmac_f64_e32 v[86:87], v[22:23], v[66:67]
	v_fmac_f64_e32 v[72:73], v[24:25], v[66:67]
	v_fmac_f64_e32 v[88:89], v[14:15], v[66:67]
	v_fmac_f64_e32 v[0:1], v[16:17], v[66:67]
	v_fma_f64 v[44:45], -v[44:45], v[68:69], v[82:83]
	v_fmac_f64_e32 v[76:77], v[42:43], v[68:69]
	v_fma_f64 v[36:37], -v[36:37], v[68:69], v[84:85]
	v_fmac_f64_e32 v[74:75], v[34:35], v[68:69]
	v_fma_f64 v[24:25], -v[24:25], v[68:69], v[86:87]
	v_fmac_f64_e32 v[72:73], v[22:23], v[68:69]
	v_fma_f64 v[16:17], -v[16:17], v[68:69], v[88:89]
	v_fmac_f64_e32 v[0:1], v[14:15], v[68:69]
	s_waitcnt vmcnt(1)
	v_fmac_f64_e32 v[44:45], v[46:47], v[62:63]
	v_fmac_f64_e32 v[76:77], v[48:49], v[62:63]
	v_fmac_f64_e32 v[36:37], v[38:39], v[62:63]
	v_fmac_f64_e32 v[74:75], v[40:41], v[62:63]
	v_fmac_f64_e32 v[24:25], v[26:27], v[62:63]
	v_fmac_f64_e32 v[72:73], v[28:29], v[62:63]
	v_fmac_f64_e32 v[16:17], v[18:19], v[62:63]
	v_fmac_f64_e32 v[0:1], v[20:21], v[62:63]
	v_fma_f64 v[14:15], -v[48:49], v[64:65], v[44:45]
	v_fmac_f64_e32 v[76:77], v[46:47], v[64:65]
	v_fma_f64 v[22:23], -v[40:41], v[64:65], v[36:37]
	v_fmac_f64_e32 v[74:75], v[38:39], v[64:65]
	v_fma_f64 v[24:25], -v[28:29], v[64:65], v[24:25]
	v_fmac_f64_e32 v[72:73], v[26:27], v[64:65]
	v_fma_f64 v[16:17], -v[20:21], v[64:65], v[16:17]
	v_fmac_f64_e32 v[0:1], v[18:19], v[64:65]
	;; [unrolled: 17-line block ×3, first 2 shown]
	s_andn2_b64 exec, exec, s[10:11]
	s_cbranch_execnz .LBB16_31
; %bb.32:
	s_or_b64 exec, exec, s[10:11]
.LBB16_33:
	s_or_b64 exec, exec, s[2:3]
.LBB16_34:
	s_or_b64 exec, exec, s[6:7]
.LBB16_35:
	v_mov_b32_dpp v10, v84 row_shr:1 row_mask:0xf bank_mask:0xf
	v_mov_b32_dpp v11, v85 row_shr:1 row_mask:0xf bank_mask:0xf
	;; [unrolled: 1-line block ×16, first 2 shown]
	v_add_f64 v[10:11], v[84:85], v[10:11]
	v_add_f64 v[14:15], v[76:77], v[14:15]
	;; [unrolled: 1-line block ×8, first 2 shown]
	v_mov_b32_dpp v12, v10 row_shr:2 row_mask:0xf bank_mask:0xf
	v_mov_b32_dpp v13, v11 row_shr:2 row_mask:0xf bank_mask:0xf
	;; [unrolled: 1-line block ×16, first 2 shown]
	v_add_f64 v[10:11], v[10:11], v[12:13]
	v_add_f64 v[14:15], v[14:15], v[16:17]
	;; [unrolled: 1-line block ×8, first 2 shown]
	v_mov_b32_dpp v12, v10 row_shr:4 row_mask:0xf bank_mask:0xe
	v_mov_b32_dpp v13, v11 row_shr:4 row_mask:0xf bank_mask:0xe
	v_mov_b32_dpp v16, v14 row_shr:4 row_mask:0xf bank_mask:0xe
	v_mov_b32_dpp v17, v15 row_shr:4 row_mask:0xf bank_mask:0xe
	v_mov_b32_dpp v20, v18 row_shr:4 row_mask:0xf bank_mask:0xe
	v_mov_b32_dpp v21, v19 row_shr:4 row_mask:0xf bank_mask:0xe
	v_mov_b32_dpp v24, v22 row_shr:4 row_mask:0xf bank_mask:0xe
	v_mov_b32_dpp v25, v23 row_shr:4 row_mask:0xf bank_mask:0xe
	v_mov_b32_dpp v28, v26 row_shr:4 row_mask:0xf bank_mask:0xe
	v_mov_b32_dpp v29, v27 row_shr:4 row_mask:0xf bank_mask:0xe
	v_mov_b32_dpp v32, v30 row_shr:4 row_mask:0xf bank_mask:0xe
	v_mov_b32_dpp v33, v31 row_shr:4 row_mask:0xf bank_mask:0xe
	v_mov_b32_dpp v36, v34 row_shr:4 row_mask:0xf bank_mask:0xe
	v_mov_b32_dpp v37, v35 row_shr:4 row_mask:0xf bank_mask:0xe
	v_mov_b32_dpp v38, v0 row_shr:4 row_mask:0xf bank_mask:0xe
	v_mov_b32_dpp v39, v1 row_shr:4 row_mask:0xf bank_mask:0xe
	v_cmp_eq_u32_e32 vcc, 7, v71
	s_and_b64 exec, exec, vcc
	s_cbranch_execz .LBB16_8
; %bb.36:
	s_load_dwordx2 s[2:3], s[0:1], 0x60
	v_add_f64 v[40:41], v[10:11], v[12:13]
	v_add_f64 v[10:11], v[14:15], v[16:17]
	;; [unrolled: 1-line block ×8, first 2 shown]
	v_cmp_eq_f64_e32 vcc, 0, v[2:3]
	v_cmp_eq_f64_e64 s[0:1], 0, v[4:5]
	v_mul_f64 v[22:23], v[10:11], -v[8:9]
	v_mul_f64 v[24:25], v[6:7], v[10:11]
	v_mul_f64 v[18:19], v[12:13], -v[8:9]
	v_mul_f64 v[20:21], v[6:7], v[12:13]
	;; [unrolled: 2-line block ×4, first 2 shown]
	s_and_b64 s[0:1], vcc, s[0:1]
	v_fmac_f64_e32 v[22:23], v[6:7], v[40:41]
	v_fmac_f64_e32 v[24:25], v[8:9], v[40:41]
	v_lshlrev_b32_e32 v0, 2, v70
	v_fmac_f64_e32 v[18:19], v[6:7], v[42:43]
	v_fmac_f64_e32 v[20:21], v[8:9], v[42:43]
	v_fmac_f64_e32 v[14:15], v[6:7], v[26:27]
	v_fmac_f64_e32 v[16:17], v[8:9], v[26:27]
	v_fmac_f64_e32 v[10:11], v[6:7], v[28:29]
	v_fmac_f64_e32 v[12:13], v[8:9], v[28:29]
	s_waitcnt lgkmcnt(0)
	s_and_saveexec_b64 s[4:5], s[0:1]
	s_xor_b64 s[0:1], exec, s[4:5]
	s_cbranch_execz .LBB16_38
; %bb.37:
	v_ashrrev_i32_e32 v1, 31, v0
	v_lshl_add_u64 v[0:1], v[0:1], 4, s[2:3]
	global_store_dwordx4 v[0:1], v[22:25], off
	global_store_dwordx4 v[0:1], v[18:21], off offset:16
	global_store_dwordx4 v[0:1], v[14:17], off offset:32
	;; [unrolled: 1-line block ×3, first 2 shown]
                                        ; implicit-def: $vgpr4_vgpr5
                                        ; implicit-def: $vgpr22_vgpr23
                                        ; implicit-def: $vgpr0
                                        ; implicit-def: $vgpr18_vgpr19
                                        ; implicit-def: $vgpr14_vgpr15
                                        ; implicit-def: $vgpr10_vgpr11
.LBB16_38:
	s_andn2_saveexec_b64 s[0:1], s[0:1]
	s_cbranch_execz .LBB16_8
; %bb.39:
	v_ashrrev_i32_e32 v1, 31, v0
	v_lshl_add_u64 v[0:1], v[0:1], 4, s[2:3]
	global_load_dwordx4 v[6:9], v[0:1], off
	global_load_dwordx4 v[26:29], v[0:1], off offset:16
	global_load_dwordx4 v[30:33], v[0:1], off offset:32
	;; [unrolled: 1-line block ×3, first 2 shown]
	s_waitcnt vmcnt(3)
	v_fmac_f64_e32 v[22:23], v[2:3], v[6:7]
	v_fmac_f64_e32 v[24:25], v[4:5], v[6:7]
	s_waitcnt vmcnt(2)
	v_fmac_f64_e32 v[18:19], v[2:3], v[26:27]
	v_fmac_f64_e32 v[20:21], v[4:5], v[26:27]
	;; [unrolled: 3-line block ×4, first 2 shown]
	v_fma_f64 v[22:23], -v[4:5], v[8:9], v[22:23]
	v_fmac_f64_e32 v[24:25], v[2:3], v[8:9]
	v_fma_f64 v[18:19], -v[4:5], v[28:29], v[18:19]
	v_fmac_f64_e32 v[20:21], v[2:3], v[28:29]
	;; [unrolled: 2-line block ×4, first 2 shown]
	global_store_dwordx4 v[0:1], v[22:25], off
	global_store_dwordx4 v[0:1], v[18:21], off offset:16
	global_store_dwordx4 v[0:1], v[14:17], off offset:32
	;; [unrolled: 1-line block ×3, first 2 shown]
	s_endpgm
	.section	.rodata,"a",@progbits
	.p2align	6, 0x0
	.amdhsa_kernel _ZN9rocsparseL18bsrxmvn_4x4_kernelILj128ELj8E21rocsparse_complex_numIdEiiS2_S2_S2_EEvT3_20rocsparse_direction_NS_24const_host_device_scalarIT1_EES3_PKS3_PKT2_SC_S9_PKT4_PKT5_S7_PT6_21rocsparse_index_base_b
		.amdhsa_group_segment_fixed_size 0
		.amdhsa_private_segment_fixed_size 0
		.amdhsa_kernarg_size 112
		.amdhsa_user_sgpr_count 2
		.amdhsa_user_sgpr_dispatch_ptr 0
		.amdhsa_user_sgpr_queue_ptr 0
		.amdhsa_user_sgpr_kernarg_segment_ptr 1
		.amdhsa_user_sgpr_dispatch_id 0
		.amdhsa_user_sgpr_kernarg_preload_length 0
		.amdhsa_user_sgpr_kernarg_preload_offset 0
		.amdhsa_user_sgpr_private_segment_size 0
		.amdhsa_uses_dynamic_stack 0
		.amdhsa_enable_private_segment 0
		.amdhsa_system_sgpr_workgroup_id_x 1
		.amdhsa_system_sgpr_workgroup_id_y 0
		.amdhsa_system_sgpr_workgroup_id_z 0
		.amdhsa_system_sgpr_workgroup_info 0
		.amdhsa_system_vgpr_workitem_id 0
		.amdhsa_next_free_vgpr 118
		.amdhsa_next_free_sgpr 20
		.amdhsa_accum_offset 120
		.amdhsa_reserve_vcc 1
		.amdhsa_float_round_mode_32 0
		.amdhsa_float_round_mode_16_64 0
		.amdhsa_float_denorm_mode_32 3
		.amdhsa_float_denorm_mode_16_64 3
		.amdhsa_dx10_clamp 1
		.amdhsa_ieee_mode 1
		.amdhsa_fp16_overflow 0
		.amdhsa_tg_split 0
		.amdhsa_exception_fp_ieee_invalid_op 0
		.amdhsa_exception_fp_denorm_src 0
		.amdhsa_exception_fp_ieee_div_zero 0
		.amdhsa_exception_fp_ieee_overflow 0
		.amdhsa_exception_fp_ieee_underflow 0
		.amdhsa_exception_fp_ieee_inexact 0
		.amdhsa_exception_int_div_zero 0
	.end_amdhsa_kernel
	.section	.text._ZN9rocsparseL18bsrxmvn_4x4_kernelILj128ELj8E21rocsparse_complex_numIdEiiS2_S2_S2_EEvT3_20rocsparse_direction_NS_24const_host_device_scalarIT1_EES3_PKS3_PKT2_SC_S9_PKT4_PKT5_S7_PT6_21rocsparse_index_base_b,"axG",@progbits,_ZN9rocsparseL18bsrxmvn_4x4_kernelILj128ELj8E21rocsparse_complex_numIdEiiS2_S2_S2_EEvT3_20rocsparse_direction_NS_24const_host_device_scalarIT1_EES3_PKS3_PKT2_SC_S9_PKT4_PKT5_S7_PT6_21rocsparse_index_base_b,comdat
.Lfunc_end16:
	.size	_ZN9rocsparseL18bsrxmvn_4x4_kernelILj128ELj8E21rocsparse_complex_numIdEiiS2_S2_S2_EEvT3_20rocsparse_direction_NS_24const_host_device_scalarIT1_EES3_PKS3_PKT2_SC_S9_PKT4_PKT5_S7_PT6_21rocsparse_index_base_b, .Lfunc_end16-_ZN9rocsparseL18bsrxmvn_4x4_kernelILj128ELj8E21rocsparse_complex_numIdEiiS2_S2_S2_EEvT3_20rocsparse_direction_NS_24const_host_device_scalarIT1_EES3_PKS3_PKT2_SC_S9_PKT4_PKT5_S7_PT6_21rocsparse_index_base_b
                                        ; -- End function
	.set _ZN9rocsparseL18bsrxmvn_4x4_kernelILj128ELj8E21rocsparse_complex_numIdEiiS2_S2_S2_EEvT3_20rocsparse_direction_NS_24const_host_device_scalarIT1_EES3_PKS3_PKT2_SC_S9_PKT4_PKT5_S7_PT6_21rocsparse_index_base_b.num_vgpr, 118
	.set _ZN9rocsparseL18bsrxmvn_4x4_kernelILj128ELj8E21rocsparse_complex_numIdEiiS2_S2_S2_EEvT3_20rocsparse_direction_NS_24const_host_device_scalarIT1_EES3_PKS3_PKT2_SC_S9_PKT4_PKT5_S7_PT6_21rocsparse_index_base_b.num_agpr, 0
	.set _ZN9rocsparseL18bsrxmvn_4x4_kernelILj128ELj8E21rocsparse_complex_numIdEiiS2_S2_S2_EEvT3_20rocsparse_direction_NS_24const_host_device_scalarIT1_EES3_PKS3_PKT2_SC_S9_PKT4_PKT5_S7_PT6_21rocsparse_index_base_b.numbered_sgpr, 20
	.set _ZN9rocsparseL18bsrxmvn_4x4_kernelILj128ELj8E21rocsparse_complex_numIdEiiS2_S2_S2_EEvT3_20rocsparse_direction_NS_24const_host_device_scalarIT1_EES3_PKS3_PKT2_SC_S9_PKT4_PKT5_S7_PT6_21rocsparse_index_base_b.num_named_barrier, 0
	.set _ZN9rocsparseL18bsrxmvn_4x4_kernelILj128ELj8E21rocsparse_complex_numIdEiiS2_S2_S2_EEvT3_20rocsparse_direction_NS_24const_host_device_scalarIT1_EES3_PKS3_PKT2_SC_S9_PKT4_PKT5_S7_PT6_21rocsparse_index_base_b.private_seg_size, 0
	.set _ZN9rocsparseL18bsrxmvn_4x4_kernelILj128ELj8E21rocsparse_complex_numIdEiiS2_S2_S2_EEvT3_20rocsparse_direction_NS_24const_host_device_scalarIT1_EES3_PKS3_PKT2_SC_S9_PKT4_PKT5_S7_PT6_21rocsparse_index_base_b.uses_vcc, 1
	.set _ZN9rocsparseL18bsrxmvn_4x4_kernelILj128ELj8E21rocsparse_complex_numIdEiiS2_S2_S2_EEvT3_20rocsparse_direction_NS_24const_host_device_scalarIT1_EES3_PKS3_PKT2_SC_S9_PKT4_PKT5_S7_PT6_21rocsparse_index_base_b.uses_flat_scratch, 0
	.set _ZN9rocsparseL18bsrxmvn_4x4_kernelILj128ELj8E21rocsparse_complex_numIdEiiS2_S2_S2_EEvT3_20rocsparse_direction_NS_24const_host_device_scalarIT1_EES3_PKS3_PKT2_SC_S9_PKT4_PKT5_S7_PT6_21rocsparse_index_base_b.has_dyn_sized_stack, 0
	.set _ZN9rocsparseL18bsrxmvn_4x4_kernelILj128ELj8E21rocsparse_complex_numIdEiiS2_S2_S2_EEvT3_20rocsparse_direction_NS_24const_host_device_scalarIT1_EES3_PKS3_PKT2_SC_S9_PKT4_PKT5_S7_PT6_21rocsparse_index_base_b.has_recursion, 0
	.set _ZN9rocsparseL18bsrxmvn_4x4_kernelILj128ELj8E21rocsparse_complex_numIdEiiS2_S2_S2_EEvT3_20rocsparse_direction_NS_24const_host_device_scalarIT1_EES3_PKS3_PKT2_SC_S9_PKT4_PKT5_S7_PT6_21rocsparse_index_base_b.has_indirect_call, 0
	.section	.AMDGPU.csdata,"",@progbits
; Kernel info:
; codeLenInByte = 7412
; TotalNumSgprs: 26
; NumVgprs: 118
; NumAgprs: 0
; TotalNumVgprs: 118
; ScratchSize: 0
; MemoryBound: 1
; FloatMode: 240
; IeeeMode: 1
; LDSByteSize: 0 bytes/workgroup (compile time only)
; SGPRBlocks: 3
; VGPRBlocks: 14
; NumSGPRsForWavesPerEU: 26
; NumVGPRsForWavesPerEU: 118
; AccumOffset: 120
; Occupancy: 4
; WaveLimiterHint : 1
; COMPUTE_PGM_RSRC2:SCRATCH_EN: 0
; COMPUTE_PGM_RSRC2:USER_SGPR: 2
; COMPUTE_PGM_RSRC2:TRAP_HANDLER: 0
; COMPUTE_PGM_RSRC2:TGID_X_EN: 1
; COMPUTE_PGM_RSRC2:TGID_Y_EN: 0
; COMPUTE_PGM_RSRC2:TGID_Z_EN: 0
; COMPUTE_PGM_RSRC2:TIDIG_COMP_CNT: 0
; COMPUTE_PGM_RSRC3_GFX90A:ACCUM_OFFSET: 29
; COMPUTE_PGM_RSRC3_GFX90A:TG_SPLIT: 0
	.section	.text._ZN9rocsparseL18bsrxmvn_4x4_kernelILj128ELj16E21rocsparse_complex_numIdEiiS2_S2_S2_EEvT3_20rocsparse_direction_NS_24const_host_device_scalarIT1_EES3_PKS3_PKT2_SC_S9_PKT4_PKT5_S7_PT6_21rocsparse_index_base_b,"axG",@progbits,_ZN9rocsparseL18bsrxmvn_4x4_kernelILj128ELj16E21rocsparse_complex_numIdEiiS2_S2_S2_EEvT3_20rocsparse_direction_NS_24const_host_device_scalarIT1_EES3_PKS3_PKT2_SC_S9_PKT4_PKT5_S7_PT6_21rocsparse_index_base_b,comdat
	.globl	_ZN9rocsparseL18bsrxmvn_4x4_kernelILj128ELj16E21rocsparse_complex_numIdEiiS2_S2_S2_EEvT3_20rocsparse_direction_NS_24const_host_device_scalarIT1_EES3_PKS3_PKT2_SC_S9_PKT4_PKT5_S7_PT6_21rocsparse_index_base_b ; -- Begin function _ZN9rocsparseL18bsrxmvn_4x4_kernelILj128ELj16E21rocsparse_complex_numIdEiiS2_S2_S2_EEvT3_20rocsparse_direction_NS_24const_host_device_scalarIT1_EES3_PKS3_PKT2_SC_S9_PKT4_PKT5_S7_PT6_21rocsparse_index_base_b
	.p2align	8
	.type	_ZN9rocsparseL18bsrxmvn_4x4_kernelILj128ELj16E21rocsparse_complex_numIdEiiS2_S2_S2_EEvT3_20rocsparse_direction_NS_24const_host_device_scalarIT1_EES3_PKS3_PKT2_SC_S9_PKT4_PKT5_S7_PT6_21rocsparse_index_base_b,@function
_ZN9rocsparseL18bsrxmvn_4x4_kernelILj128ELj16E21rocsparse_complex_numIdEiiS2_S2_S2_EEvT3_20rocsparse_direction_NS_24const_host_device_scalarIT1_EES3_PKS3_PKT2_SC_S9_PKT4_PKT5_S7_PT6_21rocsparse_index_base_b: ; @_ZN9rocsparseL18bsrxmvn_4x4_kernelILj128ELj16E21rocsparse_complex_numIdEiiS2_S2_S2_EEvT3_20rocsparse_direction_NS_24const_host_device_scalarIT1_EES3_PKS3_PKT2_SC_S9_PKT4_PKT5_S7_PT6_21rocsparse_index_base_b
; %bb.0:
	s_load_dwordx2 s[4:5], s[0:1], 0x8
	s_load_dwordx2 s[12:13], s[0:1], 0x68
	s_add_u32 s3, s0, 8
	s_addc_u32 s8, s1, 0
	s_add_u32 s9, s0, 0x50
	s_load_dwordx2 s[6:7], s[0:1], 0x50
	s_addc_u32 s10, s1, 0
	s_waitcnt lgkmcnt(0)
	s_bitcmp1_b32 s13, 0
	s_cselect_b32 s5, s8, s5
	s_cselect_b32 s3, s3, s4
	v_mov_b32_e32 v2, s3
	v_mov_b32_e32 v3, s5
	flat_load_dwordx4 v[6:9], v[2:3]
	s_cselect_b32 s3, s10, s7
	s_cselect_b32 s4, s9, s6
	v_mov_b32_e32 v2, s4
	v_mov_b32_e32 v3, s3
	flat_load_dwordx4 v[2:5], v[2:3]
	s_waitcnt vmcnt(0) lgkmcnt(0)
	v_cmp_eq_f64_e32 vcc, 0, v[6:7]
	v_cmp_eq_f64_e64 s[4:5], 0, v[8:9]
	s_and_b64 s[8:9], vcc, s[4:5]
	s_mov_b64 s[4:5], -1
	s_and_saveexec_b64 s[6:7], s[8:9]
; %bb.1:
	v_cmp_neq_f64_e32 vcc, 1.0, v[2:3]
	v_cmp_neq_f64_e64 s[4:5], 0, v[4:5]
	s_or_b64 s[4:5], vcc, s[4:5]
	s_orn2_b64 s[4:5], s[4:5], exec
; %bb.2:
	s_or_b64 exec, exec, s[6:7]
	s_and_saveexec_b64 s[6:7], s[4:5]
	s_cbranch_execz .LBB17_8
; %bb.3:
	s_load_dwordx2 s[4:5], s[0:1], 0x20
	s_load_dwordx2 s[14:15], s[0:1], 0x0
	v_lshrrev_b32_e32 v1, 4, v0
	v_lshl_or_b32 v70, s2, 3, v1
	s_mov_b64 s[2:3], 0
	s_waitcnt lgkmcnt(0)
	s_cmp_lg_u64 s[4:5], 0
	s_cbranch_scc0 .LBB17_9
; %bb.4:
	s_load_dword s6, s[0:1], 0x18
                                        ; implicit-def: $vgpr1
	s_waitcnt lgkmcnt(0)
	v_cmp_gt_i32_e32 vcc, s6, v70
	s_and_saveexec_b64 s[6:7], vcc
	s_xor_b64 s[6:7], exec, s[6:7]
	s_cbranch_execz .LBB17_6
; %bb.5:
	v_ashrrev_i32_e32 v71, 31, v70
	v_lshl_add_u64 v[10:11], v[70:71], 2, s[4:5]
	global_load_dword v1, v[10:11], off
	s_mov_b64 s[2:3], exec
	s_waitcnt vmcnt(0)
	v_subrev_u32_e32 v1, s12, v1
.LBB17_6:
	s_or_b64 exec, exec, s[6:7]
	s_branch .LBB17_10
.LBB17_7:
	v_cmp_gt_i32_e32 vcc, s14, v70
	s_andn2_b64 s[2:3], s[2:3], exec
	s_and_b64 s[4:5], vcc, exec
	s_or_b64 s[2:3], s[2:3], s[4:5]
	s_and_b64 exec, exec, s[2:3]
	s_cbranch_execnz .LBB17_11
.LBB17_8:
	s_endpgm
.LBB17_9:
                                        ; implicit-def: $vgpr1
	s_cbranch_execnz .LBB17_7
.LBB17_10:
	v_mov_b32_e32 v70, v1
	s_and_b64 exec, exec, s[2:3]
	s_cbranch_execz .LBB17_8
.LBB17_11:
	s_load_dwordx8 s[4:11], s[0:1], 0x28
	v_ashrrev_i32_e32 v71, 31, v70
	v_lshlrev_b64 v[10:11], 2, v[70:71]
	v_and_b32_e32 v71, 15, v0
	s_waitcnt lgkmcnt(0)
	v_lshl_add_u64 v[12:13], s[4:5], 0, v[10:11]
	s_cmp_eq_u64 s[6:7], 0
	global_load_dword v36, v[12:13], off
	v_lshl_add_u64 v[12:13], v[12:13], 0, 4
	v_lshl_add_u64 v[10:11], s[6:7], 0, v[10:11]
	s_cselect_b64 vcc, -1, 0
	v_cndmask_b32_e32 v11, v11, v13, vcc
	v_cndmask_b32_e32 v10, v10, v12, vcc
	global_load_dword v1, v[10:11], off
	s_load_dwordx2 s[4:5], s[0:1], 0x48
	s_cmp_eq_u32 s15, 1
	s_waitcnt vmcnt(1)
	v_subrev_u32_e32 v0, s12, v36
	v_add_u32_e32 v78, v0, v71
	v_ashrrev_i32_e32 v79, 31, v78
	s_waitcnt vmcnt(0)
	v_subrev_u32_e32 v90, s12, v1
	v_lshlrev_b64 v[0:1], 8, v[78:79]
	v_lshl_add_u64 v[80:81], s[10:11], 0, v[0:1]
	v_cmp_lt_i32_e64 s[2:3], v78, v90
	s_cbranch_scc1 .LBB17_23
; %bb.12:
	v_mov_b64_e32 v[76:77], 0
	v_mov_b64_e32 v[84:85], 0
	;; [unrolled: 1-line block ×8, first 2 shown]
	s_and_saveexec_b64 s[6:7], s[2:3]
	s_cbranch_execz .LBB17_22
; %bb.13:
	v_add_u32_e32 v0, v36, v71
	v_subrev_u32_e32 v0, s12, v0
	v_add_u32_e32 v0, 16, v0
	v_max_i32_e32 v0, v0, v90
	v_not_b32_e32 v1, v36
	v_add3_u32 v0, s12, v0, v1
	v_sub_u32_e32 v14, v0, v71
	v_and_b32_e32 v0, 48, v14
	v_cmp_ne_u32_e32 vcc, 48, v0
	v_mov_b64_e32 v[74:75], 0
	v_mov_b64_e32 v[82:83], 0
	;; [unrolled: 1-line block ×9, first 2 shown]
	v_mov_b32_e32 v26, v78
	s_and_saveexec_b64 s[10:11], vcc
	s_cbranch_execz .LBB17_17
; %bb.14:
	v_lshrrev_b32_e32 v0, 4, v14
	v_add_u32_e32 v0, 1, v0
	v_and_b32_e32 v0, 3, v0
	v_sub_u32_e32 v15, 0, v0
	v_mov_b64_e32 v[76:77], 0
	s_mov_b64 s[14:15], 0
	s_mov_b64 s[16:17], 0x1000
	v_mov_b32_e32 v26, v78
	v_mov_b64_e32 v[28:29], v[80:81]
	v_mov_b64_e32 v[84:85], 0
	;; [unrolled: 1-line block ×8, first 2 shown]
.LBB17_15:                              ; =>This Inner Loop Header: Depth=1
	v_ashrrev_i32_e32 v27, 31, v26
	v_lshl_add_u64 v[24:25], v[26:27], 2, s[8:9]
	global_load_dwordx4 v[10:13], v[28:29], off offset:16
	global_load_dwordx4 v[16:19], v[28:29], off
	global_load_dwordx4 v[20:23], v[28:29], off offset:80
	global_load_dwordx4 v[30:33], v[28:29], off offset:64
	;; [unrolled: 1-line block ×13, first 2 shown]
	v_add_co_u32_e32 v15, vcc, 1, v15
	global_load_dword v24, v[24:25], off
	v_add_u32_e32 v26, 16, v26
	s_or_b64 s[14:15], vcc, s[14:15]
	s_waitcnt vmcnt(0)
	v_subrev_u32_e32 v24, s12, v24
	v_lshlrev_b32_e32 v24, 2, v24
	v_ashrrev_i32_e32 v25, 31, v24
	s_waitcnt lgkmcnt(0)
	v_lshl_add_u64 v[24:25], v[24:25], 4, s[4:5]
	global_load_dwordx4 v[104:107], v[24:25], off
	global_load_dwordx4 v[108:111], v[24:25], off offset:16
	s_waitcnt vmcnt(1)
	v_fmac_f64_e32 v[84:85], v[16:17], v[104:105]
	v_fmac_f64_e32 v[76:77], v[18:19], v[104:105]
	;; [unrolled: 1-line block ×4, first 2 shown]
	v_fma_f64 v[34:35], -v[18:19], v[106:107], v[84:85]
	v_fmac_f64_e32 v[76:77], v[16:17], v[106:107]
	global_load_dwordx4 v[16:19], v[28:29], off offset:224
	v_fma_f64 v[82:83], -v[32:33], v[106:107], v[82:83]
	v_fmac_f64_e32 v[74:75], v[30:31], v[106:107]
	global_load_dwordx4 v[30:33], v[24:25], off offset:32
	v_fmac_f64_e32 v[68:69], v[42:43], v[104:105]
	v_fmac_f64_e32 v[72:73], v[44:45], v[104:105]
	v_fma_f64 v[68:69], -v[44:45], v[106:107], v[68:69]
	v_fmac_f64_e32 v[72:73], v[42:43], v[106:107]
	global_load_dwordx4 v[42:45], v[24:25], off offset:48
	v_fmac_f64_e32 v[66:67], v[50:51], v[104:105]
	v_fmac_f64_e32 v[0:1], v[52:53], v[104:105]
	v_fma_f64 v[24:25], -v[52:53], v[106:107], v[66:67]
	v_fmac_f64_e32 v[0:1], v[50:51], v[106:107]
	s_waitcnt vmcnt(3)
	v_fmac_f64_e32 v[34:35], v[10:11], v[108:109]
	v_fmac_f64_e32 v[76:77], v[12:13], v[108:109]
	;; [unrolled: 1-line block ×8, first 2 shown]
	v_fma_f64 v[12:13], -v[12:13], v[110:111], v[34:35]
	v_fmac_f64_e32 v[76:77], v[10:11], v[110:111]
	v_fma_f64 v[10:11], -v[22:23], v[110:111], v[82:83]
	v_fmac_f64_e32 v[74:75], v[20:21], v[110:111]
	;; [unrolled: 2-line block ×4, first 2 shown]
	v_lshl_add_u64 v[28:29], v[28:29], 0, s[16:17]
	s_waitcnt vmcnt(1)
	v_fmac_f64_e32 v[12:13], v[58:59], v[30:31]
	v_fmac_f64_e32 v[76:77], v[60:61], v[30:31]
	;; [unrolled: 1-line block ×8, first 2 shown]
	v_fma_f64 v[12:13], -v[60:61], v[32:33], v[12:13]
	v_fmac_f64_e32 v[76:77], v[58:59], v[32:33]
	v_fma_f64 v[10:11], -v[88:89], v[32:33], v[10:11]
	v_fmac_f64_e32 v[74:75], v[86:87], v[32:33]
	;; [unrolled: 2-line block ×4, first 2 shown]
	s_waitcnt vmcnt(0)
	v_fmac_f64_e32 v[12:13], v[54:55], v[42:43]
	v_fmac_f64_e32 v[76:77], v[56:57], v[42:43]
	;; [unrolled: 1-line block ×8, first 2 shown]
	v_fma_f64 v[84:85], -v[56:57], v[44:45], v[12:13]
	v_fmac_f64_e32 v[76:77], v[54:55], v[44:45]
	v_fma_f64 v[82:83], -v[64:65], v[44:45], v[10:11]
	v_fmac_f64_e32 v[74:75], v[62:63], v[44:45]
	;; [unrolled: 2-line block ×4, first 2 shown]
	s_andn2_b64 exec, exec, s[14:15]
	s_cbranch_execnz .LBB17_15
; %bb.16:
	s_or_b64 exec, exec, s[14:15]
.LBB17_17:
	s_or_b64 exec, exec, s[10:11]
	v_cmp_lt_u32_e32 vcc, 47, v14
	s_and_saveexec_b64 s[10:11], vcc
	s_cbranch_execz .LBB17_21
; %bb.18:
	s_mov_b64 s[14:15], 0
	s_mov_b64 s[16:17], 0x1000
	;; [unrolled: 1-line block ×3, first 2 shown]
	s_movk_i32 s13, 0x2000
	s_mov_b64 s[20:21], 0x3000
	s_movk_i32 s24, 0x3000
	s_mov_b64 s[22:23], 0x4000
.LBB17_19:                              ; =>This Inner Loop Header: Depth=1
	v_ashrrev_i32_e32 v27, 31, v26
	v_lshl_add_u64 v[30:31], v[26:27], 2, s[8:9]
	global_load_dword v10, v[30:31], off
	global_load_dwordx4 v[38:41], v[28:29], off offset:48
	global_load_dwordx4 v[32:35], v[28:29], off offset:32
	;; [unrolled: 1-line block ×3, first 2 shown]
	global_load_dwordx4 v[46:49], v[28:29], off
	v_add_u32_e32 v26, 64, v26
	s_waitcnt vmcnt(4)
	v_subrev_u32_e32 v10, s12, v10
	v_lshlrev_b32_e32 v10, 2, v10
	v_ashrrev_i32_e32 v11, 31, v10
	s_waitcnt lgkmcnt(0)
	v_lshl_add_u64 v[50:51], v[10:11], 4, s[4:5]
	global_load_dwordx4 v[10:13], v[50:51], off offset:48
	global_load_dwordx4 v[14:17], v[50:51], off offset:32
	;; [unrolled: 1-line block ×3, first 2 shown]
	global_load_dwordx4 v[22:25], v[50:51], off
	s_waitcnt vmcnt(0)
	v_fmac_f64_e32 v[84:85], v[46:47], v[22:23]
	v_fmac_f64_e32 v[76:77], v[48:49], v[22:23]
	v_fma_f64 v[50:51], -v[48:49], v[24:25], v[84:85]
	v_fmac_f64_e32 v[76:77], v[46:47], v[24:25]
	v_fmac_f64_e32 v[50:51], v[42:43], v[18:19]
	v_fmac_f64_e32 v[76:77], v[44:45], v[18:19]
	v_fma_f64 v[46:47], -v[44:45], v[20:21], v[50:51]
	v_fmac_f64_e32 v[76:77], v[42:43], v[20:21]
	v_fmac_f64_e32 v[46:47], v[32:33], v[14:15]
	v_fmac_f64_e32 v[76:77], v[34:35], v[14:15]
	v_fma_f64 v[42:43], -v[34:35], v[16:17], v[46:47]
	v_fmac_f64_e32 v[76:77], v[32:33], v[16:17]
	v_fmac_f64_e32 v[42:43], v[38:39], v[10:11]
	v_fmac_f64_e32 v[76:77], v[40:41], v[10:11]
	v_fma_f64 v[32:33], -v[40:41], v[12:13], v[42:43]
	v_fmac_f64_e32 v[76:77], v[38:39], v[12:13]
	global_load_dwordx4 v[38:41], v[28:29], off offset:112
	global_load_dwordx4 v[42:45], v[28:29], off offset:96
	global_load_dwordx4 v[46:49], v[28:29], off offset:80
	global_load_dwordx4 v[50:53], v[28:29], off offset:64
	s_waitcnt vmcnt(0)
	v_fmac_f64_e32 v[82:83], v[50:51], v[22:23]
	v_fmac_f64_e32 v[74:75], v[52:53], v[22:23]
	v_fma_f64 v[34:35], -v[52:53], v[24:25], v[82:83]
	v_fmac_f64_e32 v[74:75], v[50:51], v[24:25]
	v_fmac_f64_e32 v[34:35], v[46:47], v[18:19]
	v_fmac_f64_e32 v[74:75], v[48:49], v[18:19]
	v_fma_f64 v[34:35], -v[48:49], v[20:21], v[34:35]
	v_fmac_f64_e32 v[74:75], v[46:47], v[20:21]
	v_fmac_f64_e32 v[34:35], v[42:43], v[14:15]
	v_fmac_f64_e32 v[74:75], v[44:45], v[14:15]
	v_fma_f64 v[34:35], -v[44:45], v[16:17], v[34:35]
	v_fmac_f64_e32 v[74:75], v[42:43], v[16:17]
	v_fmac_f64_e32 v[34:35], v[38:39], v[10:11]
	v_fmac_f64_e32 v[74:75], v[40:41], v[10:11]
	v_fma_f64 v[34:35], -v[40:41], v[12:13], v[34:35]
	v_fmac_f64_e32 v[74:75], v[38:39], v[12:13]
	global_load_dwordx4 v[38:41], v[28:29], off offset:176
	global_load_dwordx4 v[42:45], v[28:29], off offset:160
	global_load_dwordx4 v[46:49], v[28:29], off offset:144
	global_load_dwordx4 v[50:53], v[28:29], off offset:128
	;; [unrolled: 21-line block ×3, first 2 shown]
	s_waitcnt vmcnt(0)
	v_fmac_f64_e32 v[66:67], v[50:51], v[22:23]
	v_fmac_f64_e32 v[0:1], v[52:53], v[22:23]
	v_fma_f64 v[54:55], -v[52:53], v[24:25], v[66:67]
	v_fmac_f64_e32 v[0:1], v[50:51], v[24:25]
	v_fmac_f64_e32 v[54:55], v[46:47], v[18:19]
	v_fmac_f64_e32 v[0:1], v[48:49], v[18:19]
	v_fma_f64 v[22:23], -v[48:49], v[20:21], v[54:55]
	v_fmac_f64_e32 v[0:1], v[46:47], v[20:21]
	v_fmac_f64_e32 v[22:23], v[42:43], v[14:15]
	v_fmac_f64_e32 v[0:1], v[44:45], v[14:15]
	v_fma_f64 v[18:19], -v[44:45], v[16:17], v[22:23]
	v_fmac_f64_e32 v[0:1], v[42:43], v[16:17]
	v_fmac_f64_e32 v[18:19], v[38:39], v[10:11]
	v_fmac_f64_e32 v[0:1], v[40:41], v[10:11]
	global_load_dword v10, v[30:31], off offset:64
	v_fma_f64 v[64:65], -v[40:41], v[12:13], v[18:19]
	v_fmac_f64_e32 v[0:1], v[38:39], v[12:13]
	v_lshl_add_u64 v[66:67], v[28:29], 0, s[16:17]
	s_waitcnt vmcnt(0)
	v_subrev_u32_e32 v10, s12, v10
	v_lshlrev_b32_e32 v24, 2, v10
	v_add_co_u32_e32 v10, vcc, s13, v28
	v_ashrrev_i32_e32 v25, 31, v24
	s_nop 0
	v_addc_co_u32_e32 v11, vcc, 0, v29, vcc
	v_lshl_add_u64 v[24:25], v[24:25], 4, s[4:5]
	global_load_dwordx4 v[12:15], v[10:11], off offset:-4096
	global_load_dwordx4 v[16:19], v[66:67], off offset:48
	global_load_dwordx4 v[20:23], v[66:67], off offset:32
	;; [unrolled: 1-line block ×6, first 2 shown]
	global_load_dwordx4 v[54:57], v[24:25], off
	s_waitcnt vmcnt(0)
	v_fmac_f64_e32 v[32:33], v[12:13], v[54:55]
	v_fmac_f64_e32 v[76:77], v[14:15], v[54:55]
	v_fma_f64 v[24:25], -v[14:15], v[56:57], v[32:33]
	v_fmac_f64_e32 v[76:77], v[12:13], v[56:57]
	v_fmac_f64_e32 v[24:25], v[38:39], v[50:51]
	v_fmac_f64_e32 v[76:77], v[40:41], v[50:51]
	v_fma_f64 v[12:13], -v[40:41], v[52:53], v[24:25]
	v_fmac_f64_e32 v[76:77], v[38:39], v[52:53]
	;; [unrolled: 4-line block ×4, first 2 shown]
	global_load_dwordx4 v[16:19], v[66:67], off offset:112
	global_load_dwordx4 v[20:23], v[66:67], off offset:96
	;; [unrolled: 1-line block ×4, first 2 shown]
	s_waitcnt vmcnt(0)
	v_fmac_f64_e32 v[34:35], v[58:59], v[54:55]
	v_fma_f64 v[14:15], -v[60:61], v[56:57], v[34:35]
	v_fmac_f64_e32 v[74:75], v[60:61], v[54:55]
	v_fmac_f64_e32 v[74:75], v[58:59], v[56:57]
	v_fmac_f64_e32 v[14:15], v[38:39], v[50:51]
	v_fma_f64 v[14:15], -v[40:41], v[52:53], v[14:15]
	v_fmac_f64_e32 v[74:75], v[40:41], v[50:51]
	v_fmac_f64_e32 v[74:75], v[38:39], v[52:53]
	v_fmac_f64_e32 v[14:15], v[20:21], v[46:47]
	v_fma_f64 v[14:15], -v[22:23], v[48:49], v[14:15]
	v_fmac_f64_e32 v[74:75], v[22:23], v[46:47]
	v_fmac_f64_e32 v[74:75], v[20:21], v[48:49]
	v_fmac_f64_e32 v[14:15], v[16:17], v[42:43]
	v_fma_f64 v[14:15], -v[18:19], v[44:45], v[14:15]
	v_fmac_f64_e32 v[74:75], v[18:19], v[42:43]
	global_load_dwordx4 v[18:21], v[66:67], off offset:176
	global_load_dwordx4 v[22:25], v[66:67], off offset:160
	;; [unrolled: 1-line block ×4, first 2 shown]
	v_fmac_f64_e32 v[74:75], v[16:17], v[44:45]
	s_waitcnt vmcnt(0)
	v_fmac_f64_e32 v[62:63], v[38:39], v[54:55]
	v_fma_f64 v[16:17], -v[40:41], v[56:57], v[62:63]
	v_fmac_f64_e32 v[72:73], v[40:41], v[54:55]
	v_fmac_f64_e32 v[72:73], v[38:39], v[56:57]
	v_fmac_f64_e32 v[16:17], v[32:33], v[50:51]
	v_fma_f64 v[16:17], -v[34:35], v[52:53], v[16:17]
	v_fmac_f64_e32 v[72:73], v[34:35], v[50:51]
	v_fmac_f64_e32 v[72:73], v[32:33], v[52:53]
	;; [unrolled: 4-line block ×3, first 2 shown]
	v_fmac_f64_e32 v[16:17], v[18:19], v[42:43]
	v_fma_f64 v[16:17], -v[20:21], v[44:45], v[16:17]
	v_fmac_f64_e32 v[72:73], v[20:21], v[42:43]
	global_load_dwordx4 v[20:23], v[66:67], off offset:240
	global_load_dwordx4 v[32:35], v[66:67], off offset:224
	;; [unrolled: 1-line block ×4, first 2 shown]
	v_fmac_f64_e32 v[72:73], v[18:19], v[44:45]
	v_lshl_add_u64 v[62:63], v[28:29], 0, s[18:19]
	s_waitcnt vmcnt(0)
	v_fmac_f64_e32 v[0:1], v[60:61], v[54:55]
	v_fmac_f64_e32 v[64:65], v[58:59], v[54:55]
	v_fmac_f64_e32 v[0:1], v[58:59], v[56:57]
	v_fma_f64 v[18:19], -v[60:61], v[56:57], v[64:65]
	v_fmac_f64_e32 v[0:1], v[40:41], v[50:51]
	v_fmac_f64_e32 v[18:19], v[38:39], v[50:51]
	v_fmac_f64_e32 v[0:1], v[38:39], v[52:53]
	v_fma_f64 v[18:19], -v[40:41], v[52:53], v[18:19]
	;; [unrolled: 4-line block ×3, first 2 shown]
	v_fmac_f64_e32 v[0:1], v[22:23], v[42:43]
	v_fmac_f64_e32 v[18:19], v[20:21], v[42:43]
	;; [unrolled: 1-line block ×3, first 2 shown]
	global_load_dword v20, v[30:31], off offset:128
	v_fma_f64 v[18:19], -v[22:23], v[44:45], v[18:19]
	global_load_dwordx4 v[22:25], v[10:11], off
	global_load_dwordx4 v[32:35], v[62:63], off offset:48
	global_load_dwordx4 v[38:41], v[62:63], off offset:32
	;; [unrolled: 1-line block ×3, first 2 shown]
	s_waitcnt vmcnt(4)
	v_subrev_u32_e32 v20, s12, v20
	v_lshlrev_b32_e32 v20, 2, v20
	v_ashrrev_i32_e32 v21, 31, v20
	v_lshl_add_u64 v[10:11], v[20:21], 4, s[4:5]
	global_load_dwordx4 v[46:49], v[10:11], off offset:48
	global_load_dwordx4 v[50:53], v[10:11], off offset:32
	;; [unrolled: 1-line block ×3, first 2 shown]
	global_load_dwordx4 v[58:61], v[10:11], off
	s_waitcnt vmcnt(0)
	v_fmac_f64_e32 v[12:13], v[22:23], v[58:59]
	v_fmac_f64_e32 v[76:77], v[24:25], v[58:59]
	v_fma_f64 v[10:11], -v[24:25], v[60:61], v[12:13]
	v_fmac_f64_e32 v[76:77], v[22:23], v[60:61]
	v_fmac_f64_e32 v[10:11], v[42:43], v[54:55]
	v_fmac_f64_e32 v[76:77], v[44:45], v[54:55]
	v_fma_f64 v[10:11], -v[44:45], v[56:57], v[10:11]
	v_fmac_f64_e32 v[76:77], v[42:43], v[56:57]
	;; [unrolled: 4-line block ×4, first 2 shown]
	global_load_dwordx4 v[20:23], v[62:63], off offset:112
	global_load_dwordx4 v[32:35], v[62:63], off offset:96
	;; [unrolled: 1-line block ×4, first 2 shown]
	v_add_co_u32_e32 v24, vcc, s24, v28
	s_waitcnt vmcnt(0)
	v_fmac_f64_e32 v[14:15], v[42:43], v[58:59]
	v_fmac_f64_e32 v[74:75], v[44:45], v[58:59]
	v_fma_f64 v[12:13], -v[44:45], v[60:61], v[14:15]
	v_fmac_f64_e32 v[74:75], v[42:43], v[60:61]
	v_fmac_f64_e32 v[12:13], v[38:39], v[54:55]
	v_fmac_f64_e32 v[74:75], v[40:41], v[54:55]
	v_fma_f64 v[12:13], -v[40:41], v[56:57], v[12:13]
	v_fmac_f64_e32 v[74:75], v[38:39], v[56:57]
	;; [unrolled: 4-line block ×4, first 2 shown]
	global_load_dwordx4 v[20:23], v[62:63], off offset:176
	global_load_dwordx4 v[32:35], v[62:63], off offset:160
	;; [unrolled: 1-line block ×4, first 2 shown]
	v_addc_co_u32_e32 v25, vcc, 0, v29, vcc
	v_cmp_ge_i32_e32 vcc, v26, v90
	s_or_b64 s[14:15], vcc, s[14:15]
	s_waitcnt vmcnt(0)
	v_fmac_f64_e32 v[16:17], v[42:43], v[58:59]
	v_fmac_f64_e32 v[72:73], v[44:45], v[58:59]
	v_fma_f64 v[14:15], -v[44:45], v[60:61], v[16:17]
	v_fmac_f64_e32 v[72:73], v[42:43], v[60:61]
	v_fmac_f64_e32 v[14:15], v[38:39], v[54:55]
	v_fmac_f64_e32 v[72:73], v[40:41], v[54:55]
	v_fma_f64 v[14:15], -v[40:41], v[56:57], v[14:15]
	v_fmac_f64_e32 v[72:73], v[38:39], v[56:57]
	v_fmac_f64_e32 v[14:15], v[32:33], v[50:51]
	v_fmac_f64_e32 v[72:73], v[34:35], v[50:51]
	v_fma_f64 v[14:15], -v[34:35], v[52:53], v[14:15]
	v_fmac_f64_e32 v[72:73], v[32:33], v[52:53]
	v_fmac_f64_e32 v[14:15], v[20:21], v[46:47]
	v_fmac_f64_e32 v[72:73], v[22:23], v[46:47]
	v_fma_f64 v[14:15], -v[22:23], v[48:49], v[14:15]
	v_fmac_f64_e32 v[72:73], v[20:21], v[48:49]
	global_load_dwordx4 v[20:23], v[62:63], off offset:240
	global_load_dwordx4 v[32:35], v[62:63], off offset:224
	global_load_dwordx4 v[38:41], v[62:63], off offset:208
	global_load_dwordx4 v[42:45], v[62:63], off offset:192
	s_waitcnt vmcnt(0)
	v_fmac_f64_e32 v[18:19], v[42:43], v[58:59]
	v_fma_f64 v[16:17], -v[44:45], v[60:61], v[18:19]
	global_load_dword v18, v[30:31], off offset:192
	v_fmac_f64_e32 v[0:1], v[44:45], v[58:59]
	v_fmac_f64_e32 v[0:1], v[42:43], v[60:61]
	;; [unrolled: 1-line block ×4, first 2 shown]
	v_fma_f64 v[16:17], -v[40:41], v[56:57], v[16:17]
	v_fmac_f64_e32 v[0:1], v[38:39], v[56:57]
	v_fmac_f64_e32 v[16:17], v[32:33], v[50:51]
	;; [unrolled: 1-line block ×3, first 2 shown]
	v_fma_f64 v[16:17], -v[34:35], v[52:53], v[16:17]
	v_fmac_f64_e32 v[0:1], v[32:33], v[52:53]
	v_fmac_f64_e32 v[16:17], v[20:21], v[46:47]
	;; [unrolled: 1-line block ×3, first 2 shown]
	v_fma_f64 v[16:17], -v[22:23], v[48:49], v[16:17]
	v_fmac_f64_e32 v[0:1], v[20:21], v[48:49]
	v_lshl_add_u64 v[34:35], v[28:29], 0, s[20:21]
	global_load_dwordx4 v[20:23], v[24:25], off
	global_load_dwordx4 v[30:33], v[34:35], off offset:48
	global_load_dwordx4 v[38:41], v[34:35], off offset:32
	;; [unrolled: 1-line block ×3, first 2 shown]
	v_lshl_add_u64 v[28:29], v[28:29], 0, s[22:23]
	s_waitcnt vmcnt(4)
	v_subrev_u32_e32 v18, s12, v18
	v_lshlrev_b32_e32 v18, 2, v18
	v_ashrrev_i32_e32 v19, 31, v18
	v_lshl_add_u64 v[18:19], v[18:19], 4, s[4:5]
	global_load_dwordx4 v[46:49], v[18:19], off offset:48
	global_load_dwordx4 v[50:53], v[18:19], off offset:32
	;; [unrolled: 1-line block ×3, first 2 shown]
	global_load_dwordx4 v[58:61], v[18:19], off
	s_waitcnt vmcnt(0)
	v_fmac_f64_e32 v[10:11], v[20:21], v[58:59]
	v_fmac_f64_e32 v[76:77], v[22:23], v[58:59]
	v_fma_f64 v[10:11], -v[22:23], v[60:61], v[10:11]
	v_fmac_f64_e32 v[76:77], v[20:21], v[60:61]
	v_fmac_f64_e32 v[10:11], v[42:43], v[54:55]
	v_fmac_f64_e32 v[76:77], v[44:45], v[54:55]
	v_fma_f64 v[10:11], -v[44:45], v[56:57], v[10:11]
	v_fmac_f64_e32 v[76:77], v[42:43], v[56:57]
	v_fmac_f64_e32 v[10:11], v[38:39], v[50:51]
	v_fmac_f64_e32 v[76:77], v[40:41], v[50:51]
	v_fma_f64 v[10:11], -v[40:41], v[52:53], v[10:11]
	v_fmac_f64_e32 v[76:77], v[38:39], v[52:53]
	v_fmac_f64_e32 v[10:11], v[30:31], v[46:47]
	v_fmac_f64_e32 v[76:77], v[32:33], v[46:47]
	v_fma_f64 v[84:85], -v[32:33], v[48:49], v[10:11]
	v_fmac_f64_e32 v[76:77], v[30:31], v[48:49]
	global_load_dwordx4 v[18:21], v[34:35], off offset:112
	global_load_dwordx4 v[22:25], v[34:35], off offset:96
	global_load_dwordx4 v[30:33], v[34:35], off offset:80
	global_load_dwordx4 v[38:41], v[34:35], off offset:64
	s_waitcnt vmcnt(0)
	v_fmac_f64_e32 v[12:13], v[38:39], v[58:59]
	v_fmac_f64_e32 v[74:75], v[40:41], v[58:59]
	v_fma_f64 v[10:11], -v[40:41], v[60:61], v[12:13]
	v_fmac_f64_e32 v[74:75], v[38:39], v[60:61]
	v_fmac_f64_e32 v[10:11], v[30:31], v[54:55]
	v_fmac_f64_e32 v[74:75], v[32:33], v[54:55]
	v_fma_f64 v[10:11], -v[32:33], v[56:57], v[10:11]
	v_fmac_f64_e32 v[74:75], v[30:31], v[56:57]
	v_fmac_f64_e32 v[10:11], v[22:23], v[50:51]
	v_fmac_f64_e32 v[74:75], v[24:25], v[50:51]
	v_fma_f64 v[10:11], -v[24:25], v[52:53], v[10:11]
	v_fmac_f64_e32 v[74:75], v[22:23], v[52:53]
	v_fmac_f64_e32 v[10:11], v[18:19], v[46:47]
	v_fmac_f64_e32 v[74:75], v[20:21], v[46:47]
	v_fma_f64 v[82:83], -v[20:21], v[48:49], v[10:11]
	v_fmac_f64_e32 v[74:75], v[18:19], v[48:49]
	global_load_dwordx4 v[10:13], v[34:35], off offset:176
	global_load_dwordx4 v[18:21], v[34:35], off offset:160
	global_load_dwordx4 v[22:25], v[34:35], off offset:144
	global_load_dwordx4 v[30:33], v[34:35], off offset:128
	;; [unrolled: 21-line block ×3, first 2 shown]
	s_waitcnt vmcnt(0)
	v_fmac_f64_e32 v[16:17], v[30:31], v[58:59]
	v_fmac_f64_e32 v[0:1], v[32:33], v[58:59]
	v_fma_f64 v[14:15], -v[32:33], v[60:61], v[16:17]
	v_fmac_f64_e32 v[0:1], v[30:31], v[60:61]
	v_fmac_f64_e32 v[14:15], v[22:23], v[54:55]
	v_fmac_f64_e32 v[0:1], v[24:25], v[54:55]
	v_fma_f64 v[14:15], -v[24:25], v[56:57], v[14:15]
	v_fmac_f64_e32 v[0:1], v[22:23], v[56:57]
	;; [unrolled: 4-line block ×4, first 2 shown]
	s_andn2_b64 exec, exec, s[14:15]
	s_cbranch_execnz .LBB17_19
; %bb.20:
	s_or_b64 exec, exec, s[14:15]
.LBB17_21:
	s_or_b64 exec, exec, s[10:11]
.LBB17_22:
	s_or_b64 exec, exec, s[6:7]
	s_cbranch_execz .LBB17_24
	s_branch .LBB17_35
.LBB17_23:
                                        ; implicit-def: $vgpr76_vgpr77
                                        ; implicit-def: $vgpr84_vgpr85
                                        ; implicit-def: $vgpr66_vgpr67
                                        ; implicit-def: $vgpr0_vgpr1
                                        ; implicit-def: $vgpr68_vgpr69
                                        ; implicit-def: $vgpr72_vgpr73
                                        ; implicit-def: $vgpr82_vgpr83
                                        ; implicit-def: $vgpr74_vgpr75
.LBB17_24:
	v_mov_b64_e32 v[76:77], 0
	v_mov_b64_e32 v[84:85], 0
	;; [unrolled: 1-line block ×8, first 2 shown]
	s_and_saveexec_b64 s[6:7], s[2:3]
	s_cbranch_execz .LBB17_34
; %bb.25:
	v_add_u32_e32 v0, v36, v71
	v_subrev_u32_e32 v0, s12, v0
	v_add_u32_e32 v0, 16, v0
	v_max_i32_e32 v0, v0, v90
	v_not_b32_e32 v1, v36
	v_add3_u32 v0, s12, v0, v1
	v_sub_u32_e32 v10, v0, v71
	v_and_b32_e32 v0, 48, v10
	v_cmp_ne_u32_e32 vcc, 48, v0
	v_mov_b64_e32 v[74:75], 0
	v_mov_b64_e32 v[82:83], 0
	;; [unrolled: 1-line block ×8, first 2 shown]
	s_and_saveexec_b64 s[2:3], vcc
	s_cbranch_execz .LBB17_29
; %bb.26:
	v_lshrrev_b32_e32 v0, 4, v10
	v_add_u32_e32 v0, 1, v0
	v_and_b32_e32 v0, 3, v0
	v_sub_u32_e32 v11, 0, v0
	v_mov_b64_e32 v[76:77], 0
	s_mov_b64 s[10:11], 0
	s_mov_b64 s[14:15], 0x1000
	v_mov_b64_e32 v[84:85], 0
	v_mov_b64_e32 v[66:67], 0
	;; [unrolled: 1-line block ×7, first 2 shown]
.LBB17_27:                              ; =>This Inner Loop Header: Depth=1
	v_ashrrev_i32_e32 v79, 31, v78
	v_lshl_add_u64 v[64:65], v[78:79], 2, s[8:9]
	global_load_dword v79, v[64:65], off
	global_load_dwordx4 v[12:15], v[80:81], off offset:48
	global_load_dwordx4 v[16:19], v[80:81], off offset:32
	;; [unrolled: 1-line block ×3, first 2 shown]
	global_load_dwordx4 v[24:27], v[80:81], off
	global_load_dwordx4 v[28:31], v[80:81], off offset:112
	global_load_dwordx4 v[32:35], v[80:81], off offset:96
	;; [unrolled: 1-line block ×10, first 2 shown]
                                        ; kill: killed $vgpr64_vgpr65
	global_load_dwordx4 v[92:95], v[80:81], off offset:224
	global_load_dwordx4 v[96:99], v[80:81], off offset:240
	v_add_co_u32_e32 v11, vcc, 1, v11
	v_lshl_add_u64 v[80:81], v[80:81], 0, s[14:15]
	v_add_u32_e32 v78, 16, v78
	s_or_b64 s[10:11], vcc, s[10:11]
	s_waitcnt vmcnt(16)
	v_subrev_u32_e32 v64, s12, v79
	v_lshlrev_b32_e32 v64, 2, v64
	v_ashrrev_i32_e32 v65, 31, v64
	s_waitcnt lgkmcnt(0)
	v_lshl_add_u64 v[64:65], v[64:65], 4, s[4:5]
	global_load_dwordx4 v[100:103], v[64:65], off
	global_load_dwordx4 v[104:107], v[64:65], off offset:16
	global_load_dwordx4 v[108:111], v[64:65], off offset:32
	;; [unrolled: 1-line block ×3, first 2 shown]
	s_waitcnt vmcnt(3)
	v_fmac_f64_e32 v[84:85], v[24:25], v[100:101]
	v_fmac_f64_e32 v[76:77], v[26:27], v[100:101]
	v_fmac_f64_e32 v[82:83], v[20:21], v[100:101]
	v_fmac_f64_e32 v[74:75], v[22:23], v[100:101]
	v_fmac_f64_e32 v[68:69], v[16:17], v[100:101]
	v_fmac_f64_e32 v[72:73], v[18:19], v[100:101]
	v_fmac_f64_e32 v[66:67], v[12:13], v[100:101]
	v_fmac_f64_e32 v[0:1], v[14:15], v[100:101]
	v_fma_f64 v[26:27], -v[26:27], v[102:103], v[84:85]
	v_fmac_f64_e32 v[76:77], v[24:25], v[102:103]
	v_fma_f64 v[22:23], -v[22:23], v[102:103], v[82:83]
	v_fmac_f64_e32 v[74:75], v[20:21], v[102:103]
	v_fma_f64 v[18:19], -v[18:19], v[102:103], v[68:69]
	v_fmac_f64_e32 v[72:73], v[16:17], v[102:103]
	v_fma_f64 v[14:15], -v[14:15], v[102:103], v[66:67]
	v_fmac_f64_e32 v[0:1], v[12:13], v[102:103]
	s_waitcnt vmcnt(2)
	v_fmac_f64_e32 v[26:27], v[40:41], v[104:105]
	v_fmac_f64_e32 v[76:77], v[42:43], v[104:105]
	v_fmac_f64_e32 v[22:23], v[36:37], v[104:105]
	v_fmac_f64_e32 v[74:75], v[38:39], v[104:105]
	v_fmac_f64_e32 v[18:19], v[32:33], v[104:105]
	v_fmac_f64_e32 v[72:73], v[34:35], v[104:105]
	v_fmac_f64_e32 v[14:15], v[28:29], v[104:105]
	v_fmac_f64_e32 v[0:1], v[30:31], v[104:105]
	v_fma_f64 v[12:13], -v[42:43], v[106:107], v[26:27]
	v_fmac_f64_e32 v[76:77], v[40:41], v[106:107]
	v_fma_f64 v[16:17], -v[38:39], v[106:107], v[22:23]
	v_fmac_f64_e32 v[74:75], v[36:37], v[106:107]
	v_fma_f64 v[18:19], -v[34:35], v[106:107], v[18:19]
	v_fmac_f64_e32 v[72:73], v[32:33], v[106:107]
	v_fma_f64 v[14:15], -v[30:31], v[106:107], v[14:15]
	v_fmac_f64_e32 v[0:1], v[28:29], v[106:107]
	;; [unrolled: 17-line block ×4, first 2 shown]
	s_andn2_b64 exec, exec, s[10:11]
	s_cbranch_execnz .LBB17_27
; %bb.28:
	s_or_b64 exec, exec, s[10:11]
.LBB17_29:
	s_or_b64 exec, exec, s[2:3]
	v_cmp_lt_u32_e32 vcc, 47, v10
	s_and_saveexec_b64 s[10:11], vcc
	s_cbranch_execz .LBB17_33
; %bb.30:
	s_mov_b64 s[14:15], 0
	s_mov_b64 s[16:17], 0x1000
	;; [unrolled: 1-line block ×3, first 2 shown]
	s_movk_i32 s13, 0x2000
	s_mov_b64 s[20:21], 0x3000
	s_movk_i32 s24, 0x3000
	s_mov_b64 s[22:23], 0x4000
.LBB17_31:                              ; =>This Inner Loop Header: Depth=1
	v_ashrrev_i32_e32 v79, 31, v78
	v_lshl_add_u64 v[86:87], v[78:79], 2, s[8:9]
	global_load_dwordx4 v[10:13], v[80:81], off offset:48
	global_load_dwordx4 v[14:17], v[80:81], off offset:32
	global_load_dwordx4 v[18:21], v[80:81], off offset:16
	global_load_dwordx4 v[92:95], v[80:81], off
	global_load_dwordx4 v[22:25], v[80:81], off offset:112
	global_load_dwordx4 v[26:29], v[80:81], off offset:96
	global_load_dwordx4 v[30:33], v[80:81], off offset:80
	global_load_dwordx4 v[38:41], v[80:81], off offset:64
	global_load_dwordx4 v[34:37], v[80:81], off offset:176
	global_load_dwordx4 v[42:45], v[80:81], off offset:160
	global_load_dwordx4 v[46:49], v[80:81], off offset:144
	global_load_dwordx4 v[50:53], v[80:81], off offset:128
	global_load_dwordx4 v[54:57], v[80:81], off offset:240
	global_load_dwordx4 v[58:61], v[80:81], off offset:224
	global_load_dword v62, v[86:87], off
	v_lshl_add_u64 v[96:97], v[80:81], 0, s[16:17]
	v_add_co_u32_e32 v98, vcc, s13, v80
	v_lshl_add_u64 v[100:101], v[80:81], 0, s[18:19]
	s_nop 0
	v_addc_co_u32_e32 v99, vcc, 0, v81, vcc
	v_add_u32_e32 v78, 64, v78
	s_waitcnt vmcnt(0)
	v_subrev_u32_e32 v62, s12, v62
	v_lshlrev_b32_e32 v62, 2, v62
	v_ashrrev_i32_e32 v63, 31, v62
	s_waitcnt lgkmcnt(0)
	v_lshl_add_u64 v[88:89], v[62:63], 4, s[4:5]
	global_load_dwordx4 v[62:65], v[88:89], off
	s_waitcnt vmcnt(0)
	v_fmac_f64_e32 v[66:67], v[10:11], v[62:63]
	v_fmac_f64_e32 v[0:1], v[12:13], v[62:63]
	v_fma_f64 v[66:67], -v[12:13], v[64:65], v[66:67]
	v_fmac_f64_e32 v[0:1], v[10:11], v[64:65]
	global_load_dwordx4 v[10:13], v[88:89], off offset:16
	v_fmac_f64_e32 v[84:85], v[92:93], v[62:63]
	v_fmac_f64_e32 v[76:77], v[94:95], v[62:63]
	;; [unrolled: 1-line block ×6, first 2 shown]
	v_fma_f64 v[84:85], -v[94:95], v[64:65], v[84:85]
	v_fmac_f64_e32 v[76:77], v[92:93], v[64:65]
	v_fma_f64 v[82:83], -v[20:21], v[64:65], v[82:83]
	v_fmac_f64_e32 v[74:75], v[18:19], v[64:65]
	;; [unrolled: 2-line block ×3, first 2 shown]
	global_load_dwordx4 v[92:95], v[80:81], off offset:208
	global_load_dwordx4 v[18:21], v[80:81], off offset:192
	;; [unrolled: 1-line block ×3, first 2 shown]
	v_lshl_add_u64 v[62:63], v[80:81], 0, s[20:21]
	v_add_co_u32_e64 v64, s[2:3], s24, v80
	s_waitcnt vmcnt(3)
	v_fmac_f64_e32 v[84:85], v[38:39], v[10:11]
	v_fmac_f64_e32 v[76:77], v[40:41], v[10:11]
	;; [unrolled: 1-line block ×8, first 2 shown]
	v_fma_f64 v[40:41], -v[40:41], v[12:13], v[84:85]
	v_fmac_f64_e32 v[76:77], v[38:39], v[12:13]
	v_fma_f64 v[38:39], -v[32:33], v[12:13], v[82:83]
	v_fmac_f64_e32 v[74:75], v[30:31], v[12:13]
	;; [unrolled: 2-line block ×3, first 2 shown]
	global_load_dwordx4 v[26:29], v[96:97], off offset:32
	v_fma_f64 v[66:67], -v[24:25], v[12:13], v[66:67]
	v_fmac_f64_e32 v[0:1], v[22:23], v[12:13]
	global_load_dwordx4 v[10:13], v[96:97], off offset:16
	global_load_dwordx4 v[22:25], v[88:89], off offset:32
	;; [unrolled: 1-line block ×3, first 2 shown]
	v_addc_co_u32_e64 v65, vcc, 0, v81, s[2:3]
	v_cmp_ge_i32_e32 vcc, v78, v90
	v_lshl_add_u64 v[80:81], v[80:81], 0, s[22:23]
	s_or_b64 s[14:15], vcc, s[14:15]
	s_waitcnt vmcnt(1)
	v_fmac_f64_e32 v[40:41], v[50:51], v[22:23]
	v_fmac_f64_e32 v[76:77], v[52:53], v[22:23]
	;; [unrolled: 1-line block ×8, first 2 shown]
	v_fma_f64 v[52:53], -v[52:53], v[24:25], v[40:41]
	v_fmac_f64_e32 v[76:77], v[50:51], v[24:25]
	v_fma_f64 v[50:51], -v[48:49], v[24:25], v[38:39]
	v_fmac_f64_e32 v[74:75], v[46:47], v[24:25]
	global_load_dwordx4 v[38:41], v[96:97], off offset:96
	v_fma_f64 v[68:69], -v[44:45], v[24:25], v[68:69]
	v_fmac_f64_e32 v[72:73], v[42:43], v[24:25]
	global_load_dwordx4 v[42:45], v[96:97], off offset:80
	;; [unrolled: 3-line block ×3, first 2 shown]
	global_load_dwordx4 v[34:37], v[96:97], off offset:160
	global_load_dwordx4 v[46:49], v[88:89], off offset:48
	s_waitcnt vmcnt(0)
	v_fmac_f64_e32 v[68:69], v[58:59], v[46:47]
	v_fmac_f64_e32 v[72:73], v[60:61], v[46:47]
	v_fma_f64 v[60:61], -v[60:61], v[48:49], v[68:69]
	global_load_dword v68, v[86:87], off offset:64
	v_fmac_f64_e32 v[0:1], v[56:57], v[46:47]
	v_fmac_f64_e32 v[66:67], v[54:55], v[46:47]
	;; [unrolled: 1-line block ×8, first 2 shown]
	v_fma_f64 v[58:59], -v[56:57], v[48:49], v[66:67]
	v_fma_f64 v[82:83], -v[20:21], v[48:49], v[52:53]
	v_fmac_f64_e32 v[76:77], v[18:19], v[48:49]
	v_fma_f64 v[84:85], -v[94:95], v[48:49], v[50:51]
	v_fmac_f64_e32 v[74:75], v[92:93], v[48:49]
	global_load_dwordx4 v[46:49], v[98:99], off offset:-4096
	global_load_dwordx4 v[18:21], v[96:97], off offset:144
	global_load_dwordx4 v[50:53], v[96:97], off offset:128
	s_waitcnt vmcnt(3)
	v_subrev_u32_e32 v54, s12, v68
	v_lshlrev_b32_e32 v54, 2, v54
	v_ashrrev_i32_e32 v55, 31, v54
	v_lshl_add_u64 v[66:67], v[54:55], 4, s[4:5]
	global_load_dwordx4 v[54:57], v[66:67], off
	s_waitcnt vmcnt(0)
	v_fmac_f64_e32 v[82:83], v[46:47], v[54:55]
	v_fmac_f64_e32 v[76:77], v[48:49], v[54:55]
	;; [unrolled: 1-line block ×8, first 2 shown]
	v_fma_f64 v[68:69], -v[48:49], v[56:57], v[82:83]
	v_fmac_f64_e32 v[76:77], v[46:47], v[56:57]
	global_load_dwordx4 v[46:49], v[96:97], off offset:240
	v_fma_f64 v[82:83], -v[12:13], v[56:57], v[84:85]
	v_fmac_f64_e32 v[74:75], v[10:11], v[56:57]
	global_load_dwordx4 v[10:13], v[96:97], off offset:224
	;; [unrolled: 3-line block ×4, first 2 shown]
	global_load_dwordx4 v[54:57], v[96:97], off offset:192
	global_load_dwordx4 v[58:61], v[66:67], off offset:16
	s_waitcnt vmcnt(0)
	v_fmac_f64_e32 v[68:69], v[22:23], v[58:59]
	v_fmac_f64_e32 v[76:77], v[24:25], v[58:59]
	;; [unrolled: 1-line block ×8, first 2 shown]
	v_fma_f64 v[68:69], -v[24:25], v[60:61], v[68:69]
	v_fmac_f64_e32 v[76:77], v[22:23], v[60:61]
	global_load_dwordx4 v[22:25], v[100:101], off offset:48
	v_fma_f64 v[82:83], -v[44:45], v[60:61], v[82:83]
	v_fmac_f64_e32 v[74:75], v[42:43], v[60:61]
	global_load_dwordx4 v[42:45], v[100:101], off offset:32
	;; [unrolled: 3-line block ×4, first 2 shown]
	global_load_dwordx4 v[58:61], v[66:67], off offset:32
	s_waitcnt vmcnt(0)
	v_fmac_f64_e32 v[68:69], v[50:51], v[58:59]
	v_fmac_f64_e32 v[76:77], v[52:53], v[58:59]
	;; [unrolled: 1-line block ×8, first 2 shown]
	v_fma_f64 v[68:69], -v[52:53], v[60:61], v[68:69]
	v_fmac_f64_e32 v[76:77], v[50:51], v[60:61]
	global_load_dwordx4 v[50:53], v[100:101], off offset:96
	v_fma_f64 v[82:83], -v[20:21], v[60:61], v[82:83]
	v_fmac_f64_e32 v[74:75], v[18:19], v[60:61]
	global_load_dwordx4 v[18:21], v[100:101], off offset:80
	;; [unrolled: 3-line block ×4, first 2 shown]
	global_load_dwordx4 v[14:17], v[66:67], off offset:48
	s_waitcnt vmcnt(0)
	v_fmac_f64_e32 v[68:69], v[54:55], v[14:15]
	v_fmac_f64_e32 v[76:77], v[56:57], v[14:15]
	v_fmac_f64_e32 v[82:83], v[26:27], v[14:15]
	v_fmac_f64_e32 v[74:75], v[28:29], v[14:15]
	v_fma_f64 v[92:93], -v[56:57], v[16:17], v[68:69]
	v_fmac_f64_e32 v[76:77], v[54:55], v[16:17]
	global_load_dwordx4 v[54:57], v[100:101], off offset:144
	v_fma_f64 v[94:95], -v[28:29], v[16:17], v[82:83]
	v_fmac_f64_e32 v[74:75], v[26:27], v[16:17]
	global_load_dwordx4 v[26:29], v[100:101], off offset:128
	global_load_dwordx4 v[66:69], v[100:101], off offset:240
	global_load_dword v79, v[86:87], off offset:128
	v_fmac_f64_e32 v[84:85], v[10:11], v[14:15]
	v_fmac_f64_e32 v[72:73], v[12:13], v[14:15]
	;; [unrolled: 1-line block ×4, first 2 shown]
	v_fma_f64 v[96:97], -v[12:13], v[16:17], v[84:85]
	v_fmac_f64_e32 v[72:73], v[10:11], v[16:17]
	v_fma_f64 v[88:89], -v[48:49], v[16:17], v[88:89]
	v_fmac_f64_e32 v[0:1], v[46:47], v[16:17]
	global_load_dwordx4 v[10:13], v[98:99], off
	global_load_dwordx4 v[82:85], v[100:101], off offset:224
	s_waitcnt vmcnt(2)
	v_subrev_u32_e32 v14, s12, v79
	v_lshlrev_b32_e32 v14, 2, v14
	v_ashrrev_i32_e32 v15, 31, v14
	v_lshl_add_u64 v[104:105], v[14:15], 4, s[4:5]
	global_load_dwordx4 v[14:17], v[104:105], off
	s_waitcnt vmcnt(0)
	v_fmac_f64_e32 v[94:95], v[38:39], v[14:15]
	v_fmac_f64_e32 v[74:75], v[40:41], v[14:15]
	v_fma_f64 v[102:103], -v[40:41], v[16:17], v[94:95]
	v_fmac_f64_e32 v[74:75], v[38:39], v[16:17]
	global_load_dwordx4 v[38:41], v[100:101], off offset:208
	v_fmac_f64_e32 v[92:93], v[10:11], v[14:15]
	v_fmac_f64_e32 v[76:77], v[12:13], v[14:15]
	v_fmac_f64_e32 v[96:97], v[42:43], v[14:15]
	v_fmac_f64_e32 v[72:73], v[44:45], v[14:15]
	v_fma_f64 v[98:99], -v[12:13], v[16:17], v[92:93]
	v_fmac_f64_e32 v[76:77], v[10:11], v[16:17]
	v_fma_f64 v[106:107], -v[44:45], v[16:17], v[96:97]
	v_fmac_f64_e32 v[72:73], v[42:43], v[16:17]
	global_load_dwordx4 v[42:45], v[100:101], off offset:176
	global_load_dwordx4 v[46:49], v[100:101], off offset:192
	;; [unrolled: 1-line block ×4, first 2 shown]
	v_fmac_f64_e32 v[88:89], v[22:23], v[14:15]
	v_fmac_f64_e32 v[0:1], v[24:25], v[14:15]
	v_fma_f64 v[24:25], -v[24:25], v[16:17], v[88:89]
	v_fmac_f64_e32 v[0:1], v[22:23], v[16:17]
	global_load_dwordx4 v[14:17], v[62:63], off offset:96
	s_waitcnt vmcnt(1)
	v_fmac_f64_e32 v[98:99], v[34:35], v[10:11]
	v_fmac_f64_e32 v[102:103], v[18:19], v[10:11]
	v_fmac_f64_e32 v[72:73], v[52:53], v[10:11]
	v_fmac_f64_e32 v[24:25], v[30:31], v[10:11]
	v_fmac_f64_e32 v[0:1], v[32:33], v[10:11]
	v_fmac_f64_e32 v[76:77], v[36:37], v[10:11]
	v_fma_f64 v[36:37], -v[36:37], v[12:13], v[98:99]
	global_load_dwordx4 v[96:99], v[62:63], off offset:32
	v_fmac_f64_e32 v[74:75], v[20:21], v[10:11]
	v_fma_f64 v[20:21], -v[20:21], v[12:13], v[102:103]
	global_load_dwordx4 v[100:103], v[62:63], off offset:16
	v_fmac_f64_e32 v[106:107], v[50:51], v[10:11]
	v_fmac_f64_e32 v[72:73], v[50:51], v[12:13]
	v_fma_f64 v[50:51], -v[32:33], v[12:13], v[24:25]
	v_fmac_f64_e32 v[0:1], v[30:31], v[12:13]
	global_load_dwordx4 v[22:25], v[62:63], off offset:80
	global_load_dwordx4 v[30:33], v[104:105], off offset:32
	v_fmac_f64_e32 v[76:77], v[34:35], v[12:13]
	v_fmac_f64_e32 v[74:75], v[18:19], v[12:13]
	v_fma_f64 v[18:19], -v[52:53], v[12:13], v[106:107]
	global_load_dwordx4 v[10:13], v[62:63], off offset:176
	s_waitcnt vmcnt(1)
	v_fmac_f64_e32 v[36:37], v[26:27], v[30:31]
	v_fmac_f64_e32 v[76:77], v[28:29], v[30:31]
	v_fmac_f64_e32 v[20:21], v[54:55], v[30:31]
	v_fmac_f64_e32 v[74:75], v[56:57], v[30:31]
	v_fmac_f64_e32 v[18:19], v[58:59], v[30:31]
	v_fmac_f64_e32 v[72:73], v[60:61], v[30:31]
	v_fmac_f64_e32 v[50:51], v[42:43], v[30:31]
	v_fmac_f64_e32 v[0:1], v[44:45], v[30:31]
	v_fma_f64 v[28:29], -v[28:29], v[32:33], v[36:37]
	v_fmac_f64_e32 v[76:77], v[26:27], v[32:33]
	global_load_dwordx4 v[34:37], v[62:63], off offset:64
	v_fma_f64 v[26:27], -v[56:57], v[32:33], v[20:21]
	v_fmac_f64_e32 v[74:75], v[54:55], v[32:33]
	v_fma_f64 v[54:55], -v[60:61], v[32:33], v[18:19]
	v_fmac_f64_e32 v[72:73], v[58:59], v[32:33]
	global_load_dwordx4 v[18:21], v[62:63], off offset:160
	v_fma_f64 v[56:57], -v[44:45], v[32:33], v[50:51]
	v_fmac_f64_e32 v[0:1], v[42:43], v[32:33]
	global_load_dwordx4 v[30:33], v[62:63], off offset:144
	global_load_dwordx4 v[50:53], v[104:105], off offset:48
	global_load_dwordx4 v[42:45], v[62:63], off offset:128
	s_waitcnt vmcnt(1)
	v_fmac_f64_e32 v[28:29], v[46:47], v[50:51]
	v_fmac_f64_e32 v[76:77], v[48:49], v[50:51]
	;; [unrolled: 1-line block ×8, first 2 shown]
	v_fma_f64 v[88:89], -v[48:49], v[52:53], v[28:29]
	v_fmac_f64_e32 v[76:77], v[46:47], v[52:53]
	global_load_dwordx4 v[46:49], v[62:63], off offset:112
	v_fma_f64 v[104:105], -v[40:41], v[52:53], v[26:27]
	v_fmac_f64_e32 v[74:75], v[38:39], v[52:53]
	v_fma_f64 v[106:107], -v[84:85], v[52:53], v[54:55]
	v_fmac_f64_e32 v[72:73], v[82:83], v[52:53]
	global_load_dwordx4 v[26:29], v[62:63], off offset:240
	v_fma_f64 v[108:109], -v[68:69], v[52:53], v[56:57]
	v_fmac_f64_e32 v[0:1], v[66:67], v[52:53]
	global_load_dwordx4 v[38:41], v[62:63], off offset:208
	global_load_dword v54, v[86:87], off offset:192
	global_load_dwordx4 v[50:53], v[64:65], off
	s_waitcnt vmcnt(1)
	v_subrev_u32_e32 v54, s12, v54
	v_lshlrev_b32_e32 v54, 2, v54
	v_ashrrev_i32_e32 v55, 31, v54
	v_lshl_add_u64 v[110:111], v[54:55], 4, s[4:5]
	global_load_dwordx4 v[58:61], v[110:111], off
	global_load_dwordx4 v[66:69], v[110:111], off offset:16
	global_load_dwordx4 v[54:57], v[62:63], off offset:224
	s_waitcnt vmcnt(2)
	v_fmac_f64_e32 v[88:89], v[50:51], v[58:59]
	v_fmac_f64_e32 v[76:77], v[52:53], v[58:59]
	;; [unrolled: 1-line block ×8, first 2 shown]
	v_fma_f64 v[82:83], -v[52:53], v[60:61], v[88:89]
	v_fmac_f64_e32 v[76:77], v[50:51], v[60:61]
	global_load_dwordx4 v[50:53], v[62:63], off offset:192
	v_fma_f64 v[84:85], -v[102:103], v[60:61], v[104:105]
	v_fmac_f64_e32 v[74:75], v[100:101], v[60:61]
	v_fma_f64 v[86:87], -v[98:99], v[60:61], v[106:107]
	v_fmac_f64_e32 v[72:73], v[96:97], v[60:61]
	;; [unrolled: 2-line block ×3, first 2 shown]
	global_load_dwordx4 v[62:65], v[110:111], off offset:32
	global_load_dwordx4 v[58:61], v[110:111], off offset:48
	s_waitcnt vmcnt(4)
	v_fmac_f64_e32 v[82:83], v[34:35], v[66:67]
	v_fmac_f64_e32 v[76:77], v[36:37], v[66:67]
	v_fmac_f64_e32 v[84:85], v[22:23], v[66:67]
	v_fmac_f64_e32 v[74:75], v[24:25], v[66:67]
	v_fmac_f64_e32 v[86:87], v[14:15], v[66:67]
	v_fmac_f64_e32 v[72:73], v[16:17], v[66:67]
	v_fmac_f64_e32 v[88:89], v[46:47], v[66:67]
	v_fmac_f64_e32 v[0:1], v[48:49], v[66:67]
	v_fma_f64 v[36:37], -v[36:37], v[68:69], v[82:83]
	v_fmac_f64_e32 v[76:77], v[34:35], v[68:69]
	v_fma_f64 v[24:25], -v[24:25], v[68:69], v[84:85]
	v_fmac_f64_e32 v[74:75], v[22:23], v[68:69]
	v_fma_f64 v[16:17], -v[16:17], v[68:69], v[86:87]
	v_fmac_f64_e32 v[72:73], v[14:15], v[68:69]
	v_fma_f64 v[14:15], -v[48:49], v[68:69], v[88:89]
	v_fmac_f64_e32 v[0:1], v[46:47], v[68:69]
	s_waitcnt vmcnt(1)
	v_fmac_f64_e32 v[36:37], v[42:43], v[62:63]
	v_fmac_f64_e32 v[76:77], v[44:45], v[62:63]
	v_fmac_f64_e32 v[24:25], v[30:31], v[62:63]
	v_fmac_f64_e32 v[74:75], v[32:33], v[62:63]
	v_fmac_f64_e32 v[16:17], v[18:19], v[62:63]
	v_fmac_f64_e32 v[72:73], v[20:21], v[62:63]
	v_fmac_f64_e32 v[14:15], v[10:11], v[62:63]
	v_fmac_f64_e32 v[0:1], v[12:13], v[62:63]
	v_fma_f64 v[22:23], -v[44:45], v[64:65], v[36:37]
	v_fmac_f64_e32 v[76:77], v[42:43], v[64:65]
	v_fma_f64 v[24:25], -v[32:33], v[64:65], v[24:25]
	v_fmac_f64_e32 v[74:75], v[30:31], v[64:65]
	v_fma_f64 v[16:17], -v[20:21], v[64:65], v[16:17]
	v_fmac_f64_e32 v[72:73], v[18:19], v[64:65]
	v_fma_f64 v[12:13], -v[12:13], v[64:65], v[14:15]
	v_fmac_f64_e32 v[0:1], v[10:11], v[64:65]
	;; [unrolled: 17-line block ×3, first 2 shown]
	s_andn2_b64 exec, exec, s[14:15]
	s_cbranch_execnz .LBB17_31
; %bb.32:
	s_or_b64 exec, exec, s[14:15]
.LBB17_33:
	s_or_b64 exec, exec, s[10:11]
.LBB17_34:
	s_or_b64 exec, exec, s[6:7]
.LBB17_35:
	v_mov_b32_dpp v10, v84 row_shr:1 row_mask:0xf bank_mask:0xf
	v_mov_b32_dpp v11, v85 row_shr:1 row_mask:0xf bank_mask:0xf
	v_mov_b32_dpp v14, v76 row_shr:1 row_mask:0xf bank_mask:0xf
	v_mov_b32_dpp v15, v77 row_shr:1 row_mask:0xf bank_mask:0xf
	v_mov_b32_dpp v18, v82 row_shr:1 row_mask:0xf bank_mask:0xf
	v_mov_b32_dpp v19, v83 row_shr:1 row_mask:0xf bank_mask:0xf
	v_mov_b32_dpp v22, v74 row_shr:1 row_mask:0xf bank_mask:0xf
	v_mov_b32_dpp v23, v75 row_shr:1 row_mask:0xf bank_mask:0xf
	v_mov_b32_dpp v26, v68 row_shr:1 row_mask:0xf bank_mask:0xf
	v_mov_b32_dpp v27, v69 row_shr:1 row_mask:0xf bank_mask:0xf
	v_mov_b32_dpp v30, v72 row_shr:1 row_mask:0xf bank_mask:0xf
	v_mov_b32_dpp v31, v73 row_shr:1 row_mask:0xf bank_mask:0xf
	v_mov_b32_dpp v34, v66 row_shr:1 row_mask:0xf bank_mask:0xf
	v_mov_b32_dpp v35, v67 row_shr:1 row_mask:0xf bank_mask:0xf
	v_mov_b32_dpp v38, v0 row_shr:1 row_mask:0xf bank_mask:0xf
	v_mov_b32_dpp v39, v1 row_shr:1 row_mask:0xf bank_mask:0xf
	v_add_f64 v[10:11], v[84:85], v[10:11]
	v_add_f64 v[14:15], v[76:77], v[14:15]
	v_add_f64 v[18:19], v[82:83], v[18:19]
	v_add_f64 v[22:23], v[74:75], v[22:23]
	v_add_f64 v[26:27], v[68:69], v[26:27]
	v_add_f64 v[30:31], v[72:73], v[30:31]
	v_add_f64 v[34:35], v[66:67], v[34:35]
	v_add_f64 v[0:1], v[0:1], v[38:39]
	v_mov_b32_dpp v12, v10 row_shr:2 row_mask:0xf bank_mask:0xf
	v_mov_b32_dpp v13, v11 row_shr:2 row_mask:0xf bank_mask:0xf
	v_mov_b32_dpp v16, v14 row_shr:2 row_mask:0xf bank_mask:0xf
	v_mov_b32_dpp v17, v15 row_shr:2 row_mask:0xf bank_mask:0xf
	v_mov_b32_dpp v20, v18 row_shr:2 row_mask:0xf bank_mask:0xf
	v_mov_b32_dpp v21, v19 row_shr:2 row_mask:0xf bank_mask:0xf
	v_mov_b32_dpp v24, v22 row_shr:2 row_mask:0xf bank_mask:0xf
	v_mov_b32_dpp v25, v23 row_shr:2 row_mask:0xf bank_mask:0xf
	v_mov_b32_dpp v28, v26 row_shr:2 row_mask:0xf bank_mask:0xf
	v_mov_b32_dpp v29, v27 row_shr:2 row_mask:0xf bank_mask:0xf
	v_mov_b32_dpp v32, v30 row_shr:2 row_mask:0xf bank_mask:0xf
	v_mov_b32_dpp v33, v31 row_shr:2 row_mask:0xf bank_mask:0xf
	v_mov_b32_dpp v36, v34 row_shr:2 row_mask:0xf bank_mask:0xf
	v_mov_b32_dpp v37, v35 row_shr:2 row_mask:0xf bank_mask:0xf
	v_mov_b32_dpp v38, v0 row_shr:2 row_mask:0xf bank_mask:0xf
	v_mov_b32_dpp v39, v1 row_shr:2 row_mask:0xf bank_mask:0xf
	v_add_f64 v[10:11], v[10:11], v[12:13]
	v_add_f64 v[14:15], v[14:15], v[16:17]
	v_add_f64 v[18:19], v[18:19], v[20:21]
	v_add_f64 v[22:23], v[22:23], v[24:25]
	v_add_f64 v[26:27], v[26:27], v[28:29]
	v_add_f64 v[30:31], v[30:31], v[32:33]
	v_add_f64 v[34:35], v[34:35], v[36:37]
	v_add_f64 v[0:1], v[0:1], v[38:39]
	;; [unrolled: 24-line block ×3, first 2 shown]
	v_mov_b32_dpp v12, v10 row_shr:8 row_mask:0xf bank_mask:0xc
	v_mov_b32_dpp v13, v11 row_shr:8 row_mask:0xf bank_mask:0xc
	;; [unrolled: 1-line block ×16, first 2 shown]
	v_cmp_eq_u32_e32 vcc, 15, v71
	s_and_b64 exec, exec, vcc
	s_cbranch_execz .LBB17_8
; %bb.36:
	s_load_dwordx2 s[2:3], s[0:1], 0x60
	v_add_f64 v[40:41], v[10:11], v[12:13]
	v_add_f64 v[10:11], v[14:15], v[16:17]
	v_add_f64 v[12:13], v[22:23], v[24:25]
	v_add_f64 v[16:17], v[30:31], v[32:33]
	v_add_f64 v[0:1], v[0:1], v[38:39]
	v_add_f64 v[42:43], v[18:19], v[20:21]
	v_add_f64 v[26:27], v[26:27], v[28:29]
	v_add_f64 v[28:29], v[34:35], v[36:37]
	v_cmp_eq_f64_e32 vcc, 0, v[2:3]
	v_cmp_eq_f64_e64 s[0:1], 0, v[4:5]
	v_mul_f64 v[22:23], v[10:11], -v[8:9]
	v_mul_f64 v[24:25], v[6:7], v[10:11]
	v_mul_f64 v[18:19], v[12:13], -v[8:9]
	v_mul_f64 v[20:21], v[6:7], v[12:13]
	;; [unrolled: 2-line block ×4, first 2 shown]
	s_and_b64 s[0:1], vcc, s[0:1]
	v_fmac_f64_e32 v[22:23], v[6:7], v[40:41]
	v_fmac_f64_e32 v[24:25], v[8:9], v[40:41]
	v_lshlrev_b32_e32 v0, 2, v70
	v_fmac_f64_e32 v[18:19], v[6:7], v[42:43]
	v_fmac_f64_e32 v[20:21], v[8:9], v[42:43]
	;; [unrolled: 1-line block ×6, first 2 shown]
	s_waitcnt lgkmcnt(0)
	s_and_saveexec_b64 s[4:5], s[0:1]
	s_xor_b64 s[0:1], exec, s[4:5]
	s_cbranch_execz .LBB17_38
; %bb.37:
	v_ashrrev_i32_e32 v1, 31, v0
	v_lshl_add_u64 v[0:1], v[0:1], 4, s[2:3]
	global_store_dwordx4 v[0:1], v[22:25], off
	global_store_dwordx4 v[0:1], v[18:21], off offset:16
	global_store_dwordx4 v[0:1], v[14:17], off offset:32
	;; [unrolled: 1-line block ×3, first 2 shown]
                                        ; implicit-def: $vgpr4_vgpr5
                                        ; implicit-def: $vgpr22_vgpr23
                                        ; implicit-def: $vgpr0
                                        ; implicit-def: $vgpr18_vgpr19
                                        ; implicit-def: $vgpr14_vgpr15
                                        ; implicit-def: $vgpr10_vgpr11
.LBB17_38:
	s_andn2_saveexec_b64 s[0:1], s[0:1]
	s_cbranch_execz .LBB17_8
; %bb.39:
	v_ashrrev_i32_e32 v1, 31, v0
	v_lshl_add_u64 v[0:1], v[0:1], 4, s[2:3]
	global_load_dwordx4 v[6:9], v[0:1], off
	global_load_dwordx4 v[26:29], v[0:1], off offset:16
	global_load_dwordx4 v[30:33], v[0:1], off offset:32
	;; [unrolled: 1-line block ×3, first 2 shown]
	s_waitcnt vmcnt(3)
	v_fmac_f64_e32 v[22:23], v[2:3], v[6:7]
	v_fmac_f64_e32 v[24:25], v[4:5], v[6:7]
	s_waitcnt vmcnt(2)
	v_fmac_f64_e32 v[18:19], v[2:3], v[26:27]
	v_fmac_f64_e32 v[20:21], v[4:5], v[26:27]
	;; [unrolled: 3-line block ×4, first 2 shown]
	v_fma_f64 v[22:23], -v[4:5], v[8:9], v[22:23]
	v_fmac_f64_e32 v[24:25], v[2:3], v[8:9]
	v_fma_f64 v[18:19], -v[4:5], v[28:29], v[18:19]
	v_fmac_f64_e32 v[20:21], v[2:3], v[28:29]
	;; [unrolled: 2-line block ×4, first 2 shown]
	global_store_dwordx4 v[0:1], v[22:25], off
	global_store_dwordx4 v[0:1], v[18:21], off offset:16
	global_store_dwordx4 v[0:1], v[14:17], off offset:32
	;; [unrolled: 1-line block ×3, first 2 shown]
	s_endpgm
	.section	.rodata,"a",@progbits
	.p2align	6, 0x0
	.amdhsa_kernel _ZN9rocsparseL18bsrxmvn_4x4_kernelILj128ELj16E21rocsparse_complex_numIdEiiS2_S2_S2_EEvT3_20rocsparse_direction_NS_24const_host_device_scalarIT1_EES3_PKS3_PKT2_SC_S9_PKT4_PKT5_S7_PT6_21rocsparse_index_base_b
		.amdhsa_group_segment_fixed_size 0
		.amdhsa_private_segment_fixed_size 0
		.amdhsa_kernarg_size 112
		.amdhsa_user_sgpr_count 2
		.amdhsa_user_sgpr_dispatch_ptr 0
		.amdhsa_user_sgpr_queue_ptr 0
		.amdhsa_user_sgpr_kernarg_segment_ptr 1
		.amdhsa_user_sgpr_dispatch_id 0
		.amdhsa_user_sgpr_kernarg_preload_length 0
		.amdhsa_user_sgpr_kernarg_preload_offset 0
		.amdhsa_user_sgpr_private_segment_size 0
		.amdhsa_uses_dynamic_stack 0
		.amdhsa_enable_private_segment 0
		.amdhsa_system_sgpr_workgroup_id_x 1
		.amdhsa_system_sgpr_workgroup_id_y 0
		.amdhsa_system_sgpr_workgroup_id_z 0
		.amdhsa_system_sgpr_workgroup_info 0
		.amdhsa_system_vgpr_workitem_id 0
		.amdhsa_next_free_vgpr 116
		.amdhsa_next_free_sgpr 25
		.amdhsa_accum_offset 116
		.amdhsa_reserve_vcc 1
		.amdhsa_float_round_mode_32 0
		.amdhsa_float_round_mode_16_64 0
		.amdhsa_float_denorm_mode_32 3
		.amdhsa_float_denorm_mode_16_64 3
		.amdhsa_dx10_clamp 1
		.amdhsa_ieee_mode 1
		.amdhsa_fp16_overflow 0
		.amdhsa_tg_split 0
		.amdhsa_exception_fp_ieee_invalid_op 0
		.amdhsa_exception_fp_denorm_src 0
		.amdhsa_exception_fp_ieee_div_zero 0
		.amdhsa_exception_fp_ieee_overflow 0
		.amdhsa_exception_fp_ieee_underflow 0
		.amdhsa_exception_fp_ieee_inexact 0
		.amdhsa_exception_int_div_zero 0
	.end_amdhsa_kernel
	.section	.text._ZN9rocsparseL18bsrxmvn_4x4_kernelILj128ELj16E21rocsparse_complex_numIdEiiS2_S2_S2_EEvT3_20rocsparse_direction_NS_24const_host_device_scalarIT1_EES3_PKS3_PKT2_SC_S9_PKT4_PKT5_S7_PT6_21rocsparse_index_base_b,"axG",@progbits,_ZN9rocsparseL18bsrxmvn_4x4_kernelILj128ELj16E21rocsparse_complex_numIdEiiS2_S2_S2_EEvT3_20rocsparse_direction_NS_24const_host_device_scalarIT1_EES3_PKS3_PKT2_SC_S9_PKT4_PKT5_S7_PT6_21rocsparse_index_base_b,comdat
.Lfunc_end17:
	.size	_ZN9rocsparseL18bsrxmvn_4x4_kernelILj128ELj16E21rocsparse_complex_numIdEiiS2_S2_S2_EEvT3_20rocsparse_direction_NS_24const_host_device_scalarIT1_EES3_PKS3_PKT2_SC_S9_PKT4_PKT5_S7_PT6_21rocsparse_index_base_b, .Lfunc_end17-_ZN9rocsparseL18bsrxmvn_4x4_kernelILj128ELj16E21rocsparse_complex_numIdEiiS2_S2_S2_EEvT3_20rocsparse_direction_NS_24const_host_device_scalarIT1_EES3_PKS3_PKT2_SC_S9_PKT4_PKT5_S7_PT6_21rocsparse_index_base_b
                                        ; -- End function
	.set _ZN9rocsparseL18bsrxmvn_4x4_kernelILj128ELj16E21rocsparse_complex_numIdEiiS2_S2_S2_EEvT3_20rocsparse_direction_NS_24const_host_device_scalarIT1_EES3_PKS3_PKT2_SC_S9_PKT4_PKT5_S7_PT6_21rocsparse_index_base_b.num_vgpr, 116
	.set _ZN9rocsparseL18bsrxmvn_4x4_kernelILj128ELj16E21rocsparse_complex_numIdEiiS2_S2_S2_EEvT3_20rocsparse_direction_NS_24const_host_device_scalarIT1_EES3_PKS3_PKT2_SC_S9_PKT4_PKT5_S7_PT6_21rocsparse_index_base_b.num_agpr, 0
	.set _ZN9rocsparseL18bsrxmvn_4x4_kernelILj128ELj16E21rocsparse_complex_numIdEiiS2_S2_S2_EEvT3_20rocsparse_direction_NS_24const_host_device_scalarIT1_EES3_PKS3_PKT2_SC_S9_PKT4_PKT5_S7_PT6_21rocsparse_index_base_b.numbered_sgpr, 25
	.set _ZN9rocsparseL18bsrxmvn_4x4_kernelILj128ELj16E21rocsparse_complex_numIdEiiS2_S2_S2_EEvT3_20rocsparse_direction_NS_24const_host_device_scalarIT1_EES3_PKS3_PKT2_SC_S9_PKT4_PKT5_S7_PT6_21rocsparse_index_base_b.num_named_barrier, 0
	.set _ZN9rocsparseL18bsrxmvn_4x4_kernelILj128ELj16E21rocsparse_complex_numIdEiiS2_S2_S2_EEvT3_20rocsparse_direction_NS_24const_host_device_scalarIT1_EES3_PKS3_PKT2_SC_S9_PKT4_PKT5_S7_PT6_21rocsparse_index_base_b.private_seg_size, 0
	.set _ZN9rocsparseL18bsrxmvn_4x4_kernelILj128ELj16E21rocsparse_complex_numIdEiiS2_S2_S2_EEvT3_20rocsparse_direction_NS_24const_host_device_scalarIT1_EES3_PKS3_PKT2_SC_S9_PKT4_PKT5_S7_PT6_21rocsparse_index_base_b.uses_vcc, 1
	.set _ZN9rocsparseL18bsrxmvn_4x4_kernelILj128ELj16E21rocsparse_complex_numIdEiiS2_S2_S2_EEvT3_20rocsparse_direction_NS_24const_host_device_scalarIT1_EES3_PKS3_PKT2_SC_S9_PKT4_PKT5_S7_PT6_21rocsparse_index_base_b.uses_flat_scratch, 0
	.set _ZN9rocsparseL18bsrxmvn_4x4_kernelILj128ELj16E21rocsparse_complex_numIdEiiS2_S2_S2_EEvT3_20rocsparse_direction_NS_24const_host_device_scalarIT1_EES3_PKS3_PKT2_SC_S9_PKT4_PKT5_S7_PT6_21rocsparse_index_base_b.has_dyn_sized_stack, 0
	.set _ZN9rocsparseL18bsrxmvn_4x4_kernelILj128ELj16E21rocsparse_complex_numIdEiiS2_S2_S2_EEvT3_20rocsparse_direction_NS_24const_host_device_scalarIT1_EES3_PKS3_PKT2_SC_S9_PKT4_PKT5_S7_PT6_21rocsparse_index_base_b.has_recursion, 0
	.set _ZN9rocsparseL18bsrxmvn_4x4_kernelILj128ELj16E21rocsparse_complex_numIdEiiS2_S2_S2_EEvT3_20rocsparse_direction_NS_24const_host_device_scalarIT1_EES3_PKS3_PKT2_SC_S9_PKT4_PKT5_S7_PT6_21rocsparse_index_base_b.has_indirect_call, 0
	.section	.AMDGPU.csdata,"",@progbits
; Kernel info:
; codeLenInByte = 7700
; TotalNumSgprs: 31
; NumVgprs: 116
; NumAgprs: 0
; TotalNumVgprs: 116
; ScratchSize: 0
; MemoryBound: 1
; FloatMode: 240
; IeeeMode: 1
; LDSByteSize: 0 bytes/workgroup (compile time only)
; SGPRBlocks: 3
; VGPRBlocks: 14
; NumSGPRsForWavesPerEU: 31
; NumVGPRsForWavesPerEU: 116
; AccumOffset: 116
; Occupancy: 4
; WaveLimiterHint : 1
; COMPUTE_PGM_RSRC2:SCRATCH_EN: 0
; COMPUTE_PGM_RSRC2:USER_SGPR: 2
; COMPUTE_PGM_RSRC2:TRAP_HANDLER: 0
; COMPUTE_PGM_RSRC2:TGID_X_EN: 1
; COMPUTE_PGM_RSRC2:TGID_Y_EN: 0
; COMPUTE_PGM_RSRC2:TGID_Z_EN: 0
; COMPUTE_PGM_RSRC2:TIDIG_COMP_CNT: 0
; COMPUTE_PGM_RSRC3_GFX90A:ACCUM_OFFSET: 28
; COMPUTE_PGM_RSRC3_GFX90A:TG_SPLIT: 0
	.section	.text._ZN9rocsparseL18bsrxmvn_4x4_kernelILj128ELj32E21rocsparse_complex_numIdEiiS2_S2_S2_EEvT3_20rocsparse_direction_NS_24const_host_device_scalarIT1_EES3_PKS3_PKT2_SC_S9_PKT4_PKT5_S7_PT6_21rocsparse_index_base_b,"axG",@progbits,_ZN9rocsparseL18bsrxmvn_4x4_kernelILj128ELj32E21rocsparse_complex_numIdEiiS2_S2_S2_EEvT3_20rocsparse_direction_NS_24const_host_device_scalarIT1_EES3_PKS3_PKT2_SC_S9_PKT4_PKT5_S7_PT6_21rocsparse_index_base_b,comdat
	.globl	_ZN9rocsparseL18bsrxmvn_4x4_kernelILj128ELj32E21rocsparse_complex_numIdEiiS2_S2_S2_EEvT3_20rocsparse_direction_NS_24const_host_device_scalarIT1_EES3_PKS3_PKT2_SC_S9_PKT4_PKT5_S7_PT6_21rocsparse_index_base_b ; -- Begin function _ZN9rocsparseL18bsrxmvn_4x4_kernelILj128ELj32E21rocsparse_complex_numIdEiiS2_S2_S2_EEvT3_20rocsparse_direction_NS_24const_host_device_scalarIT1_EES3_PKS3_PKT2_SC_S9_PKT4_PKT5_S7_PT6_21rocsparse_index_base_b
	.p2align	8
	.type	_ZN9rocsparseL18bsrxmvn_4x4_kernelILj128ELj32E21rocsparse_complex_numIdEiiS2_S2_S2_EEvT3_20rocsparse_direction_NS_24const_host_device_scalarIT1_EES3_PKS3_PKT2_SC_S9_PKT4_PKT5_S7_PT6_21rocsparse_index_base_b,@function
_ZN9rocsparseL18bsrxmvn_4x4_kernelILj128ELj32E21rocsparse_complex_numIdEiiS2_S2_S2_EEvT3_20rocsparse_direction_NS_24const_host_device_scalarIT1_EES3_PKS3_PKT2_SC_S9_PKT4_PKT5_S7_PT6_21rocsparse_index_base_b: ; @_ZN9rocsparseL18bsrxmvn_4x4_kernelILj128ELj32E21rocsparse_complex_numIdEiiS2_S2_S2_EEvT3_20rocsparse_direction_NS_24const_host_device_scalarIT1_EES3_PKS3_PKT2_SC_S9_PKT4_PKT5_S7_PT6_21rocsparse_index_base_b
; %bb.0:
	s_load_dwordx2 s[4:5], s[0:1], 0x8
	s_load_dwordx2 s[12:13], s[0:1], 0x68
	s_add_u32 s3, s0, 8
	s_addc_u32 s8, s1, 0
	s_add_u32 s9, s0, 0x50
	s_load_dwordx2 s[6:7], s[0:1], 0x50
	s_addc_u32 s10, s1, 0
	s_waitcnt lgkmcnt(0)
	s_bitcmp1_b32 s13, 0
	s_cselect_b32 s5, s8, s5
	s_cselect_b32 s3, s3, s4
	v_mov_b32_e32 v2, s3
	v_mov_b32_e32 v3, s5
	flat_load_dwordx4 v[6:9], v[2:3]
	s_cselect_b32 s3, s10, s7
	s_cselect_b32 s4, s9, s6
	v_mov_b32_e32 v2, s4
	v_mov_b32_e32 v3, s3
	flat_load_dwordx4 v[2:5], v[2:3]
	s_waitcnt vmcnt(0) lgkmcnt(0)
	v_cmp_eq_f64_e32 vcc, 0, v[6:7]
	v_cmp_eq_f64_e64 s[4:5], 0, v[8:9]
	s_and_b64 s[8:9], vcc, s[4:5]
	s_mov_b64 s[4:5], -1
	s_and_saveexec_b64 s[6:7], s[8:9]
; %bb.1:
	v_cmp_neq_f64_e32 vcc, 1.0, v[2:3]
	v_cmp_neq_f64_e64 s[4:5], 0, v[4:5]
	s_or_b64 s[4:5], vcc, s[4:5]
	s_orn2_b64 s[4:5], s[4:5], exec
; %bb.2:
	s_or_b64 exec, exec, s[6:7]
	s_and_saveexec_b64 s[6:7], s[4:5]
	s_cbranch_execz .LBB18_8
; %bb.3:
	s_load_dwordx2 s[4:5], s[0:1], 0x20
	s_load_dwordx2 s[14:15], s[0:1], 0x0
	v_lshrrev_b32_e32 v1, 5, v0
	v_lshl_or_b32 v70, s2, 2, v1
	s_mov_b64 s[2:3], 0
	s_waitcnt lgkmcnt(0)
	s_cmp_lg_u64 s[4:5], 0
	s_cbranch_scc0 .LBB18_9
; %bb.4:
	s_load_dword s6, s[0:1], 0x18
                                        ; implicit-def: $vgpr1
	s_waitcnt lgkmcnt(0)
	v_cmp_gt_i32_e32 vcc, s6, v70
	s_and_saveexec_b64 s[6:7], vcc
	s_xor_b64 s[6:7], exec, s[6:7]
	s_cbranch_execz .LBB18_6
; %bb.5:
	v_ashrrev_i32_e32 v71, 31, v70
	v_lshl_add_u64 v[10:11], v[70:71], 2, s[4:5]
	global_load_dword v1, v[10:11], off
	s_mov_b64 s[2:3], exec
	s_waitcnt vmcnt(0)
	v_subrev_u32_e32 v1, s12, v1
.LBB18_6:
	s_or_b64 exec, exec, s[6:7]
	s_branch .LBB18_10
.LBB18_7:
	v_cmp_gt_i32_e32 vcc, s14, v70
	s_andn2_b64 s[2:3], s[2:3], exec
	s_and_b64 s[4:5], vcc, exec
	s_or_b64 s[2:3], s[2:3], s[4:5]
	s_and_b64 exec, exec, s[2:3]
	s_cbranch_execnz .LBB18_11
.LBB18_8:
	s_endpgm
.LBB18_9:
                                        ; implicit-def: $vgpr1
	s_cbranch_execnz .LBB18_7
.LBB18_10:
	v_mov_b32_e32 v70, v1
	s_and_b64 exec, exec, s[2:3]
	s_cbranch_execz .LBB18_8
.LBB18_11:
	s_load_dwordx8 s[4:11], s[0:1], 0x28
	v_ashrrev_i32_e32 v71, 31, v70
	v_lshlrev_b64 v[10:11], 2, v[70:71]
	v_and_b32_e32 v71, 31, v0
	s_waitcnt lgkmcnt(0)
	v_lshl_add_u64 v[12:13], s[4:5], 0, v[10:11]
	s_cmp_eq_u64 s[6:7], 0
	global_load_dword v36, v[12:13], off
	v_lshl_add_u64 v[12:13], v[12:13], 0, 4
	v_lshl_add_u64 v[10:11], s[6:7], 0, v[10:11]
	s_cselect_b64 vcc, -1, 0
	v_cndmask_b32_e32 v11, v11, v13, vcc
	v_cndmask_b32_e32 v10, v10, v12, vcc
	global_load_dword v1, v[10:11], off
	s_load_dwordx2 s[6:7], s[0:1], 0x48
	s_cmp_eq_u32 s15, 1
	s_waitcnt vmcnt(1)
	v_subrev_u32_e32 v0, s12, v36
	v_add_u32_e32 v78, v0, v71
	v_ashrrev_i32_e32 v79, 31, v78
	s_waitcnt vmcnt(0)
	v_subrev_u32_e32 v90, s12, v1
	v_lshlrev_b64 v[0:1], 8, v[78:79]
	v_lshl_add_u64 v[80:81], s[10:11], 0, v[0:1]
	v_cmp_lt_i32_e64 s[2:3], v78, v90
	s_cbranch_scc1 .LBB18_23
; %bb.12:
	v_mov_b64_e32 v[76:77], 0
	v_mov_b64_e32 v[84:85], 0
	;; [unrolled: 1-line block ×8, first 2 shown]
	s_and_saveexec_b64 s[4:5], s[2:3]
	s_cbranch_execz .LBB18_22
; %bb.13:
	v_add_u32_e32 v0, v36, v71
	v_subrev_u32_e32 v0, s12, v0
	v_add_u32_e32 v0, 32, v0
	v_max_i32_e32 v0, v0, v90
	v_not_b32_e32 v1, v36
	v_add3_u32 v0, s12, v0, v1
	v_sub_u32_e32 v14, v0, v71
	s_movk_i32 s10, 0x60
	v_and_b32_e32 v0, 0x60, v14
	v_cmp_ne_u32_e32 vcc, s10, v0
	v_mov_b64_e32 v[74:75], 0
	v_mov_b64_e32 v[82:83], 0
	;; [unrolled: 1-line block ×9, first 2 shown]
	v_mov_b32_e32 v26, v78
	s_and_saveexec_b64 s[10:11], vcc
	s_cbranch_execz .LBB18_17
; %bb.14:
	v_lshrrev_b32_e32 v0, 5, v14
	v_add_u32_e32 v0, 1, v0
	v_and_b32_e32 v0, 3, v0
	v_sub_u32_e32 v15, 0, v0
	v_mov_b64_e32 v[76:77], 0
	s_mov_b64 s[14:15], 0
	s_mov_b64 s[16:17], 0x2000
	v_mov_b32_e32 v26, v78
	v_mov_b64_e32 v[28:29], v[80:81]
	v_mov_b64_e32 v[84:85], 0
	;; [unrolled: 1-line block ×8, first 2 shown]
.LBB18_15:                              ; =>This Inner Loop Header: Depth=1
	v_ashrrev_i32_e32 v27, 31, v26
	v_lshl_add_u64 v[24:25], v[26:27], 2, s[8:9]
	global_load_dwordx4 v[10:13], v[28:29], off offset:16
	global_load_dwordx4 v[16:19], v[28:29], off
	global_load_dwordx4 v[20:23], v[28:29], off offset:80
	global_load_dwordx4 v[30:33], v[28:29], off offset:64
	;; [unrolled: 1-line block ×13, first 2 shown]
	v_add_co_u32_e32 v15, vcc, 1, v15
	global_load_dword v24, v[24:25], off
	v_add_u32_e32 v26, 32, v26
	s_or_b64 s[14:15], vcc, s[14:15]
	s_waitcnt vmcnt(0)
	v_subrev_u32_e32 v24, s12, v24
	v_lshlrev_b32_e32 v24, 2, v24
	v_ashrrev_i32_e32 v25, 31, v24
	s_waitcnt lgkmcnt(0)
	v_lshl_add_u64 v[24:25], v[24:25], 4, s[6:7]
	global_load_dwordx4 v[104:107], v[24:25], off
	global_load_dwordx4 v[108:111], v[24:25], off offset:16
	s_waitcnt vmcnt(1)
	v_fmac_f64_e32 v[84:85], v[16:17], v[104:105]
	v_fmac_f64_e32 v[76:77], v[18:19], v[104:105]
	;; [unrolled: 1-line block ×4, first 2 shown]
	v_fma_f64 v[34:35], -v[18:19], v[106:107], v[84:85]
	v_fmac_f64_e32 v[76:77], v[16:17], v[106:107]
	global_load_dwordx4 v[16:19], v[28:29], off offset:224
	v_fma_f64 v[82:83], -v[32:33], v[106:107], v[82:83]
	v_fmac_f64_e32 v[74:75], v[30:31], v[106:107]
	global_load_dwordx4 v[30:33], v[24:25], off offset:32
	v_fmac_f64_e32 v[68:69], v[42:43], v[104:105]
	v_fmac_f64_e32 v[72:73], v[44:45], v[104:105]
	v_fma_f64 v[68:69], -v[44:45], v[106:107], v[68:69]
	v_fmac_f64_e32 v[72:73], v[42:43], v[106:107]
	global_load_dwordx4 v[42:45], v[24:25], off offset:48
	v_fmac_f64_e32 v[66:67], v[50:51], v[104:105]
	v_fmac_f64_e32 v[0:1], v[52:53], v[104:105]
	v_fma_f64 v[24:25], -v[52:53], v[106:107], v[66:67]
	v_fmac_f64_e32 v[0:1], v[50:51], v[106:107]
	s_waitcnt vmcnt(3)
	v_fmac_f64_e32 v[34:35], v[10:11], v[108:109]
	v_fmac_f64_e32 v[76:77], v[12:13], v[108:109]
	;; [unrolled: 1-line block ×8, first 2 shown]
	v_fma_f64 v[12:13], -v[12:13], v[110:111], v[34:35]
	v_fmac_f64_e32 v[76:77], v[10:11], v[110:111]
	v_fma_f64 v[10:11], -v[22:23], v[110:111], v[82:83]
	v_fmac_f64_e32 v[74:75], v[20:21], v[110:111]
	;; [unrolled: 2-line block ×4, first 2 shown]
	v_lshl_add_u64 v[28:29], v[28:29], 0, s[16:17]
	s_waitcnt vmcnt(1)
	v_fmac_f64_e32 v[12:13], v[58:59], v[30:31]
	v_fmac_f64_e32 v[76:77], v[60:61], v[30:31]
	;; [unrolled: 1-line block ×8, first 2 shown]
	v_fma_f64 v[12:13], -v[60:61], v[32:33], v[12:13]
	v_fmac_f64_e32 v[76:77], v[58:59], v[32:33]
	v_fma_f64 v[10:11], -v[88:89], v[32:33], v[10:11]
	v_fmac_f64_e32 v[74:75], v[86:87], v[32:33]
	;; [unrolled: 2-line block ×4, first 2 shown]
	s_waitcnt vmcnt(0)
	v_fmac_f64_e32 v[12:13], v[54:55], v[42:43]
	v_fmac_f64_e32 v[76:77], v[56:57], v[42:43]
	;; [unrolled: 1-line block ×8, first 2 shown]
	v_fma_f64 v[84:85], -v[56:57], v[44:45], v[12:13]
	v_fmac_f64_e32 v[76:77], v[54:55], v[44:45]
	v_fma_f64 v[82:83], -v[64:65], v[44:45], v[10:11]
	v_fmac_f64_e32 v[74:75], v[62:63], v[44:45]
	;; [unrolled: 2-line block ×4, first 2 shown]
	s_andn2_b64 exec, exec, s[14:15]
	s_cbranch_execnz .LBB18_15
; %bb.16:
	s_or_b64 exec, exec, s[14:15]
.LBB18_17:
	s_or_b64 exec, exec, s[10:11]
	s_movk_i32 s10, 0x5f
	v_cmp_lt_u32_e32 vcc, s10, v14
	s_and_saveexec_b64 s[10:11], vcc
	s_cbranch_execz .LBB18_21
; %bb.18:
	s_mov_b64 s[14:15], 0
	s_mov_b64 s[16:17], 0x2000
	s_movk_i32 s13, 0x2000
	s_mov_b64 s[18:19], 0x4000
	s_movk_i32 s24, 0x4000
	s_mov_b64 s[20:21], 0x6000
	s_movk_i32 s25, 0x6000
	s_mov_b64 s[22:23], 0x8000
.LBB18_19:                              ; =>This Inner Loop Header: Depth=1
	v_ashrrev_i32_e32 v27, 31, v26
	v_lshl_add_u64 v[30:31], v[26:27], 2, s[8:9]
	global_load_dword v10, v[30:31], off
	global_load_dwordx4 v[38:41], v[28:29], off offset:48
	global_load_dwordx4 v[32:35], v[28:29], off offset:32
	;; [unrolled: 1-line block ×3, first 2 shown]
	global_load_dwordx4 v[46:49], v[28:29], off
	v_lshl_add_u64 v[62:63], v[28:29], 0, s[16:17]
	v_add_u32_e32 v26, 0x80, v26
	s_waitcnt vmcnt(4)
	v_subrev_u32_e32 v10, s12, v10
	v_lshlrev_b32_e32 v10, 2, v10
	v_ashrrev_i32_e32 v11, 31, v10
	s_waitcnt lgkmcnt(0)
	v_lshl_add_u64 v[50:51], v[10:11], 4, s[6:7]
	global_load_dwordx4 v[10:13], v[50:51], off offset:48
	global_load_dwordx4 v[14:17], v[50:51], off offset:32
	;; [unrolled: 1-line block ×3, first 2 shown]
	global_load_dwordx4 v[22:25], v[50:51], off
	s_waitcnt vmcnt(0)
	v_fmac_f64_e32 v[84:85], v[46:47], v[22:23]
	v_fmac_f64_e32 v[76:77], v[48:49], v[22:23]
	v_fma_f64 v[50:51], -v[48:49], v[24:25], v[84:85]
	v_fmac_f64_e32 v[76:77], v[46:47], v[24:25]
	v_fmac_f64_e32 v[50:51], v[42:43], v[18:19]
	v_fmac_f64_e32 v[76:77], v[44:45], v[18:19]
	v_fma_f64 v[46:47], -v[44:45], v[20:21], v[50:51]
	v_fmac_f64_e32 v[76:77], v[42:43], v[20:21]
	v_fmac_f64_e32 v[46:47], v[32:33], v[14:15]
	v_fmac_f64_e32 v[76:77], v[34:35], v[14:15]
	v_fma_f64 v[42:43], -v[34:35], v[16:17], v[46:47]
	v_fmac_f64_e32 v[76:77], v[32:33], v[16:17]
	v_fmac_f64_e32 v[42:43], v[38:39], v[10:11]
	v_fmac_f64_e32 v[76:77], v[40:41], v[10:11]
	v_fma_f64 v[32:33], -v[40:41], v[12:13], v[42:43]
	v_fmac_f64_e32 v[76:77], v[38:39], v[12:13]
	global_load_dwordx4 v[38:41], v[28:29], off offset:112
	global_load_dwordx4 v[42:45], v[28:29], off offset:96
	global_load_dwordx4 v[46:49], v[28:29], off offset:80
	global_load_dwordx4 v[50:53], v[28:29], off offset:64
	s_waitcnt vmcnt(0)
	v_fmac_f64_e32 v[82:83], v[50:51], v[22:23]
	v_fmac_f64_e32 v[74:75], v[52:53], v[22:23]
	v_fma_f64 v[34:35], -v[52:53], v[24:25], v[82:83]
	v_fmac_f64_e32 v[74:75], v[50:51], v[24:25]
	v_fmac_f64_e32 v[34:35], v[46:47], v[18:19]
	v_fmac_f64_e32 v[74:75], v[48:49], v[18:19]
	v_fma_f64 v[34:35], -v[48:49], v[20:21], v[34:35]
	v_fmac_f64_e32 v[74:75], v[46:47], v[20:21]
	v_fmac_f64_e32 v[34:35], v[42:43], v[14:15]
	v_fmac_f64_e32 v[74:75], v[44:45], v[14:15]
	v_fma_f64 v[34:35], -v[44:45], v[16:17], v[34:35]
	v_fmac_f64_e32 v[74:75], v[42:43], v[16:17]
	v_fmac_f64_e32 v[34:35], v[38:39], v[10:11]
	v_fmac_f64_e32 v[74:75], v[40:41], v[10:11]
	v_fma_f64 v[34:35], -v[40:41], v[12:13], v[34:35]
	v_fmac_f64_e32 v[74:75], v[38:39], v[12:13]
	global_load_dwordx4 v[38:41], v[28:29], off offset:176
	global_load_dwordx4 v[42:45], v[28:29], off offset:160
	global_load_dwordx4 v[46:49], v[28:29], off offset:144
	global_load_dwordx4 v[50:53], v[28:29], off offset:128
	s_waitcnt vmcnt(0)
	v_fmac_f64_e32 v[68:69], v[50:51], v[22:23]
	v_fmac_f64_e32 v[72:73], v[52:53], v[22:23]
	v_fma_f64 v[54:55], -v[52:53], v[24:25], v[68:69]
	v_fmac_f64_e32 v[72:73], v[50:51], v[24:25]
	v_fmac_f64_e32 v[54:55], v[46:47], v[18:19]
	v_fmac_f64_e32 v[72:73], v[48:49], v[18:19]
	v_fma_f64 v[50:51], -v[48:49], v[20:21], v[54:55]
	v_fmac_f64_e32 v[72:73], v[46:47], v[20:21]
	v_fmac_f64_e32 v[50:51], v[42:43], v[14:15]
	v_fmac_f64_e32 v[72:73], v[44:45], v[14:15]
	v_fma_f64 v[46:47], -v[44:45], v[16:17], v[50:51]
	v_fmac_f64_e32 v[72:73], v[42:43], v[16:17]
	v_fmac_f64_e32 v[46:47], v[38:39], v[10:11]
	v_fmac_f64_e32 v[72:73], v[40:41], v[10:11]
	v_fma_f64 v[58:59], -v[40:41], v[12:13], v[46:47]
	v_fmac_f64_e32 v[72:73], v[38:39], v[12:13]
	global_load_dwordx4 v[38:41], v[28:29], off offset:240
	global_load_dwordx4 v[42:45], v[28:29], off offset:224
	global_load_dwordx4 v[46:49], v[28:29], off offset:208
	global_load_dwordx4 v[50:53], v[28:29], off offset:192
	s_waitcnt vmcnt(0)
	v_fmac_f64_e32 v[66:67], v[50:51], v[22:23]
	v_fmac_f64_e32 v[0:1], v[52:53], v[22:23]
	v_fma_f64 v[54:55], -v[52:53], v[24:25], v[66:67]
	v_fmac_f64_e32 v[0:1], v[50:51], v[24:25]
	v_fmac_f64_e32 v[54:55], v[46:47], v[18:19]
	v_fmac_f64_e32 v[0:1], v[48:49], v[18:19]
	v_fma_f64 v[22:23], -v[48:49], v[20:21], v[54:55]
	v_fmac_f64_e32 v[0:1], v[46:47], v[20:21]
	;; [unrolled: 4-line block ×3, first 2 shown]
	v_fmac_f64_e32 v[18:19], v[38:39], v[10:11]
	v_fmac_f64_e32 v[0:1], v[40:41], v[10:11]
	global_load_dword v10, v[30:31], off offset:128
	v_fmac_f64_e32 v[0:1], v[38:39], v[12:13]
	v_fma_f64 v[60:61], -v[40:41], v[12:13], v[18:19]
	v_add_co_u32_e32 v40, vcc, s13, v28
	s_waitcnt vmcnt(0)
	v_subrev_u32_e32 v10, s12, v10
	v_lshlrev_b32_e32 v38, 2, v10
	v_ashrrev_i32_e32 v39, 31, v38
	v_addc_co_u32_e32 v41, vcc, 0, v29, vcc
	v_lshl_add_u64 v[54:55], v[38:39], 4, s[6:7]
	global_load_dwordx4 v[10:13], v[40:41], off
	global_load_dwordx4 v[14:17], v[62:63], off offset:48
	global_load_dwordx4 v[18:21], v[62:63], off offset:32
	;; [unrolled: 1-line block ×3, first 2 shown]
	s_nop 0
	global_load_dwordx4 v[38:41], v[54:55], off offset:48
	global_load_dwordx4 v[42:45], v[54:55], off offset:32
	;; [unrolled: 1-line block ×3, first 2 shown]
	global_load_dwordx4 v[50:53], v[54:55], off
	s_waitcnt vmcnt(0)
	v_fmac_f64_e32 v[32:33], v[10:11], v[50:51]
	v_fmac_f64_e32 v[76:77], v[12:13], v[50:51]
	v_fma_f64 v[32:33], -v[12:13], v[52:53], v[32:33]
	v_fmac_f64_e32 v[76:77], v[10:11], v[52:53]
	v_fmac_f64_e32 v[32:33], v[22:23], v[46:47]
	v_fmac_f64_e32 v[76:77], v[24:25], v[46:47]
	v_fma_f64 v[10:11], -v[24:25], v[48:49], v[32:33]
	v_fmac_f64_e32 v[76:77], v[22:23], v[48:49]
	;; [unrolled: 4-line block ×4, first 2 shown]
	global_load_dwordx4 v[14:17], v[62:63], off offset:112
	global_load_dwordx4 v[18:21], v[62:63], off offset:96
	;; [unrolled: 1-line block ×4, first 2 shown]
	s_waitcnt vmcnt(0)
	v_fmac_f64_e32 v[34:35], v[54:55], v[50:51]
	v_fma_f64 v[12:13], -v[56:57], v[52:53], v[34:35]
	v_fmac_f64_e32 v[74:75], v[56:57], v[50:51]
	v_fmac_f64_e32 v[74:75], v[54:55], v[52:53]
	v_fmac_f64_e32 v[12:13], v[22:23], v[46:47]
	v_fma_f64 v[12:13], -v[24:25], v[48:49], v[12:13]
	v_fmac_f64_e32 v[74:75], v[24:25], v[46:47]
	v_fmac_f64_e32 v[74:75], v[22:23], v[48:49]
	;; [unrolled: 4-line block ×3, first 2 shown]
	v_fmac_f64_e32 v[12:13], v[14:15], v[38:39]
	v_fma_f64 v[12:13], -v[16:17], v[40:41], v[12:13]
	v_fmac_f64_e32 v[74:75], v[16:17], v[38:39]
	global_load_dwordx4 v[16:19], v[62:63], off offset:176
	global_load_dwordx4 v[20:23], v[62:63], off offset:160
	;; [unrolled: 1-line block ×4, first 2 shown]
	v_fmac_f64_e32 v[74:75], v[14:15], v[40:41]
	s_waitcnt vmcnt(0)
	v_fmac_f64_e32 v[58:59], v[54:55], v[50:51]
	v_fma_f64 v[14:15], -v[56:57], v[52:53], v[58:59]
	v_fmac_f64_e32 v[72:73], v[56:57], v[50:51]
	v_fmac_f64_e32 v[72:73], v[54:55], v[52:53]
	v_fmac_f64_e32 v[14:15], v[32:33], v[46:47]
	v_fma_f64 v[14:15], -v[34:35], v[48:49], v[14:15]
	v_fmac_f64_e32 v[72:73], v[34:35], v[46:47]
	v_fmac_f64_e32 v[72:73], v[32:33], v[48:49]
	;; [unrolled: 4-line block ×3, first 2 shown]
	v_fmac_f64_e32 v[14:15], v[16:17], v[38:39]
	v_fma_f64 v[14:15], -v[18:19], v[40:41], v[14:15]
	v_fmac_f64_e32 v[72:73], v[18:19], v[38:39]
	global_load_dwordx4 v[18:21], v[62:63], off offset:240
	global_load_dwordx4 v[22:25], v[62:63], off offset:224
	;; [unrolled: 1-line block ×4, first 2 shown]
	v_fmac_f64_e32 v[72:73], v[16:17], v[40:41]
	v_lshl_add_u64 v[62:63], v[28:29], 0, s[18:19]
	s_waitcnt vmcnt(0)
	v_fmac_f64_e32 v[0:1], v[56:57], v[50:51]
	v_fmac_f64_e32 v[60:61], v[54:55], v[50:51]
	v_fmac_f64_e32 v[0:1], v[54:55], v[52:53]
	v_fma_f64 v[16:17], -v[56:57], v[52:53], v[60:61]
	v_fmac_f64_e32 v[0:1], v[34:35], v[46:47]
	v_fmac_f64_e32 v[16:17], v[32:33], v[46:47]
	v_fmac_f64_e32 v[0:1], v[32:33], v[48:49]
	v_fma_f64 v[16:17], -v[34:35], v[48:49], v[16:17]
	;; [unrolled: 4-line block ×3, first 2 shown]
	v_fmac_f64_e32 v[0:1], v[20:21], v[38:39]
	v_fmac_f64_e32 v[16:17], v[18:19], v[38:39]
	;; [unrolled: 1-line block ×3, first 2 shown]
	global_load_dword v18, v[30:31], off offset:256
	v_add_co_u32_e32 v24, vcc, s24, v28
	v_fma_f64 v[16:17], -v[20:21], v[40:41], v[16:17]
	s_nop 0
	v_addc_co_u32_e32 v25, vcc, 0, v29, vcc
	global_load_dwordx4 v[20:23], v[24:25], off
	global_load_dwordx4 v[32:35], v[62:63], off offset:48
	global_load_dwordx4 v[38:41], v[62:63], off offset:32
	;; [unrolled: 1-line block ×3, first 2 shown]
	s_waitcnt vmcnt(4)
	v_subrev_u32_e32 v18, s12, v18
	v_lshlrev_b32_e32 v18, 2, v18
	v_ashrrev_i32_e32 v19, 31, v18
	v_lshl_add_u64 v[18:19], v[18:19], 4, s[6:7]
	global_load_dwordx4 v[46:49], v[18:19], off offset:48
	global_load_dwordx4 v[50:53], v[18:19], off offset:32
	;; [unrolled: 1-line block ×3, first 2 shown]
	global_load_dwordx4 v[58:61], v[18:19], off
	s_waitcnt vmcnt(0)
	v_fmac_f64_e32 v[10:11], v[20:21], v[58:59]
	v_fmac_f64_e32 v[76:77], v[22:23], v[58:59]
	v_fma_f64 v[10:11], -v[22:23], v[60:61], v[10:11]
	v_fmac_f64_e32 v[76:77], v[20:21], v[60:61]
	v_fmac_f64_e32 v[10:11], v[42:43], v[54:55]
	v_fmac_f64_e32 v[76:77], v[44:45], v[54:55]
	v_fma_f64 v[10:11], -v[44:45], v[56:57], v[10:11]
	v_fmac_f64_e32 v[76:77], v[42:43], v[56:57]
	v_fmac_f64_e32 v[10:11], v[38:39], v[50:51]
	v_fmac_f64_e32 v[76:77], v[40:41], v[50:51]
	v_fma_f64 v[10:11], -v[40:41], v[52:53], v[10:11]
	v_fmac_f64_e32 v[76:77], v[38:39], v[52:53]
	v_fmac_f64_e32 v[10:11], v[32:33], v[46:47]
	v_fmac_f64_e32 v[76:77], v[34:35], v[46:47]
	v_fma_f64 v[10:11], -v[34:35], v[48:49], v[10:11]
	v_fmac_f64_e32 v[76:77], v[32:33], v[48:49]
	global_load_dwordx4 v[18:21], v[62:63], off offset:112
	global_load_dwordx4 v[22:25], v[62:63], off offset:96
	global_load_dwordx4 v[32:35], v[62:63], off offset:80
	global_load_dwordx4 v[38:41], v[62:63], off offset:64
	s_waitcnt vmcnt(0)
	v_fmac_f64_e32 v[12:13], v[38:39], v[58:59]
	v_fmac_f64_e32 v[74:75], v[40:41], v[58:59]
	v_fma_f64 v[12:13], -v[40:41], v[60:61], v[12:13]
	v_fmac_f64_e32 v[74:75], v[38:39], v[60:61]
	v_fmac_f64_e32 v[12:13], v[32:33], v[54:55]
	v_fmac_f64_e32 v[74:75], v[34:35], v[54:55]
	v_fma_f64 v[12:13], -v[34:35], v[56:57], v[12:13]
	v_fmac_f64_e32 v[74:75], v[32:33], v[56:57]
	v_fmac_f64_e32 v[12:13], v[22:23], v[50:51]
	v_fmac_f64_e32 v[74:75], v[24:25], v[50:51]
	v_fma_f64 v[12:13], -v[24:25], v[52:53], v[12:13]
	v_fmac_f64_e32 v[74:75], v[22:23], v[52:53]
	v_fmac_f64_e32 v[12:13], v[18:19], v[46:47]
	v_fmac_f64_e32 v[74:75], v[20:21], v[46:47]
	v_fma_f64 v[12:13], -v[20:21], v[48:49], v[12:13]
	v_fmac_f64_e32 v[74:75], v[18:19], v[48:49]
	global_load_dwordx4 v[18:21], v[62:63], off offset:176
	global_load_dwordx4 v[22:25], v[62:63], off offset:160
	global_load_dwordx4 v[32:35], v[62:63], off offset:144
	global_load_dwordx4 v[38:41], v[62:63], off offset:128
	;; [unrolled: 21-line block ×3, first 2 shown]
	s_waitcnt vmcnt(0)
	v_fmac_f64_e32 v[0:1], v[40:41], v[58:59]
	v_fmac_f64_e32 v[16:17], v[38:39], v[58:59]
	v_fmac_f64_e32 v[0:1], v[38:39], v[60:61]
	v_fma_f64 v[16:17], -v[40:41], v[60:61], v[16:17]
	v_fmac_f64_e32 v[0:1], v[34:35], v[54:55]
	v_fmac_f64_e32 v[16:17], v[32:33], v[54:55]
	v_fmac_f64_e32 v[0:1], v[32:33], v[56:57]
	v_fma_f64 v[16:17], -v[34:35], v[56:57], v[16:17]
	;; [unrolled: 4-line block ×3, first 2 shown]
	v_fmac_f64_e32 v[0:1], v[20:21], v[46:47]
	v_fmac_f64_e32 v[16:17], v[18:19], v[46:47]
	;; [unrolled: 1-line block ×3, first 2 shown]
	global_load_dword v18, v[30:31], off offset:384
	v_add_co_u32_e32 v24, vcc, s25, v28
	v_fma_f64 v[16:17], -v[20:21], v[48:49], v[16:17]
	s_nop 0
	v_addc_co_u32_e32 v25, vcc, 0, v29, vcc
	v_lshl_add_u64 v[34:35], v[28:29], 0, s[20:21]
	global_load_dwordx4 v[20:23], v[24:25], off
	global_load_dwordx4 v[30:33], v[34:35], off offset:48
	global_load_dwordx4 v[38:41], v[34:35], off offset:32
	global_load_dwordx4 v[42:45], v[34:35], off offset:16
	v_cmp_ge_i32_e32 vcc, v26, v90
	v_lshl_add_u64 v[28:29], v[28:29], 0, s[22:23]
	s_or_b64 s[14:15], vcc, s[14:15]
	s_waitcnt vmcnt(4)
	v_subrev_u32_e32 v18, s12, v18
	v_lshlrev_b32_e32 v18, 2, v18
	v_ashrrev_i32_e32 v19, 31, v18
	v_lshl_add_u64 v[18:19], v[18:19], 4, s[6:7]
	global_load_dwordx4 v[46:49], v[18:19], off offset:48
	global_load_dwordx4 v[50:53], v[18:19], off offset:32
	;; [unrolled: 1-line block ×3, first 2 shown]
	global_load_dwordx4 v[58:61], v[18:19], off
	s_waitcnt vmcnt(0)
	v_fmac_f64_e32 v[10:11], v[20:21], v[58:59]
	v_fmac_f64_e32 v[76:77], v[22:23], v[58:59]
	v_fma_f64 v[10:11], -v[22:23], v[60:61], v[10:11]
	v_fmac_f64_e32 v[76:77], v[20:21], v[60:61]
	v_fmac_f64_e32 v[10:11], v[42:43], v[54:55]
	v_fmac_f64_e32 v[76:77], v[44:45], v[54:55]
	v_fma_f64 v[10:11], -v[44:45], v[56:57], v[10:11]
	v_fmac_f64_e32 v[76:77], v[42:43], v[56:57]
	v_fmac_f64_e32 v[10:11], v[38:39], v[50:51]
	v_fmac_f64_e32 v[76:77], v[40:41], v[50:51]
	v_fma_f64 v[10:11], -v[40:41], v[52:53], v[10:11]
	v_fmac_f64_e32 v[76:77], v[38:39], v[52:53]
	v_fmac_f64_e32 v[10:11], v[30:31], v[46:47]
	v_fmac_f64_e32 v[76:77], v[32:33], v[46:47]
	v_fma_f64 v[84:85], -v[32:33], v[48:49], v[10:11]
	v_fmac_f64_e32 v[76:77], v[30:31], v[48:49]
	global_load_dwordx4 v[18:21], v[34:35], off offset:112
	global_load_dwordx4 v[22:25], v[34:35], off offset:96
	global_load_dwordx4 v[30:33], v[34:35], off offset:80
	global_load_dwordx4 v[38:41], v[34:35], off offset:64
	s_waitcnt vmcnt(0)
	v_fmac_f64_e32 v[12:13], v[38:39], v[58:59]
	v_fmac_f64_e32 v[74:75], v[40:41], v[58:59]
	v_fma_f64 v[10:11], -v[40:41], v[60:61], v[12:13]
	v_fmac_f64_e32 v[74:75], v[38:39], v[60:61]
	v_fmac_f64_e32 v[10:11], v[30:31], v[54:55]
	v_fmac_f64_e32 v[74:75], v[32:33], v[54:55]
	v_fma_f64 v[10:11], -v[32:33], v[56:57], v[10:11]
	v_fmac_f64_e32 v[74:75], v[30:31], v[56:57]
	v_fmac_f64_e32 v[10:11], v[22:23], v[50:51]
	v_fmac_f64_e32 v[74:75], v[24:25], v[50:51]
	v_fma_f64 v[10:11], -v[24:25], v[52:53], v[10:11]
	v_fmac_f64_e32 v[74:75], v[22:23], v[52:53]
	v_fmac_f64_e32 v[10:11], v[18:19], v[46:47]
	v_fmac_f64_e32 v[74:75], v[20:21], v[46:47]
	v_fma_f64 v[82:83], -v[20:21], v[48:49], v[10:11]
	v_fmac_f64_e32 v[74:75], v[18:19], v[48:49]
	global_load_dwordx4 v[10:13], v[34:35], off offset:176
	global_load_dwordx4 v[18:21], v[34:35], off offset:160
	global_load_dwordx4 v[22:25], v[34:35], off offset:144
	global_load_dwordx4 v[30:33], v[34:35], off offset:128
	;; [unrolled: 21-line block ×3, first 2 shown]
	s_waitcnt vmcnt(0)
	v_fmac_f64_e32 v[16:17], v[30:31], v[58:59]
	v_fmac_f64_e32 v[0:1], v[32:33], v[58:59]
	v_fma_f64 v[14:15], -v[32:33], v[60:61], v[16:17]
	v_fmac_f64_e32 v[0:1], v[30:31], v[60:61]
	v_fmac_f64_e32 v[14:15], v[22:23], v[54:55]
	v_fmac_f64_e32 v[0:1], v[24:25], v[54:55]
	v_fma_f64 v[14:15], -v[24:25], v[56:57], v[14:15]
	v_fmac_f64_e32 v[0:1], v[22:23], v[56:57]
	;; [unrolled: 4-line block ×4, first 2 shown]
	s_andn2_b64 exec, exec, s[14:15]
	s_cbranch_execnz .LBB18_19
; %bb.20:
	s_or_b64 exec, exec, s[14:15]
.LBB18_21:
	s_or_b64 exec, exec, s[10:11]
.LBB18_22:
	s_or_b64 exec, exec, s[4:5]
	s_cbranch_execz .LBB18_24
	s_branch .LBB18_35
.LBB18_23:
                                        ; implicit-def: $vgpr76_vgpr77
                                        ; implicit-def: $vgpr84_vgpr85
                                        ; implicit-def: $vgpr66_vgpr67
                                        ; implicit-def: $vgpr0_vgpr1
                                        ; implicit-def: $vgpr68_vgpr69
                                        ; implicit-def: $vgpr72_vgpr73
                                        ; implicit-def: $vgpr82_vgpr83
                                        ; implicit-def: $vgpr74_vgpr75
.LBB18_24:
	v_mov_b64_e32 v[76:77], 0
	v_mov_b64_e32 v[84:85], 0
	;; [unrolled: 1-line block ×8, first 2 shown]
	s_and_saveexec_b64 s[10:11], s[2:3]
	s_cbranch_execz .LBB18_34
; %bb.25:
	v_add_u32_e32 v0, v36, v71
	v_subrev_u32_e32 v0, s12, v0
	v_add_u32_e32 v0, 32, v0
	v_max_i32_e32 v0, v0, v90
	v_not_b32_e32 v1, v36
	v_add3_u32 v0, s12, v0, v1
	v_sub_u32_e32 v10, v0, v71
	s_movk_i32 s2, 0x60
	v_and_b32_e32 v0, 0x60, v10
	v_cmp_ne_u32_e32 vcc, s2, v0
	v_mov_b64_e32 v[74:75], 0
	v_mov_b64_e32 v[82:83], 0
	v_mov_b64_e32 v[72:73], 0
	v_mov_b64_e32 v[68:69], 0
	v_mov_b64_e32 v[0:1], 0
	v_mov_b64_e32 v[66:67], 0
	v_mov_b64_e32 v[84:85], 0
	v_mov_b64_e32 v[76:77], 0
	s_and_saveexec_b64 s[2:3], vcc
	s_cbranch_execz .LBB18_29
; %bb.26:
	v_lshrrev_b32_e32 v0, 5, v10
	v_add_u32_e32 v0, 1, v0
	v_and_b32_e32 v0, 3, v0
	v_sub_u32_e32 v11, 0, v0
	v_mov_b64_e32 v[76:77], 0
	s_mov_b64 s[4:5], 0
	s_mov_b64 s[14:15], 0x2000
	v_mov_b64_e32 v[84:85], 0
	v_mov_b64_e32 v[66:67], 0
	;; [unrolled: 1-line block ×7, first 2 shown]
.LBB18_27:                              ; =>This Inner Loop Header: Depth=1
	v_ashrrev_i32_e32 v79, 31, v78
	v_lshl_add_u64 v[64:65], v[78:79], 2, s[8:9]
	global_load_dword v79, v[64:65], off
	global_load_dwordx4 v[12:15], v[80:81], off offset:48
	global_load_dwordx4 v[16:19], v[80:81], off offset:32
	;; [unrolled: 1-line block ×3, first 2 shown]
	global_load_dwordx4 v[24:27], v[80:81], off
	global_load_dwordx4 v[28:31], v[80:81], off offset:112
	global_load_dwordx4 v[32:35], v[80:81], off offset:96
	;; [unrolled: 1-line block ×10, first 2 shown]
                                        ; kill: killed $vgpr64_vgpr65
	global_load_dwordx4 v[92:95], v[80:81], off offset:224
	global_load_dwordx4 v[96:99], v[80:81], off offset:240
	v_add_co_u32_e32 v11, vcc, 1, v11
	v_lshl_add_u64 v[80:81], v[80:81], 0, s[14:15]
	v_add_u32_e32 v78, 32, v78
	s_or_b64 s[4:5], vcc, s[4:5]
	s_waitcnt vmcnt(16)
	v_subrev_u32_e32 v64, s12, v79
	v_lshlrev_b32_e32 v64, 2, v64
	v_ashrrev_i32_e32 v65, 31, v64
	s_waitcnt lgkmcnt(0)
	v_lshl_add_u64 v[64:65], v[64:65], 4, s[6:7]
	global_load_dwordx4 v[100:103], v[64:65], off
	global_load_dwordx4 v[104:107], v[64:65], off offset:16
	global_load_dwordx4 v[108:111], v[64:65], off offset:32
	;; [unrolled: 1-line block ×3, first 2 shown]
	s_waitcnt vmcnt(3)
	v_fmac_f64_e32 v[84:85], v[24:25], v[100:101]
	v_fmac_f64_e32 v[76:77], v[26:27], v[100:101]
	v_fmac_f64_e32 v[82:83], v[20:21], v[100:101]
	v_fmac_f64_e32 v[74:75], v[22:23], v[100:101]
	v_fmac_f64_e32 v[68:69], v[16:17], v[100:101]
	v_fmac_f64_e32 v[72:73], v[18:19], v[100:101]
	v_fmac_f64_e32 v[66:67], v[12:13], v[100:101]
	v_fmac_f64_e32 v[0:1], v[14:15], v[100:101]
	v_fma_f64 v[26:27], -v[26:27], v[102:103], v[84:85]
	v_fmac_f64_e32 v[76:77], v[24:25], v[102:103]
	v_fma_f64 v[22:23], -v[22:23], v[102:103], v[82:83]
	v_fmac_f64_e32 v[74:75], v[20:21], v[102:103]
	v_fma_f64 v[18:19], -v[18:19], v[102:103], v[68:69]
	v_fmac_f64_e32 v[72:73], v[16:17], v[102:103]
	v_fma_f64 v[14:15], -v[14:15], v[102:103], v[66:67]
	v_fmac_f64_e32 v[0:1], v[12:13], v[102:103]
	s_waitcnt vmcnt(2)
	v_fmac_f64_e32 v[26:27], v[40:41], v[104:105]
	v_fmac_f64_e32 v[76:77], v[42:43], v[104:105]
	v_fmac_f64_e32 v[22:23], v[36:37], v[104:105]
	v_fmac_f64_e32 v[74:75], v[38:39], v[104:105]
	v_fmac_f64_e32 v[18:19], v[32:33], v[104:105]
	v_fmac_f64_e32 v[72:73], v[34:35], v[104:105]
	v_fmac_f64_e32 v[14:15], v[28:29], v[104:105]
	v_fmac_f64_e32 v[0:1], v[30:31], v[104:105]
	v_fma_f64 v[12:13], -v[42:43], v[106:107], v[26:27]
	v_fmac_f64_e32 v[76:77], v[40:41], v[106:107]
	v_fma_f64 v[16:17], -v[38:39], v[106:107], v[22:23]
	v_fmac_f64_e32 v[74:75], v[36:37], v[106:107]
	v_fma_f64 v[18:19], -v[34:35], v[106:107], v[18:19]
	v_fmac_f64_e32 v[72:73], v[32:33], v[106:107]
	v_fma_f64 v[14:15], -v[30:31], v[106:107], v[14:15]
	v_fmac_f64_e32 v[0:1], v[28:29], v[106:107]
	;; [unrolled: 17-line block ×4, first 2 shown]
	s_andn2_b64 exec, exec, s[4:5]
	s_cbranch_execnz .LBB18_27
; %bb.28:
	s_or_b64 exec, exec, s[4:5]
.LBB18_29:
	s_or_b64 exec, exec, s[2:3]
	s_movk_i32 s2, 0x5f
	v_cmp_lt_u32_e32 vcc, s2, v10
	s_and_saveexec_b64 s[14:15], vcc
	s_cbranch_execz .LBB18_33
; %bb.30:
	s_mov_b64 s[16:17], 0
	s_mov_b64 s[18:19], 0x2000
	s_movk_i32 s13, 0x2000
	s_mov_b64 s[20:21], 0x4000
	s_movk_i32 s26, 0x4000
	s_mov_b64 s[22:23], 0x6000
	s_movk_i32 s27, 0x6000
	s_mov_b64 s[24:25], 0x8000
.LBB18_31:                              ; =>This Inner Loop Header: Depth=1
	v_ashrrev_i32_e32 v79, 31, v78
	v_lshl_add_u64 v[86:87], v[78:79], 2, s[8:9]
	global_load_dwordx4 v[10:13], v[80:81], off offset:48
	global_load_dwordx4 v[14:17], v[80:81], off offset:32
	;; [unrolled: 1-line block ×3, first 2 shown]
	global_load_dwordx4 v[92:95], v[80:81], off
	global_load_dwordx4 v[18:21], v[80:81], off offset:112
	global_load_dwordx4 v[26:29], v[80:81], off offset:96
	;; [unrolled: 1-line block ×10, first 2 shown]
	global_load_dword v62, v[86:87], off
	v_lshl_add_u64 v[96:97], v[80:81], 0, s[18:19]
	v_add_co_u32_e32 v98, vcc, s13, v80
	v_lshl_add_u64 v[100:101], v[80:81], 0, s[20:21]
	s_nop 0
	v_addc_co_u32_e32 v99, vcc, 0, v81, vcc
	v_add_co_u32_e64 v102, s[2:3], s26, v80
	v_add_co_u32_e64 v108, s[4:5], s27, v80
	s_nop 0
	v_addc_co_u32_e64 v103, vcc, 0, v81, s[2:3]
	v_addc_co_u32_e64 v109, vcc, 0, v81, s[4:5]
	v_add_u32_e32 v78, 0x80, v78
	v_cmp_ge_i32_e32 vcc, v78, v90
	s_or_b64 s[16:17], vcc, s[16:17]
	s_waitcnt vmcnt(0)
	v_subrev_u32_e32 v62, s12, v62
	v_lshlrev_b32_e32 v62, 2, v62
	v_ashrrev_i32_e32 v63, 31, v62
	s_waitcnt lgkmcnt(0)
	v_lshl_add_u64 v[88:89], v[62:63], 4, s[6:7]
	global_load_dwordx4 v[62:65], v[88:89], off
	s_waitcnt vmcnt(0)
	v_fmac_f64_e32 v[66:67], v[10:11], v[62:63]
	v_fmac_f64_e32 v[0:1], v[12:13], v[62:63]
	v_fma_f64 v[66:67], -v[12:13], v[64:65], v[66:67]
	v_fmac_f64_e32 v[0:1], v[10:11], v[64:65]
	global_load_dwordx4 v[10:13], v[88:89], off offset:16
	v_fmac_f64_e32 v[84:85], v[92:93], v[62:63]
	v_fmac_f64_e32 v[76:77], v[94:95], v[62:63]
	;; [unrolled: 1-line block ×6, first 2 shown]
	v_fma_f64 v[84:85], -v[94:95], v[64:65], v[84:85]
	v_fmac_f64_e32 v[76:77], v[92:93], v[64:65]
	v_fma_f64 v[82:83], -v[24:25], v[64:65], v[82:83]
	v_fmac_f64_e32 v[74:75], v[22:23], v[64:65]
	;; [unrolled: 2-line block ×3, first 2 shown]
	global_load_dwordx4 v[92:95], v[80:81], off offset:208
	global_load_dwordx4 v[22:25], v[80:81], off offset:192
	;; [unrolled: 1-line block ×3, first 2 shown]
	v_lshl_add_u64 v[62:63], v[80:81], 0, s[22:23]
	v_lshl_add_u64 v[80:81], v[80:81], 0, s[24:25]
	s_waitcnt vmcnt(3)
	v_fmac_f64_e32 v[84:85], v[42:43], v[10:11]
	v_fmac_f64_e32 v[76:77], v[44:45], v[10:11]
	;; [unrolled: 1-line block ×8, first 2 shown]
	v_fma_f64 v[44:45], -v[44:45], v[12:13], v[84:85]
	v_fmac_f64_e32 v[76:77], v[42:43], v[12:13]
	v_fma_f64 v[42:43], -v[32:33], v[12:13], v[82:83]
	v_fmac_f64_e32 v[74:75], v[30:31], v[12:13]
	;; [unrolled: 2-line block ×3, first 2 shown]
	global_load_dwordx4 v[26:29], v[96:97], off offset:32
	v_fma_f64 v[66:67], -v[20:21], v[12:13], v[66:67]
	v_fmac_f64_e32 v[0:1], v[18:19], v[12:13]
	global_load_dwordx4 v[10:13], v[96:97], off offset:16
	global_load_dwordx4 v[18:21], v[88:89], off offset:32
	global_load_dwordx4 v[30:33], v[96:97], off offset:112
	s_waitcnt vmcnt(1)
	v_fmac_f64_e32 v[44:45], v[50:51], v[18:19]
	v_fmac_f64_e32 v[76:77], v[52:53], v[18:19]
	;; [unrolled: 1-line block ×8, first 2 shown]
	v_fma_f64 v[52:53], -v[52:53], v[20:21], v[44:45]
	v_fmac_f64_e32 v[76:77], v[50:51], v[20:21]
	v_fma_f64 v[48:49], -v[48:49], v[20:21], v[42:43]
	v_fmac_f64_e32 v[74:75], v[46:47], v[20:21]
	global_load_dwordx4 v[42:45], v[96:97], off offset:96
	v_fma_f64 v[50:51], -v[40:41], v[20:21], v[64:65]
	v_fmac_f64_e32 v[72:73], v[38:39], v[20:21]
	global_load_dwordx4 v[38:41], v[96:97], off offset:80
	;; [unrolled: 3-line block ×3, first 2 shown]
	global_load_dwordx4 v[34:37], v[88:89], off offset:48
	s_waitcnt vmcnt(0)
	v_fmac_f64_e32 v[52:53], v[22:23], v[34:35]
	v_fmac_f64_e32 v[76:77], v[24:25], v[34:35]
	;; [unrolled: 1-line block ×4, first 2 shown]
	v_fma_f64 v[66:67], -v[24:25], v[36:37], v[52:53]
	v_fmac_f64_e32 v[76:77], v[22:23], v[36:37]
	global_load_dwordx4 v[22:25], v[96:97], off offset:176
	v_fma_f64 v[68:69], -v[94:95], v[36:37], v[48:49]
	global_load_dwordx4 v[46:49], v[96:97], off offset:160
	v_fmac_f64_e32 v[72:73], v[60:61], v[34:35]
	v_fma_f64 v[60:61], -v[60:61], v[36:37], v[50:51]
	global_load_dwordx4 v[50:53], v[96:97], off offset:144
	global_load_dword v79, v[86:87], off offset:128
	v_fmac_f64_e32 v[0:1], v[56:57], v[34:35]
	v_fmac_f64_e32 v[64:65], v[54:55], v[34:35]
	;; [unrolled: 1-line block ×4, first 2 shown]
	v_fma_f64 v[58:59], -v[56:57], v[36:37], v[64:65]
	v_fmac_f64_e32 v[74:75], v[94:95], v[34:35]
	v_fmac_f64_e32 v[74:75], v[92:93], v[36:37]
	global_load_dwordx4 v[34:37], v[98:99], off
	s_waitcnt vmcnt(1)
	v_subrev_u32_e32 v54, s12, v79
	v_lshlrev_b32_e32 v54, 2, v54
	v_ashrrev_i32_e32 v55, 31, v54
	v_lshl_add_u64 v[64:65], v[54:55], 4, s[6:7]
	global_load_dwordx4 v[54:57], v[64:65], off
	s_waitcnt vmcnt(0)
	v_fmac_f64_e32 v[68:69], v[10:11], v[54:55]
	v_fmac_f64_e32 v[74:75], v[12:13], v[54:55]
	v_fma_f64 v[68:69], -v[12:13], v[56:57], v[68:69]
	v_fmac_f64_e32 v[74:75], v[10:11], v[56:57]
	global_load_dwordx4 v[10:13], v[96:97], off offset:240
	v_fmac_f64_e32 v[66:67], v[34:35], v[54:55]
	v_fmac_f64_e32 v[76:77], v[36:37], v[54:55]
	;; [unrolled: 1-line block ×6, first 2 shown]
	v_fma_f64 v[66:67], -v[36:37], v[56:57], v[66:67]
	v_fmac_f64_e32 v[76:77], v[34:35], v[56:57]
	global_load_dwordx4 v[34:37], v[96:97], off offset:128
	v_fma_f64 v[82:83], -v[28:29], v[56:57], v[60:61]
	v_fmac_f64_e32 v[72:73], v[26:27], v[56:57]
	global_load_dwordx4 v[26:29], v[96:97], off offset:224
	;; [unrolled: 3-line block ×3, first 2 shown]
	global_load_dwordx4 v[54:57], v[96:97], off offset:192
	global_load_dwordx4 v[58:61], v[64:65], off offset:16
	s_waitcnt vmcnt(0)
	v_fmac_f64_e32 v[66:67], v[18:19], v[58:59]
	v_fmac_f64_e32 v[76:77], v[20:21], v[58:59]
	v_fmac_f64_e32 v[68:69], v[38:39], v[58:59]
	v_fmac_f64_e32 v[74:75], v[40:41], v[58:59]
	v_fmac_f64_e32 v[82:83], v[42:43], v[58:59]
	v_fmac_f64_e32 v[72:73], v[44:45], v[58:59]
	v_fmac_f64_e32 v[84:85], v[30:31], v[58:59]
	v_fmac_f64_e32 v[0:1], v[32:33], v[58:59]
	v_fma_f64 v[66:67], -v[20:21], v[60:61], v[66:67]
	v_fmac_f64_e32 v[76:77], v[18:19], v[60:61]
	global_load_dwordx4 v[18:21], v[100:101], off offset:48
	v_fma_f64 v[68:69], -v[40:41], v[60:61], v[68:69]
	v_fmac_f64_e32 v[74:75], v[38:39], v[60:61]
	global_load_dwordx4 v[38:41], v[100:101], off offset:32
	;; [unrolled: 3-line block ×4, first 2 shown]
	global_load_dwordx4 v[58:61], v[64:65], off offset:32
	s_waitcnt vmcnt(0)
	v_fmac_f64_e32 v[66:67], v[34:35], v[58:59]
	v_fmac_f64_e32 v[76:77], v[36:37], v[58:59]
	;; [unrolled: 1-line block ×8, first 2 shown]
	v_fma_f64 v[66:67], -v[36:37], v[60:61], v[66:67]
	v_fmac_f64_e32 v[76:77], v[34:35], v[60:61]
	global_load_dwordx4 v[34:37], v[100:101], off offset:96
	v_fma_f64 v[68:69], -v[52:53], v[60:61], v[68:69]
	v_fmac_f64_e32 v[74:75], v[50:51], v[60:61]
	global_load_dwordx4 v[50:53], v[100:101], off offset:80
	;; [unrolled: 3-line block ×4, first 2 shown]
	global_load_dwordx4 v[22:25], v[64:65], off offset:48
	s_waitcnt vmcnt(0)
	v_fmac_f64_e32 v[66:67], v[54:55], v[22:23]
	v_fmac_f64_e32 v[76:77], v[56:57], v[22:23]
	;; [unrolled: 1-line block ×4, first 2 shown]
	v_fma_f64 v[92:93], -v[56:57], v[24:25], v[66:67]
	v_fmac_f64_e32 v[76:77], v[54:55], v[24:25]
	global_load_dwordx4 v[54:57], v[100:101], off offset:144
	global_load_dwordx4 v[64:67], v[100:101], off offset:128
	v_fmac_f64_e32 v[68:69], v[14:15], v[22:23]
	v_fmac_f64_e32 v[74:75], v[14:15], v[24:25]
	v_fma_f64 v[94:95], -v[28:29], v[24:25], v[82:83]
	global_load_dwordx4 v[82:85], v[100:101], off offset:240
	global_load_dword v14, v[86:87], off offset:256
	v_fmac_f64_e32 v[88:89], v[10:11], v[22:23]
	v_fmac_f64_e32 v[72:73], v[28:29], v[22:23]
	;; [unrolled: 1-line block ×3, first 2 shown]
	v_fma_f64 v[22:23], -v[12:13], v[24:25], v[88:89]
	v_fma_f64 v[68:69], -v[16:17], v[24:25], v[68:69]
	v_fmac_f64_e32 v[0:1], v[10:11], v[24:25]
	global_load_dwordx4 v[10:13], v[102:103], off
	v_fmac_f64_e32 v[72:73], v[26:27], v[24:25]
	global_load_dwordx4 v[26:29], v[100:101], off offset:224
	s_waitcnt vmcnt(2)
	v_subrev_u32_e32 v14, s12, v14
	v_lshlrev_b32_e32 v14, 2, v14
	v_ashrrev_i32_e32 v15, 31, v14
	v_lshl_add_u64 v[88:89], v[14:15], 4, s[6:7]
	global_load_dwordx4 v[14:17], v[88:89], off
	s_waitcnt vmcnt(0)
	v_fmac_f64_e32 v[92:93], v[10:11], v[14:15]
	v_fmac_f64_e32 v[76:77], v[12:13], v[14:15]
	;; [unrolled: 1-line block ×6, first 2 shown]
	v_fma_f64 v[24:25], -v[12:13], v[16:17], v[92:93]
	v_fmac_f64_e32 v[76:77], v[10:11], v[16:17]
	v_fma_f64 v[68:69], -v[44:45], v[16:17], v[68:69]
	v_fmac_f64_e32 v[74:75], v[42:43], v[16:17]
	global_load_dwordx4 v[42:45], v[100:101], off offset:208
	v_fma_f64 v[110:111], -v[40:41], v[16:17], v[94:95]
	v_fmac_f64_e32 v[72:73], v[38:39], v[16:17]
	global_load_dwordx4 v[38:41], v[100:101], off offset:176
	global_load_dwordx4 v[92:95], v[100:101], off offset:192
	;; [unrolled: 1-line block ×4, first 2 shown]
	v_fmac_f64_e32 v[22:23], v[18:19], v[14:15]
	v_fmac_f64_e32 v[0:1], v[20:21], v[14:15]
	v_fma_f64 v[20:21], -v[20:21], v[16:17], v[22:23]
	v_fmac_f64_e32 v[0:1], v[18:19], v[16:17]
	global_load_dwordx4 v[100:103], v[62:63], off offset:32
	global_load_dwordx4 v[104:107], v[62:63], off offset:16
	;; [unrolled: 1-line block ×3, first 2 shown]
	s_waitcnt vmcnt(3)
	v_fmac_f64_e32 v[24:25], v[46:47], v[10:11]
	v_fmac_f64_e32 v[74:75], v[52:53], v[10:11]
	;; [unrolled: 1-line block ×4, first 2 shown]
	v_fma_f64 v[18:19], -v[48:49], v[12:13], v[24:25]
	v_fmac_f64_e32 v[68:69], v[50:51], v[10:11]
	v_fmac_f64_e32 v[74:75], v[50:51], v[12:13]
	v_fma_f64 v[50:51], -v[32:33], v[12:13], v[20:21]
	v_fmac_f64_e32 v[0:1], v[30:31], v[12:13]
	global_load_dwordx4 v[22:25], v[62:63], off offset:80
	global_load_dwordx4 v[30:33], v[88:89], off offset:32
	v_fmac_f64_e32 v[76:77], v[48:49], v[10:11]
	v_fmac_f64_e32 v[110:111], v[34:35], v[10:11]
	v_fmac_f64_e32 v[72:73], v[36:37], v[10:11]
	v_fmac_f64_e32 v[76:77], v[46:47], v[12:13]
	v_fma_f64 v[46:47], -v[52:53], v[12:13], v[68:69]
	v_fma_f64 v[48:49], -v[36:37], v[12:13], v[110:111]
	v_fmac_f64_e32 v[72:73], v[34:35], v[12:13]
	global_load_dwordx4 v[34:37], v[62:63], off offset:64
	global_load_dwordx4 v[10:13], v[62:63], off offset:176
	s_waitcnt vmcnt(2)
	v_fmac_f64_e32 v[18:19], v[64:65], v[30:31]
	v_fmac_f64_e32 v[76:77], v[66:67], v[30:31]
	;; [unrolled: 1-line block ×8, first 2 shown]
	v_fma_f64 v[52:53], -v[66:67], v[32:33], v[18:19]
	v_fmac_f64_e32 v[76:77], v[64:65], v[32:33]
	v_fma_f64 v[56:57], -v[56:57], v[32:33], v[46:47]
	v_fmac_f64_e32 v[74:75], v[54:55], v[32:33]
	;; [unrolled: 2-line block ×3, first 2 shown]
	global_load_dwordx4 v[18:21], v[62:63], off offset:160
	v_fma_f64 v[50:51], -v[40:41], v[32:33], v[50:51]
	v_fmac_f64_e32 v[0:1], v[38:39], v[32:33]
	global_load_dwordx4 v[30:33], v[62:63], off offset:144
	global_load_dwordx4 v[38:41], v[88:89], off offset:48
	;; [unrolled: 1-line block ×3, first 2 shown]
	s_waitcnt vmcnt(1)
	v_fmac_f64_e32 v[52:53], v[92:93], v[38:39]
	v_fmac_f64_e32 v[76:77], v[94:95], v[38:39]
	;; [unrolled: 1-line block ×8, first 2 shown]
	v_fma_f64 v[64:65], -v[94:95], v[40:41], v[52:53]
	v_fmac_f64_e32 v[76:77], v[92:93], v[40:41]
	v_fma_f64 v[56:57], -v[44:45], v[40:41], v[56:57]
	v_fmac_f64_e32 v[74:75], v[42:43], v[40:41]
	global_load_dwordx4 v[42:45], v[62:63], off offset:128
	v_fma_f64 v[66:67], -v[28:29], v[40:41], v[54:55]
	v_fmac_f64_e32 v[72:73], v[26:27], v[40:41]
	global_load_dwordx4 v[26:29], v[62:63], off offset:240
	;; [unrolled: 3-line block ×3, first 2 shown]
	global_load_dword v54, v[86:87], off offset:384
	global_load_dwordx4 v[50:53], v[108:109], off
	s_waitcnt vmcnt(1)
	v_subrev_u32_e32 v54, s12, v54
	v_lshlrev_b32_e32 v54, 2, v54
	v_ashrrev_i32_e32 v55, 31, v54
	v_lshl_add_u64 v[92:93], v[54:55], 4, s[6:7]
	global_load_dwordx4 v[58:61], v[92:93], off
	s_waitcnt vmcnt(0)
	v_fmac_f64_e32 v[66:67], v[100:101], v[58:59]
	v_fma_f64 v[86:87], -v[102:103], v[60:61], v[66:67]
	global_load_dwordx4 v[66:69], v[92:93], off offset:16
	v_fmac_f64_e32 v[64:65], v[50:51], v[58:59]
	v_fmac_f64_e32 v[76:77], v[52:53], v[58:59]
	;; [unrolled: 1-line block ×7, first 2 shown]
	v_fma_f64 v[82:83], -v[52:53], v[60:61], v[64:65]
	v_fmac_f64_e32 v[76:77], v[50:51], v[60:61]
	global_load_dwordx4 v[50:53], v[62:63], off offset:192
	v_fma_f64 v[84:85], -v[106:107], v[60:61], v[56:57]
	v_fmac_f64_e32 v[74:75], v[104:105], v[60:61]
	global_load_dwordx4 v[54:57], v[62:63], off offset:224
	v_fmac_f64_e32 v[72:73], v[100:101], v[60:61]
	v_fma_f64 v[88:89], -v[98:99], v[60:61], v[88:89]
	v_fmac_f64_e32 v[0:1], v[96:97], v[60:61]
	global_load_dwordx4 v[62:65], v[92:93], off offset:32
	global_load_dwordx4 v[58:61], v[92:93], off offset:48
	s_waitcnt vmcnt(4)
	v_fmac_f64_e32 v[82:83], v[34:35], v[66:67]
	v_fmac_f64_e32 v[76:77], v[36:37], v[66:67]
	v_fmac_f64_e32 v[84:85], v[22:23], v[66:67]
	v_fmac_f64_e32 v[74:75], v[24:25], v[66:67]
	v_fmac_f64_e32 v[86:87], v[14:15], v[66:67]
	v_fmac_f64_e32 v[72:73], v[16:17], v[66:67]
	v_fmac_f64_e32 v[88:89], v[46:47], v[66:67]
	v_fmac_f64_e32 v[0:1], v[48:49], v[66:67]
	v_fma_f64 v[36:37], -v[36:37], v[68:69], v[82:83]
	v_fmac_f64_e32 v[76:77], v[34:35], v[68:69]
	v_fma_f64 v[24:25], -v[24:25], v[68:69], v[84:85]
	v_fmac_f64_e32 v[74:75], v[22:23], v[68:69]
	v_fma_f64 v[16:17], -v[16:17], v[68:69], v[86:87]
	v_fmac_f64_e32 v[72:73], v[14:15], v[68:69]
	v_fma_f64 v[14:15], -v[48:49], v[68:69], v[88:89]
	v_fmac_f64_e32 v[0:1], v[46:47], v[68:69]
	s_waitcnt vmcnt(1)
	v_fmac_f64_e32 v[36:37], v[42:43], v[62:63]
	v_fmac_f64_e32 v[76:77], v[44:45], v[62:63]
	v_fmac_f64_e32 v[24:25], v[30:31], v[62:63]
	v_fmac_f64_e32 v[74:75], v[32:33], v[62:63]
	v_fmac_f64_e32 v[16:17], v[18:19], v[62:63]
	v_fmac_f64_e32 v[72:73], v[20:21], v[62:63]
	v_fmac_f64_e32 v[14:15], v[10:11], v[62:63]
	v_fmac_f64_e32 v[0:1], v[12:13], v[62:63]
	v_fma_f64 v[22:23], -v[44:45], v[64:65], v[36:37]
	v_fmac_f64_e32 v[76:77], v[42:43], v[64:65]
	v_fma_f64 v[24:25], -v[32:33], v[64:65], v[24:25]
	v_fmac_f64_e32 v[74:75], v[30:31], v[64:65]
	v_fma_f64 v[16:17], -v[20:21], v[64:65], v[16:17]
	v_fmac_f64_e32 v[72:73], v[18:19], v[64:65]
	v_fma_f64 v[12:13], -v[12:13], v[64:65], v[14:15]
	v_fmac_f64_e32 v[0:1], v[10:11], v[64:65]
	;; [unrolled: 17-line block ×3, first 2 shown]
	s_andn2_b64 exec, exec, s[16:17]
	s_cbranch_execnz .LBB18_31
; %bb.32:
	s_or_b64 exec, exec, s[16:17]
.LBB18_33:
	s_or_b64 exec, exec, s[14:15]
.LBB18_34:
	s_or_b64 exec, exec, s[10:11]
.LBB18_35:
	v_mov_b32_dpp v10, v84 row_shr:1 row_mask:0xf bank_mask:0xf
	v_mov_b32_dpp v11, v85 row_shr:1 row_mask:0xf bank_mask:0xf
	v_mov_b32_dpp v14, v76 row_shr:1 row_mask:0xf bank_mask:0xf
	v_mov_b32_dpp v15, v77 row_shr:1 row_mask:0xf bank_mask:0xf
	v_mov_b32_dpp v18, v82 row_shr:1 row_mask:0xf bank_mask:0xf
	v_mov_b32_dpp v19, v83 row_shr:1 row_mask:0xf bank_mask:0xf
	v_mov_b32_dpp v22, v74 row_shr:1 row_mask:0xf bank_mask:0xf
	v_mov_b32_dpp v23, v75 row_shr:1 row_mask:0xf bank_mask:0xf
	v_mov_b32_dpp v26, v68 row_shr:1 row_mask:0xf bank_mask:0xf
	v_mov_b32_dpp v27, v69 row_shr:1 row_mask:0xf bank_mask:0xf
	v_mov_b32_dpp v30, v72 row_shr:1 row_mask:0xf bank_mask:0xf
	v_mov_b32_dpp v31, v73 row_shr:1 row_mask:0xf bank_mask:0xf
	v_mov_b32_dpp v34, v66 row_shr:1 row_mask:0xf bank_mask:0xf
	v_mov_b32_dpp v35, v67 row_shr:1 row_mask:0xf bank_mask:0xf
	v_mov_b32_dpp v38, v0 row_shr:1 row_mask:0xf bank_mask:0xf
	v_mov_b32_dpp v39, v1 row_shr:1 row_mask:0xf bank_mask:0xf
	v_add_f64 v[10:11], v[84:85], v[10:11]
	v_add_f64 v[14:15], v[76:77], v[14:15]
	v_add_f64 v[18:19], v[82:83], v[18:19]
	v_add_f64 v[22:23], v[74:75], v[22:23]
	v_add_f64 v[26:27], v[68:69], v[26:27]
	v_add_f64 v[30:31], v[72:73], v[30:31]
	v_add_f64 v[34:35], v[66:67], v[34:35]
	v_add_f64 v[0:1], v[0:1], v[38:39]
	v_mov_b32_dpp v12, v10 row_shr:2 row_mask:0xf bank_mask:0xf
	v_mov_b32_dpp v13, v11 row_shr:2 row_mask:0xf bank_mask:0xf
	v_mov_b32_dpp v16, v14 row_shr:2 row_mask:0xf bank_mask:0xf
	v_mov_b32_dpp v17, v15 row_shr:2 row_mask:0xf bank_mask:0xf
	v_mov_b32_dpp v20, v18 row_shr:2 row_mask:0xf bank_mask:0xf
	v_mov_b32_dpp v21, v19 row_shr:2 row_mask:0xf bank_mask:0xf
	v_mov_b32_dpp v24, v22 row_shr:2 row_mask:0xf bank_mask:0xf
	v_mov_b32_dpp v25, v23 row_shr:2 row_mask:0xf bank_mask:0xf
	v_mov_b32_dpp v28, v26 row_shr:2 row_mask:0xf bank_mask:0xf
	v_mov_b32_dpp v29, v27 row_shr:2 row_mask:0xf bank_mask:0xf
	v_mov_b32_dpp v32, v30 row_shr:2 row_mask:0xf bank_mask:0xf
	v_mov_b32_dpp v33, v31 row_shr:2 row_mask:0xf bank_mask:0xf
	v_mov_b32_dpp v36, v34 row_shr:2 row_mask:0xf bank_mask:0xf
	v_mov_b32_dpp v37, v35 row_shr:2 row_mask:0xf bank_mask:0xf
	v_mov_b32_dpp v38, v0 row_shr:2 row_mask:0xf bank_mask:0xf
	v_mov_b32_dpp v39, v1 row_shr:2 row_mask:0xf bank_mask:0xf
	v_add_f64 v[10:11], v[10:11], v[12:13]
	v_add_f64 v[14:15], v[14:15], v[16:17]
	v_add_f64 v[18:19], v[18:19], v[20:21]
	v_add_f64 v[22:23], v[22:23], v[24:25]
	v_add_f64 v[26:27], v[26:27], v[28:29]
	v_add_f64 v[30:31], v[30:31], v[32:33]
	v_add_f64 v[34:35], v[34:35], v[36:37]
	v_add_f64 v[0:1], v[0:1], v[38:39]
	;; [unrolled: 24-line block ×4, first 2 shown]
	v_mov_b32_dpp v12, v10 row_bcast:15 row_mask:0xa bank_mask:0xf
	v_mov_b32_dpp v13, v11 row_bcast:15 row_mask:0xa bank_mask:0xf
	;; [unrolled: 1-line block ×16, first 2 shown]
	v_cmp_eq_u32_e32 vcc, 31, v71
	s_and_b64 exec, exec, vcc
	s_cbranch_execz .LBB18_8
; %bb.36:
	s_load_dwordx2 s[2:3], s[0:1], 0x60
	v_add_f64 v[40:41], v[10:11], v[12:13]
	v_add_f64 v[10:11], v[14:15], v[16:17]
	;; [unrolled: 1-line block ×8, first 2 shown]
	v_cmp_eq_f64_e32 vcc, 0, v[2:3]
	v_cmp_eq_f64_e64 s[0:1], 0, v[4:5]
	v_mul_f64 v[22:23], v[10:11], -v[8:9]
	v_mul_f64 v[24:25], v[6:7], v[10:11]
	v_mul_f64 v[18:19], v[12:13], -v[8:9]
	v_mul_f64 v[20:21], v[6:7], v[12:13]
	;; [unrolled: 2-line block ×4, first 2 shown]
	s_and_b64 s[0:1], vcc, s[0:1]
	v_fmac_f64_e32 v[22:23], v[6:7], v[40:41]
	v_fmac_f64_e32 v[24:25], v[8:9], v[40:41]
	v_lshlrev_b32_e32 v0, 2, v70
	v_fmac_f64_e32 v[18:19], v[6:7], v[42:43]
	v_fmac_f64_e32 v[20:21], v[8:9], v[42:43]
	;; [unrolled: 1-line block ×6, first 2 shown]
	s_and_saveexec_b64 s[4:5], s[0:1]
	s_xor_b64 s[0:1], exec, s[4:5]
	s_cbranch_execz .LBB18_38
; %bb.37:
	v_ashrrev_i32_e32 v1, 31, v0
	s_waitcnt lgkmcnt(0)
	v_lshl_add_u64 v[0:1], v[0:1], 4, s[2:3]
	global_store_dwordx4 v[0:1], v[22:25], off
	global_store_dwordx4 v[0:1], v[18:21], off offset:16
	global_store_dwordx4 v[0:1], v[14:17], off offset:32
	;; [unrolled: 1-line block ×3, first 2 shown]
                                        ; implicit-def: $vgpr4_vgpr5
                                        ; implicit-def: $vgpr22_vgpr23
                                        ; implicit-def: $vgpr0
                                        ; implicit-def: $vgpr18_vgpr19
                                        ; implicit-def: $vgpr14_vgpr15
                                        ; implicit-def: $vgpr10_vgpr11
.LBB18_38:
	s_andn2_saveexec_b64 s[0:1], s[0:1]
	s_cbranch_execz .LBB18_8
; %bb.39:
	v_ashrrev_i32_e32 v1, 31, v0
	s_waitcnt lgkmcnt(0)
	v_lshl_add_u64 v[0:1], v[0:1], 4, s[2:3]
	global_load_dwordx4 v[6:9], v[0:1], off
	global_load_dwordx4 v[26:29], v[0:1], off offset:16
	global_load_dwordx4 v[30:33], v[0:1], off offset:32
	;; [unrolled: 1-line block ×3, first 2 shown]
	s_waitcnt vmcnt(3)
	v_fmac_f64_e32 v[22:23], v[2:3], v[6:7]
	v_fmac_f64_e32 v[24:25], v[4:5], v[6:7]
	s_waitcnt vmcnt(2)
	v_fmac_f64_e32 v[18:19], v[2:3], v[26:27]
	v_fmac_f64_e32 v[20:21], v[4:5], v[26:27]
	;; [unrolled: 3-line block ×4, first 2 shown]
	v_fma_f64 v[22:23], -v[4:5], v[8:9], v[22:23]
	v_fmac_f64_e32 v[24:25], v[2:3], v[8:9]
	v_fma_f64 v[18:19], -v[4:5], v[28:29], v[18:19]
	v_fmac_f64_e32 v[20:21], v[2:3], v[28:29]
	;; [unrolled: 2-line block ×4, first 2 shown]
	global_store_dwordx4 v[0:1], v[22:25], off
	global_store_dwordx4 v[0:1], v[18:21], off offset:16
	global_store_dwordx4 v[0:1], v[14:17], off offset:32
	;; [unrolled: 1-line block ×3, first 2 shown]
	s_endpgm
	.section	.rodata,"a",@progbits
	.p2align	6, 0x0
	.amdhsa_kernel _ZN9rocsparseL18bsrxmvn_4x4_kernelILj128ELj32E21rocsparse_complex_numIdEiiS2_S2_S2_EEvT3_20rocsparse_direction_NS_24const_host_device_scalarIT1_EES3_PKS3_PKT2_SC_S9_PKT4_PKT5_S7_PT6_21rocsparse_index_base_b
		.amdhsa_group_segment_fixed_size 0
		.amdhsa_private_segment_fixed_size 0
		.amdhsa_kernarg_size 112
		.amdhsa_user_sgpr_count 2
		.amdhsa_user_sgpr_dispatch_ptr 0
		.amdhsa_user_sgpr_queue_ptr 0
		.amdhsa_user_sgpr_kernarg_segment_ptr 1
		.amdhsa_user_sgpr_dispatch_id 0
		.amdhsa_user_sgpr_kernarg_preload_length 0
		.amdhsa_user_sgpr_kernarg_preload_offset 0
		.amdhsa_user_sgpr_private_segment_size 0
		.amdhsa_uses_dynamic_stack 0
		.amdhsa_enable_private_segment 0
		.amdhsa_system_sgpr_workgroup_id_x 1
		.amdhsa_system_sgpr_workgroup_id_y 0
		.amdhsa_system_sgpr_workgroup_id_z 0
		.amdhsa_system_sgpr_workgroup_info 0
		.amdhsa_system_vgpr_workitem_id 0
		.amdhsa_next_free_vgpr 116
		.amdhsa_next_free_sgpr 28
		.amdhsa_accum_offset 116
		.amdhsa_reserve_vcc 1
		.amdhsa_float_round_mode_32 0
		.amdhsa_float_round_mode_16_64 0
		.amdhsa_float_denorm_mode_32 3
		.amdhsa_float_denorm_mode_16_64 3
		.amdhsa_dx10_clamp 1
		.amdhsa_ieee_mode 1
		.amdhsa_fp16_overflow 0
		.amdhsa_tg_split 0
		.amdhsa_exception_fp_ieee_invalid_op 0
		.amdhsa_exception_fp_denorm_src 0
		.amdhsa_exception_fp_ieee_div_zero 0
		.amdhsa_exception_fp_ieee_overflow 0
		.amdhsa_exception_fp_ieee_underflow 0
		.amdhsa_exception_fp_ieee_inexact 0
		.amdhsa_exception_int_div_zero 0
	.end_amdhsa_kernel
	.section	.text._ZN9rocsparseL18bsrxmvn_4x4_kernelILj128ELj32E21rocsparse_complex_numIdEiiS2_S2_S2_EEvT3_20rocsparse_direction_NS_24const_host_device_scalarIT1_EES3_PKS3_PKT2_SC_S9_PKT4_PKT5_S7_PT6_21rocsparse_index_base_b,"axG",@progbits,_ZN9rocsparseL18bsrxmvn_4x4_kernelILj128ELj32E21rocsparse_complex_numIdEiiS2_S2_S2_EEvT3_20rocsparse_direction_NS_24const_host_device_scalarIT1_EES3_PKS3_PKT2_SC_S9_PKT4_PKT5_S7_PT6_21rocsparse_index_base_b,comdat
.Lfunc_end18:
	.size	_ZN9rocsparseL18bsrxmvn_4x4_kernelILj128ELj32E21rocsparse_complex_numIdEiiS2_S2_S2_EEvT3_20rocsparse_direction_NS_24const_host_device_scalarIT1_EES3_PKS3_PKT2_SC_S9_PKT4_PKT5_S7_PT6_21rocsparse_index_base_b, .Lfunc_end18-_ZN9rocsparseL18bsrxmvn_4x4_kernelILj128ELj32E21rocsparse_complex_numIdEiiS2_S2_S2_EEvT3_20rocsparse_direction_NS_24const_host_device_scalarIT1_EES3_PKS3_PKT2_SC_S9_PKT4_PKT5_S7_PT6_21rocsparse_index_base_b
                                        ; -- End function
	.set _ZN9rocsparseL18bsrxmvn_4x4_kernelILj128ELj32E21rocsparse_complex_numIdEiiS2_S2_S2_EEvT3_20rocsparse_direction_NS_24const_host_device_scalarIT1_EES3_PKS3_PKT2_SC_S9_PKT4_PKT5_S7_PT6_21rocsparse_index_base_b.num_vgpr, 116
	.set _ZN9rocsparseL18bsrxmvn_4x4_kernelILj128ELj32E21rocsparse_complex_numIdEiiS2_S2_S2_EEvT3_20rocsparse_direction_NS_24const_host_device_scalarIT1_EES3_PKS3_PKT2_SC_S9_PKT4_PKT5_S7_PT6_21rocsparse_index_base_b.num_agpr, 0
	.set _ZN9rocsparseL18bsrxmvn_4x4_kernelILj128ELj32E21rocsparse_complex_numIdEiiS2_S2_S2_EEvT3_20rocsparse_direction_NS_24const_host_device_scalarIT1_EES3_PKS3_PKT2_SC_S9_PKT4_PKT5_S7_PT6_21rocsparse_index_base_b.numbered_sgpr, 28
	.set _ZN9rocsparseL18bsrxmvn_4x4_kernelILj128ELj32E21rocsparse_complex_numIdEiiS2_S2_S2_EEvT3_20rocsparse_direction_NS_24const_host_device_scalarIT1_EES3_PKS3_PKT2_SC_S9_PKT4_PKT5_S7_PT6_21rocsparse_index_base_b.num_named_barrier, 0
	.set _ZN9rocsparseL18bsrxmvn_4x4_kernelILj128ELj32E21rocsparse_complex_numIdEiiS2_S2_S2_EEvT3_20rocsparse_direction_NS_24const_host_device_scalarIT1_EES3_PKS3_PKT2_SC_S9_PKT4_PKT5_S7_PT6_21rocsparse_index_base_b.private_seg_size, 0
	.set _ZN9rocsparseL18bsrxmvn_4x4_kernelILj128ELj32E21rocsparse_complex_numIdEiiS2_S2_S2_EEvT3_20rocsparse_direction_NS_24const_host_device_scalarIT1_EES3_PKS3_PKT2_SC_S9_PKT4_PKT5_S7_PT6_21rocsparse_index_base_b.uses_vcc, 1
	.set _ZN9rocsparseL18bsrxmvn_4x4_kernelILj128ELj32E21rocsparse_complex_numIdEiiS2_S2_S2_EEvT3_20rocsparse_direction_NS_24const_host_device_scalarIT1_EES3_PKS3_PKT2_SC_S9_PKT4_PKT5_S7_PT6_21rocsparse_index_base_b.uses_flat_scratch, 0
	.set _ZN9rocsparseL18bsrxmvn_4x4_kernelILj128ELj32E21rocsparse_complex_numIdEiiS2_S2_S2_EEvT3_20rocsparse_direction_NS_24const_host_device_scalarIT1_EES3_PKS3_PKT2_SC_S9_PKT4_PKT5_S7_PT6_21rocsparse_index_base_b.has_dyn_sized_stack, 0
	.set _ZN9rocsparseL18bsrxmvn_4x4_kernelILj128ELj32E21rocsparse_complex_numIdEiiS2_S2_S2_EEvT3_20rocsparse_direction_NS_24const_host_device_scalarIT1_EES3_PKS3_PKT2_SC_S9_PKT4_PKT5_S7_PT6_21rocsparse_index_base_b.has_recursion, 0
	.set _ZN9rocsparseL18bsrxmvn_4x4_kernelILj128ELj32E21rocsparse_complex_numIdEiiS2_S2_S2_EEvT3_20rocsparse_direction_NS_24const_host_device_scalarIT1_EES3_PKS3_PKT2_SC_S9_PKT4_PKT5_S7_PT6_21rocsparse_index_base_b.has_indirect_call, 0
	.section	.AMDGPU.csdata,"",@progbits
; Kernel info:
; codeLenInByte = 7972
; TotalNumSgprs: 34
; NumVgprs: 116
; NumAgprs: 0
; TotalNumVgprs: 116
; ScratchSize: 0
; MemoryBound: 1
; FloatMode: 240
; IeeeMode: 1
; LDSByteSize: 0 bytes/workgroup (compile time only)
; SGPRBlocks: 4
; VGPRBlocks: 14
; NumSGPRsForWavesPerEU: 34
; NumVGPRsForWavesPerEU: 116
; AccumOffset: 116
; Occupancy: 4
; WaveLimiterHint : 1
; COMPUTE_PGM_RSRC2:SCRATCH_EN: 0
; COMPUTE_PGM_RSRC2:USER_SGPR: 2
; COMPUTE_PGM_RSRC2:TRAP_HANDLER: 0
; COMPUTE_PGM_RSRC2:TGID_X_EN: 1
; COMPUTE_PGM_RSRC2:TGID_Y_EN: 0
; COMPUTE_PGM_RSRC2:TGID_Z_EN: 0
; COMPUTE_PGM_RSRC2:TIDIG_COMP_CNT: 0
; COMPUTE_PGM_RSRC3_GFX90A:ACCUM_OFFSET: 28
; COMPUTE_PGM_RSRC3_GFX90A:TG_SPLIT: 0
	.section	.text._ZN9rocsparseL18bsrxmvn_4x4_kernelILj128ELj64E21rocsparse_complex_numIdEiiS2_S2_S2_EEvT3_20rocsparse_direction_NS_24const_host_device_scalarIT1_EES3_PKS3_PKT2_SC_S9_PKT4_PKT5_S7_PT6_21rocsparse_index_base_b,"axG",@progbits,_ZN9rocsparseL18bsrxmvn_4x4_kernelILj128ELj64E21rocsparse_complex_numIdEiiS2_S2_S2_EEvT3_20rocsparse_direction_NS_24const_host_device_scalarIT1_EES3_PKS3_PKT2_SC_S9_PKT4_PKT5_S7_PT6_21rocsparse_index_base_b,comdat
	.globl	_ZN9rocsparseL18bsrxmvn_4x4_kernelILj128ELj64E21rocsparse_complex_numIdEiiS2_S2_S2_EEvT3_20rocsparse_direction_NS_24const_host_device_scalarIT1_EES3_PKS3_PKT2_SC_S9_PKT4_PKT5_S7_PT6_21rocsparse_index_base_b ; -- Begin function _ZN9rocsparseL18bsrxmvn_4x4_kernelILj128ELj64E21rocsparse_complex_numIdEiiS2_S2_S2_EEvT3_20rocsparse_direction_NS_24const_host_device_scalarIT1_EES3_PKS3_PKT2_SC_S9_PKT4_PKT5_S7_PT6_21rocsparse_index_base_b
	.p2align	8
	.type	_ZN9rocsparseL18bsrxmvn_4x4_kernelILj128ELj64E21rocsparse_complex_numIdEiiS2_S2_S2_EEvT3_20rocsparse_direction_NS_24const_host_device_scalarIT1_EES3_PKS3_PKT2_SC_S9_PKT4_PKT5_S7_PT6_21rocsparse_index_base_b,@function
_ZN9rocsparseL18bsrxmvn_4x4_kernelILj128ELj64E21rocsparse_complex_numIdEiiS2_S2_S2_EEvT3_20rocsparse_direction_NS_24const_host_device_scalarIT1_EES3_PKS3_PKT2_SC_S9_PKT4_PKT5_S7_PT6_21rocsparse_index_base_b: ; @_ZN9rocsparseL18bsrxmvn_4x4_kernelILj128ELj64E21rocsparse_complex_numIdEiiS2_S2_S2_EEvT3_20rocsparse_direction_NS_24const_host_device_scalarIT1_EES3_PKS3_PKT2_SC_S9_PKT4_PKT5_S7_PT6_21rocsparse_index_base_b
; %bb.0:
	s_load_dwordx2 s[4:5], s[0:1], 0x8
	s_load_dwordx2 s[12:13], s[0:1], 0x68
	s_add_u32 s3, s0, 8
	s_addc_u32 s8, s1, 0
	s_add_u32 s9, s0, 0x50
	s_load_dwordx2 s[6:7], s[0:1], 0x50
	s_addc_u32 s10, s1, 0
	s_waitcnt lgkmcnt(0)
	s_bitcmp1_b32 s13, 0
	s_cselect_b32 s5, s8, s5
	s_cselect_b32 s3, s3, s4
	v_mov_b32_e32 v2, s3
	v_mov_b32_e32 v3, s5
	flat_load_dwordx4 v[6:9], v[2:3]
	s_cselect_b32 s3, s10, s7
	s_cselect_b32 s4, s9, s6
	v_mov_b32_e32 v2, s4
	v_mov_b32_e32 v3, s3
	flat_load_dwordx4 v[2:5], v[2:3]
	s_waitcnt vmcnt(0) lgkmcnt(0)
	v_cmp_eq_f64_e32 vcc, 0, v[6:7]
	v_cmp_eq_f64_e64 s[4:5], 0, v[8:9]
	s_and_b64 s[8:9], vcc, s[4:5]
	s_mov_b64 s[4:5], -1
	s_and_saveexec_b64 s[6:7], s[8:9]
; %bb.1:
	v_cmp_neq_f64_e32 vcc, 1.0, v[2:3]
	v_cmp_neq_f64_e64 s[4:5], 0, v[4:5]
	s_or_b64 s[4:5], vcc, s[4:5]
	s_orn2_b64 s[4:5], s[4:5], exec
; %bb.2:
	s_or_b64 exec, exec, s[6:7]
	s_and_saveexec_b64 s[6:7], s[4:5]
	s_cbranch_execz .LBB19_8
; %bb.3:
	s_load_dwordx2 s[4:5], s[0:1], 0x20
	s_load_dwordx2 s[14:15], s[0:1], 0x0
	v_lshrrev_b32_e32 v1, 6, v0
	v_lshl_or_b32 v70, s2, 1, v1
	s_mov_b64 s[2:3], 0
	s_waitcnt lgkmcnt(0)
	s_cmp_lg_u64 s[4:5], 0
	s_cbranch_scc0 .LBB19_9
; %bb.4:
	s_load_dword s6, s[0:1], 0x18
                                        ; implicit-def: $vgpr1
	s_waitcnt lgkmcnt(0)
	v_cmp_gt_i32_e32 vcc, s6, v70
	s_and_saveexec_b64 s[6:7], vcc
	s_xor_b64 s[6:7], exec, s[6:7]
	s_cbranch_execz .LBB19_6
; %bb.5:
	v_ashrrev_i32_e32 v71, 31, v70
	v_lshl_add_u64 v[10:11], v[70:71], 2, s[4:5]
	global_load_dword v1, v[10:11], off
	s_mov_b64 s[2:3], exec
	s_waitcnt vmcnt(0)
	v_subrev_u32_e32 v1, s12, v1
.LBB19_6:
	s_or_b64 exec, exec, s[6:7]
	s_branch .LBB19_10
.LBB19_7:
	v_cmp_gt_i32_e32 vcc, s14, v70
	s_andn2_b64 s[2:3], s[2:3], exec
	s_and_b64 s[4:5], vcc, exec
	s_or_b64 s[2:3], s[2:3], s[4:5]
	s_and_b64 exec, exec, s[2:3]
	s_cbranch_execnz .LBB19_11
.LBB19_8:
	s_endpgm
.LBB19_9:
                                        ; implicit-def: $vgpr1
	s_cbranch_execnz .LBB19_7
.LBB19_10:
	v_mov_b32_e32 v70, v1
	s_and_b64 exec, exec, s[2:3]
	s_cbranch_execz .LBB19_8
.LBB19_11:
	s_load_dwordx8 s[4:11], s[0:1], 0x28
	v_ashrrev_i32_e32 v71, 31, v70
	v_lshlrev_b64 v[10:11], 2, v[70:71]
	v_and_b32_e32 v71, 63, v0
	s_waitcnt lgkmcnt(0)
	v_lshl_add_u64 v[12:13], s[4:5], 0, v[10:11]
	s_cmp_eq_u64 s[6:7], 0
	global_load_dword v36, v[12:13], off
	v_lshl_add_u64 v[12:13], v[12:13], 0, 4
	v_lshl_add_u64 v[10:11], s[6:7], 0, v[10:11]
	s_cselect_b64 vcc, -1, 0
	v_cndmask_b32_e32 v11, v11, v13, vcc
	v_cndmask_b32_e32 v10, v10, v12, vcc
	global_load_dword v1, v[10:11], off
	s_load_dwordx2 s[6:7], s[0:1], 0x48
	s_cmp_eq_u32 s15, 1
	s_waitcnt vmcnt(1)
	v_subrev_u32_e32 v0, s12, v36
	v_add_u32_e32 v78, v0, v71
	v_ashrrev_i32_e32 v79, 31, v78
	s_waitcnt vmcnt(0)
	v_subrev_u32_e32 v90, s12, v1
	v_lshlrev_b64 v[0:1], 8, v[78:79]
	v_lshl_add_u64 v[80:81], s[10:11], 0, v[0:1]
	v_cmp_lt_i32_e64 s[2:3], v78, v90
	s_cbranch_scc1 .LBB19_23
; %bb.12:
	v_mov_b64_e32 v[76:77], 0
	v_mov_b64_e32 v[84:85], 0
	;; [unrolled: 1-line block ×8, first 2 shown]
	s_and_saveexec_b64 s[4:5], s[2:3]
	s_cbranch_execz .LBB19_22
; %bb.13:
	v_add_u32_e32 v0, v36, v71
	v_subrev_u32_e32 v0, s12, v0
	v_add_u32_e32 v0, 64, v0
	v_max_i32_e32 v0, v0, v90
	v_not_b32_e32 v1, v36
	v_add3_u32 v0, s12, v0, v1
	v_sub_u32_e32 v14, v0, v71
	s_movk_i32 s10, 0xc0
	v_and_b32_e32 v0, 0xc0, v14
	v_cmp_ne_u32_e32 vcc, s10, v0
	v_mov_b64_e32 v[74:75], 0
	v_mov_b64_e32 v[82:83], 0
	;; [unrolled: 1-line block ×9, first 2 shown]
	v_mov_b32_e32 v26, v78
	s_and_saveexec_b64 s[10:11], vcc
	s_cbranch_execz .LBB19_17
; %bb.14:
	v_lshrrev_b32_e32 v0, 6, v14
	v_add_u32_e32 v0, 1, v0
	v_and_b32_e32 v0, 3, v0
	v_sub_u32_e32 v15, 0, v0
	v_mov_b64_e32 v[76:77], 0
	s_mov_b64 s[14:15], 0
	s_mov_b64 s[16:17], 0x4000
	v_mov_b32_e32 v26, v78
	v_mov_b64_e32 v[28:29], v[80:81]
	v_mov_b64_e32 v[84:85], 0
	;; [unrolled: 1-line block ×8, first 2 shown]
.LBB19_15:                              ; =>This Inner Loop Header: Depth=1
	v_ashrrev_i32_e32 v27, 31, v26
	v_lshl_add_u64 v[24:25], v[26:27], 2, s[8:9]
	global_load_dwordx4 v[10:13], v[28:29], off offset:16
	global_load_dwordx4 v[16:19], v[28:29], off
	global_load_dwordx4 v[20:23], v[28:29], off offset:80
	global_load_dwordx4 v[30:33], v[28:29], off offset:64
	;; [unrolled: 1-line block ×13, first 2 shown]
	v_add_co_u32_e32 v15, vcc, 1, v15
	global_load_dword v24, v[24:25], off
	v_add_u32_e32 v26, 64, v26
	s_or_b64 s[14:15], vcc, s[14:15]
	s_waitcnt vmcnt(0)
	v_subrev_u32_e32 v24, s12, v24
	v_lshlrev_b32_e32 v24, 2, v24
	v_ashrrev_i32_e32 v25, 31, v24
	s_waitcnt lgkmcnt(0)
	v_lshl_add_u64 v[24:25], v[24:25], 4, s[6:7]
	global_load_dwordx4 v[104:107], v[24:25], off
	global_load_dwordx4 v[108:111], v[24:25], off offset:16
	s_waitcnt vmcnt(1)
	v_fmac_f64_e32 v[84:85], v[16:17], v[104:105]
	v_fmac_f64_e32 v[76:77], v[18:19], v[104:105]
	;; [unrolled: 1-line block ×4, first 2 shown]
	v_fma_f64 v[34:35], -v[18:19], v[106:107], v[84:85]
	v_fmac_f64_e32 v[76:77], v[16:17], v[106:107]
	global_load_dwordx4 v[16:19], v[28:29], off offset:224
	v_fma_f64 v[82:83], -v[32:33], v[106:107], v[82:83]
	v_fmac_f64_e32 v[74:75], v[30:31], v[106:107]
	global_load_dwordx4 v[30:33], v[24:25], off offset:32
	v_fmac_f64_e32 v[68:69], v[42:43], v[104:105]
	v_fmac_f64_e32 v[72:73], v[44:45], v[104:105]
	v_fma_f64 v[68:69], -v[44:45], v[106:107], v[68:69]
	v_fmac_f64_e32 v[72:73], v[42:43], v[106:107]
	global_load_dwordx4 v[42:45], v[24:25], off offset:48
	v_fmac_f64_e32 v[66:67], v[50:51], v[104:105]
	v_fmac_f64_e32 v[0:1], v[52:53], v[104:105]
	v_fma_f64 v[24:25], -v[52:53], v[106:107], v[66:67]
	v_fmac_f64_e32 v[0:1], v[50:51], v[106:107]
	s_waitcnt vmcnt(3)
	v_fmac_f64_e32 v[34:35], v[10:11], v[108:109]
	v_fmac_f64_e32 v[76:77], v[12:13], v[108:109]
	;; [unrolled: 1-line block ×8, first 2 shown]
	v_fma_f64 v[12:13], -v[12:13], v[110:111], v[34:35]
	v_fmac_f64_e32 v[76:77], v[10:11], v[110:111]
	v_fma_f64 v[10:11], -v[22:23], v[110:111], v[82:83]
	v_fmac_f64_e32 v[74:75], v[20:21], v[110:111]
	;; [unrolled: 2-line block ×4, first 2 shown]
	v_lshl_add_u64 v[28:29], v[28:29], 0, s[16:17]
	s_waitcnt vmcnt(1)
	v_fmac_f64_e32 v[12:13], v[58:59], v[30:31]
	v_fmac_f64_e32 v[76:77], v[60:61], v[30:31]
	;; [unrolled: 1-line block ×8, first 2 shown]
	v_fma_f64 v[12:13], -v[60:61], v[32:33], v[12:13]
	v_fmac_f64_e32 v[76:77], v[58:59], v[32:33]
	v_fma_f64 v[10:11], -v[88:89], v[32:33], v[10:11]
	v_fmac_f64_e32 v[74:75], v[86:87], v[32:33]
	;; [unrolled: 2-line block ×4, first 2 shown]
	s_waitcnt vmcnt(0)
	v_fmac_f64_e32 v[12:13], v[54:55], v[42:43]
	v_fmac_f64_e32 v[76:77], v[56:57], v[42:43]
	;; [unrolled: 1-line block ×8, first 2 shown]
	v_fma_f64 v[84:85], -v[56:57], v[44:45], v[12:13]
	v_fmac_f64_e32 v[76:77], v[54:55], v[44:45]
	v_fma_f64 v[82:83], -v[64:65], v[44:45], v[10:11]
	v_fmac_f64_e32 v[74:75], v[62:63], v[44:45]
	;; [unrolled: 2-line block ×4, first 2 shown]
	s_andn2_b64 exec, exec, s[14:15]
	s_cbranch_execnz .LBB19_15
; %bb.16:
	s_or_b64 exec, exec, s[14:15]
.LBB19_17:
	s_or_b64 exec, exec, s[10:11]
	s_movk_i32 s10, 0xbf
	v_cmp_lt_u32_e32 vcc, s10, v14
	s_and_saveexec_b64 s[10:11], vcc
	s_cbranch_execz .LBB19_21
; %bb.18:
	s_mov_b64 s[14:15], 0
	s_mov_b64 s[16:17], 0x4000
	s_movk_i32 s13, 0x4000
	s_mov_b64 s[18:19], 0x8000
	s_mov_b32 s24, 0x8000
	s_mov_b64 s[20:21], 0xc000
	s_mov_b32 s25, 0xc000
	s_mov_b64 s[22:23], 0x10000
.LBB19_19:                              ; =>This Inner Loop Header: Depth=1
	v_ashrrev_i32_e32 v27, 31, v26
	v_lshl_add_u64 v[30:31], v[26:27], 2, s[8:9]
	global_load_dword v10, v[30:31], off
	global_load_dwordx4 v[38:41], v[28:29], off offset:48
	global_load_dwordx4 v[32:35], v[28:29], off offset:32
	;; [unrolled: 1-line block ×3, first 2 shown]
	global_load_dwordx4 v[46:49], v[28:29], off
	v_lshl_add_u64 v[62:63], v[28:29], 0, s[16:17]
	v_add_u32_e32 v26, 0x100, v26
	s_waitcnt vmcnt(4)
	v_subrev_u32_e32 v10, s12, v10
	v_lshlrev_b32_e32 v10, 2, v10
	v_ashrrev_i32_e32 v11, 31, v10
	s_waitcnt lgkmcnt(0)
	v_lshl_add_u64 v[50:51], v[10:11], 4, s[6:7]
	global_load_dwordx4 v[10:13], v[50:51], off offset:48
	global_load_dwordx4 v[14:17], v[50:51], off offset:32
	;; [unrolled: 1-line block ×3, first 2 shown]
	global_load_dwordx4 v[22:25], v[50:51], off
	s_waitcnt vmcnt(0)
	v_fmac_f64_e32 v[84:85], v[46:47], v[22:23]
	v_fmac_f64_e32 v[76:77], v[48:49], v[22:23]
	v_fma_f64 v[50:51], -v[48:49], v[24:25], v[84:85]
	v_fmac_f64_e32 v[76:77], v[46:47], v[24:25]
	v_fmac_f64_e32 v[50:51], v[42:43], v[18:19]
	v_fmac_f64_e32 v[76:77], v[44:45], v[18:19]
	v_fma_f64 v[46:47], -v[44:45], v[20:21], v[50:51]
	v_fmac_f64_e32 v[76:77], v[42:43], v[20:21]
	v_fmac_f64_e32 v[46:47], v[32:33], v[14:15]
	v_fmac_f64_e32 v[76:77], v[34:35], v[14:15]
	v_fma_f64 v[42:43], -v[34:35], v[16:17], v[46:47]
	v_fmac_f64_e32 v[76:77], v[32:33], v[16:17]
	v_fmac_f64_e32 v[42:43], v[38:39], v[10:11]
	v_fmac_f64_e32 v[76:77], v[40:41], v[10:11]
	v_fma_f64 v[32:33], -v[40:41], v[12:13], v[42:43]
	v_fmac_f64_e32 v[76:77], v[38:39], v[12:13]
	global_load_dwordx4 v[38:41], v[28:29], off offset:112
	global_load_dwordx4 v[42:45], v[28:29], off offset:96
	global_load_dwordx4 v[46:49], v[28:29], off offset:80
	global_load_dwordx4 v[50:53], v[28:29], off offset:64
	s_waitcnt vmcnt(0)
	v_fmac_f64_e32 v[82:83], v[50:51], v[22:23]
	v_fmac_f64_e32 v[74:75], v[52:53], v[22:23]
	v_fma_f64 v[34:35], -v[52:53], v[24:25], v[82:83]
	v_fmac_f64_e32 v[74:75], v[50:51], v[24:25]
	v_fmac_f64_e32 v[34:35], v[46:47], v[18:19]
	v_fmac_f64_e32 v[74:75], v[48:49], v[18:19]
	v_fma_f64 v[34:35], -v[48:49], v[20:21], v[34:35]
	v_fmac_f64_e32 v[74:75], v[46:47], v[20:21]
	v_fmac_f64_e32 v[34:35], v[42:43], v[14:15]
	v_fmac_f64_e32 v[74:75], v[44:45], v[14:15]
	v_fma_f64 v[34:35], -v[44:45], v[16:17], v[34:35]
	v_fmac_f64_e32 v[74:75], v[42:43], v[16:17]
	v_fmac_f64_e32 v[34:35], v[38:39], v[10:11]
	v_fmac_f64_e32 v[74:75], v[40:41], v[10:11]
	v_fma_f64 v[34:35], -v[40:41], v[12:13], v[34:35]
	v_fmac_f64_e32 v[74:75], v[38:39], v[12:13]
	global_load_dwordx4 v[38:41], v[28:29], off offset:176
	global_load_dwordx4 v[42:45], v[28:29], off offset:160
	global_load_dwordx4 v[46:49], v[28:29], off offset:144
	global_load_dwordx4 v[50:53], v[28:29], off offset:128
	;; [unrolled: 21-line block ×3, first 2 shown]
	s_waitcnt vmcnt(0)
	v_fmac_f64_e32 v[66:67], v[50:51], v[22:23]
	v_fmac_f64_e32 v[0:1], v[52:53], v[22:23]
	v_fma_f64 v[54:55], -v[52:53], v[24:25], v[66:67]
	v_fmac_f64_e32 v[0:1], v[50:51], v[24:25]
	v_fmac_f64_e32 v[54:55], v[46:47], v[18:19]
	v_fmac_f64_e32 v[0:1], v[48:49], v[18:19]
	v_fma_f64 v[22:23], -v[48:49], v[20:21], v[54:55]
	v_fmac_f64_e32 v[0:1], v[46:47], v[20:21]
	;; [unrolled: 4-line block ×3, first 2 shown]
	v_fmac_f64_e32 v[18:19], v[38:39], v[10:11]
	v_fmac_f64_e32 v[0:1], v[40:41], v[10:11]
	global_load_dword v10, v[30:31], off offset:256
	v_fmac_f64_e32 v[0:1], v[38:39], v[12:13]
	v_fma_f64 v[60:61], -v[40:41], v[12:13], v[18:19]
	v_add_co_u32_e32 v40, vcc, s13, v28
	s_waitcnt vmcnt(0)
	v_subrev_u32_e32 v10, s12, v10
	v_lshlrev_b32_e32 v38, 2, v10
	v_ashrrev_i32_e32 v39, 31, v38
	v_addc_co_u32_e32 v41, vcc, 0, v29, vcc
	v_lshl_add_u64 v[54:55], v[38:39], 4, s[6:7]
	global_load_dwordx4 v[10:13], v[40:41], off
	global_load_dwordx4 v[14:17], v[62:63], off offset:48
	global_load_dwordx4 v[18:21], v[62:63], off offset:32
	;; [unrolled: 1-line block ×3, first 2 shown]
	s_nop 0
	global_load_dwordx4 v[38:41], v[54:55], off offset:48
	global_load_dwordx4 v[42:45], v[54:55], off offset:32
	global_load_dwordx4 v[46:49], v[54:55], off offset:16
	global_load_dwordx4 v[50:53], v[54:55], off
	s_waitcnt vmcnt(0)
	v_fmac_f64_e32 v[32:33], v[10:11], v[50:51]
	v_fmac_f64_e32 v[76:77], v[12:13], v[50:51]
	v_fma_f64 v[32:33], -v[12:13], v[52:53], v[32:33]
	v_fmac_f64_e32 v[76:77], v[10:11], v[52:53]
	v_fmac_f64_e32 v[32:33], v[22:23], v[46:47]
	v_fmac_f64_e32 v[76:77], v[24:25], v[46:47]
	v_fma_f64 v[10:11], -v[24:25], v[48:49], v[32:33]
	v_fmac_f64_e32 v[76:77], v[22:23], v[48:49]
	;; [unrolled: 4-line block ×4, first 2 shown]
	global_load_dwordx4 v[14:17], v[62:63], off offset:112
	global_load_dwordx4 v[18:21], v[62:63], off offset:96
	global_load_dwordx4 v[22:25], v[62:63], off offset:80
	global_load_dwordx4 v[54:57], v[62:63], off offset:64
	s_waitcnt vmcnt(0)
	v_fmac_f64_e32 v[34:35], v[54:55], v[50:51]
	v_fma_f64 v[12:13], -v[56:57], v[52:53], v[34:35]
	v_fmac_f64_e32 v[74:75], v[56:57], v[50:51]
	v_fmac_f64_e32 v[74:75], v[54:55], v[52:53]
	v_fmac_f64_e32 v[12:13], v[22:23], v[46:47]
	v_fma_f64 v[12:13], -v[24:25], v[48:49], v[12:13]
	v_fmac_f64_e32 v[74:75], v[24:25], v[46:47]
	v_fmac_f64_e32 v[74:75], v[22:23], v[48:49]
	;; [unrolled: 4-line block ×3, first 2 shown]
	v_fmac_f64_e32 v[12:13], v[14:15], v[38:39]
	v_fma_f64 v[12:13], -v[16:17], v[40:41], v[12:13]
	v_fmac_f64_e32 v[74:75], v[16:17], v[38:39]
	global_load_dwordx4 v[16:19], v[62:63], off offset:176
	global_load_dwordx4 v[20:23], v[62:63], off offset:160
	;; [unrolled: 1-line block ×4, first 2 shown]
	v_fmac_f64_e32 v[74:75], v[14:15], v[40:41]
	s_waitcnt vmcnt(0)
	v_fmac_f64_e32 v[58:59], v[54:55], v[50:51]
	v_fma_f64 v[14:15], -v[56:57], v[52:53], v[58:59]
	v_fmac_f64_e32 v[72:73], v[56:57], v[50:51]
	v_fmac_f64_e32 v[72:73], v[54:55], v[52:53]
	v_fmac_f64_e32 v[14:15], v[32:33], v[46:47]
	v_fma_f64 v[14:15], -v[34:35], v[48:49], v[14:15]
	v_fmac_f64_e32 v[72:73], v[34:35], v[46:47]
	v_fmac_f64_e32 v[72:73], v[32:33], v[48:49]
	;; [unrolled: 4-line block ×3, first 2 shown]
	v_fmac_f64_e32 v[14:15], v[16:17], v[38:39]
	v_fma_f64 v[14:15], -v[18:19], v[40:41], v[14:15]
	v_fmac_f64_e32 v[72:73], v[18:19], v[38:39]
	global_load_dwordx4 v[18:21], v[62:63], off offset:240
	global_load_dwordx4 v[22:25], v[62:63], off offset:224
	;; [unrolled: 1-line block ×4, first 2 shown]
	v_fmac_f64_e32 v[72:73], v[16:17], v[40:41]
	v_lshl_add_u64 v[62:63], v[28:29], 0, s[18:19]
	s_waitcnt vmcnt(0)
	v_fmac_f64_e32 v[0:1], v[56:57], v[50:51]
	v_fmac_f64_e32 v[60:61], v[54:55], v[50:51]
	v_fmac_f64_e32 v[0:1], v[54:55], v[52:53]
	v_fma_f64 v[16:17], -v[56:57], v[52:53], v[60:61]
	v_fmac_f64_e32 v[0:1], v[34:35], v[46:47]
	v_fmac_f64_e32 v[16:17], v[32:33], v[46:47]
	v_fmac_f64_e32 v[0:1], v[32:33], v[48:49]
	v_fma_f64 v[16:17], -v[34:35], v[48:49], v[16:17]
	;; [unrolled: 4-line block ×3, first 2 shown]
	v_fmac_f64_e32 v[0:1], v[20:21], v[38:39]
	v_fmac_f64_e32 v[16:17], v[18:19], v[38:39]
	;; [unrolled: 1-line block ×3, first 2 shown]
	global_load_dword v18, v[30:31], off offset:512
	v_add_co_u32_e32 v24, vcc, s24, v28
	v_fma_f64 v[16:17], -v[20:21], v[40:41], v[16:17]
	s_nop 0
	v_addc_co_u32_e32 v25, vcc, 0, v29, vcc
	global_load_dwordx4 v[20:23], v[24:25], off
	global_load_dwordx4 v[32:35], v[62:63], off offset:48
	global_load_dwordx4 v[38:41], v[62:63], off offset:32
	;; [unrolled: 1-line block ×3, first 2 shown]
	s_waitcnt vmcnt(4)
	v_subrev_u32_e32 v18, s12, v18
	v_lshlrev_b32_e32 v18, 2, v18
	v_ashrrev_i32_e32 v19, 31, v18
	v_lshl_add_u64 v[18:19], v[18:19], 4, s[6:7]
	global_load_dwordx4 v[46:49], v[18:19], off offset:48
	global_load_dwordx4 v[50:53], v[18:19], off offset:32
	;; [unrolled: 1-line block ×3, first 2 shown]
	global_load_dwordx4 v[58:61], v[18:19], off
	s_waitcnt vmcnt(0)
	v_fmac_f64_e32 v[10:11], v[20:21], v[58:59]
	v_fmac_f64_e32 v[76:77], v[22:23], v[58:59]
	v_fma_f64 v[10:11], -v[22:23], v[60:61], v[10:11]
	v_fmac_f64_e32 v[76:77], v[20:21], v[60:61]
	v_fmac_f64_e32 v[10:11], v[42:43], v[54:55]
	v_fmac_f64_e32 v[76:77], v[44:45], v[54:55]
	v_fma_f64 v[10:11], -v[44:45], v[56:57], v[10:11]
	v_fmac_f64_e32 v[76:77], v[42:43], v[56:57]
	v_fmac_f64_e32 v[10:11], v[38:39], v[50:51]
	v_fmac_f64_e32 v[76:77], v[40:41], v[50:51]
	v_fma_f64 v[10:11], -v[40:41], v[52:53], v[10:11]
	v_fmac_f64_e32 v[76:77], v[38:39], v[52:53]
	v_fmac_f64_e32 v[10:11], v[32:33], v[46:47]
	v_fmac_f64_e32 v[76:77], v[34:35], v[46:47]
	v_fma_f64 v[10:11], -v[34:35], v[48:49], v[10:11]
	v_fmac_f64_e32 v[76:77], v[32:33], v[48:49]
	global_load_dwordx4 v[18:21], v[62:63], off offset:112
	global_load_dwordx4 v[22:25], v[62:63], off offset:96
	global_load_dwordx4 v[32:35], v[62:63], off offset:80
	global_load_dwordx4 v[38:41], v[62:63], off offset:64
	s_waitcnt vmcnt(0)
	v_fmac_f64_e32 v[12:13], v[38:39], v[58:59]
	v_fmac_f64_e32 v[74:75], v[40:41], v[58:59]
	v_fma_f64 v[12:13], -v[40:41], v[60:61], v[12:13]
	v_fmac_f64_e32 v[74:75], v[38:39], v[60:61]
	v_fmac_f64_e32 v[12:13], v[32:33], v[54:55]
	v_fmac_f64_e32 v[74:75], v[34:35], v[54:55]
	v_fma_f64 v[12:13], -v[34:35], v[56:57], v[12:13]
	v_fmac_f64_e32 v[74:75], v[32:33], v[56:57]
	v_fmac_f64_e32 v[12:13], v[22:23], v[50:51]
	v_fmac_f64_e32 v[74:75], v[24:25], v[50:51]
	v_fma_f64 v[12:13], -v[24:25], v[52:53], v[12:13]
	v_fmac_f64_e32 v[74:75], v[22:23], v[52:53]
	v_fmac_f64_e32 v[12:13], v[18:19], v[46:47]
	v_fmac_f64_e32 v[74:75], v[20:21], v[46:47]
	v_fma_f64 v[12:13], -v[20:21], v[48:49], v[12:13]
	v_fmac_f64_e32 v[74:75], v[18:19], v[48:49]
	global_load_dwordx4 v[18:21], v[62:63], off offset:176
	global_load_dwordx4 v[22:25], v[62:63], off offset:160
	global_load_dwordx4 v[32:35], v[62:63], off offset:144
	global_load_dwordx4 v[38:41], v[62:63], off offset:128
	;; [unrolled: 21-line block ×3, first 2 shown]
	s_waitcnt vmcnt(0)
	v_fmac_f64_e32 v[0:1], v[40:41], v[58:59]
	v_fmac_f64_e32 v[16:17], v[38:39], v[58:59]
	v_fmac_f64_e32 v[0:1], v[38:39], v[60:61]
	v_fma_f64 v[16:17], -v[40:41], v[60:61], v[16:17]
	v_fmac_f64_e32 v[0:1], v[34:35], v[54:55]
	v_fmac_f64_e32 v[16:17], v[32:33], v[54:55]
	v_fmac_f64_e32 v[0:1], v[32:33], v[56:57]
	v_fma_f64 v[16:17], -v[34:35], v[56:57], v[16:17]
	;; [unrolled: 4-line block ×3, first 2 shown]
	v_fmac_f64_e32 v[0:1], v[20:21], v[46:47]
	v_fmac_f64_e32 v[16:17], v[18:19], v[46:47]
	;; [unrolled: 1-line block ×3, first 2 shown]
	global_load_dword v18, v[30:31], off offset:768
	v_add_co_u32_e32 v24, vcc, s25, v28
	v_fma_f64 v[16:17], -v[20:21], v[48:49], v[16:17]
	s_nop 0
	v_addc_co_u32_e32 v25, vcc, 0, v29, vcc
	v_lshl_add_u64 v[34:35], v[28:29], 0, s[20:21]
	global_load_dwordx4 v[20:23], v[24:25], off
	global_load_dwordx4 v[30:33], v[34:35], off offset:48
	global_load_dwordx4 v[38:41], v[34:35], off offset:32
	;; [unrolled: 1-line block ×3, first 2 shown]
	v_cmp_ge_i32_e32 vcc, v26, v90
	v_lshl_add_u64 v[28:29], v[28:29], 0, s[22:23]
	s_or_b64 s[14:15], vcc, s[14:15]
	s_waitcnt vmcnt(4)
	v_subrev_u32_e32 v18, s12, v18
	v_lshlrev_b32_e32 v18, 2, v18
	v_ashrrev_i32_e32 v19, 31, v18
	v_lshl_add_u64 v[18:19], v[18:19], 4, s[6:7]
	global_load_dwordx4 v[46:49], v[18:19], off offset:48
	global_load_dwordx4 v[50:53], v[18:19], off offset:32
	;; [unrolled: 1-line block ×3, first 2 shown]
	global_load_dwordx4 v[58:61], v[18:19], off
	s_waitcnt vmcnt(0)
	v_fmac_f64_e32 v[10:11], v[20:21], v[58:59]
	v_fmac_f64_e32 v[76:77], v[22:23], v[58:59]
	v_fma_f64 v[10:11], -v[22:23], v[60:61], v[10:11]
	v_fmac_f64_e32 v[76:77], v[20:21], v[60:61]
	v_fmac_f64_e32 v[10:11], v[42:43], v[54:55]
	v_fmac_f64_e32 v[76:77], v[44:45], v[54:55]
	v_fma_f64 v[10:11], -v[44:45], v[56:57], v[10:11]
	v_fmac_f64_e32 v[76:77], v[42:43], v[56:57]
	v_fmac_f64_e32 v[10:11], v[38:39], v[50:51]
	v_fmac_f64_e32 v[76:77], v[40:41], v[50:51]
	v_fma_f64 v[10:11], -v[40:41], v[52:53], v[10:11]
	v_fmac_f64_e32 v[76:77], v[38:39], v[52:53]
	v_fmac_f64_e32 v[10:11], v[30:31], v[46:47]
	v_fmac_f64_e32 v[76:77], v[32:33], v[46:47]
	v_fma_f64 v[84:85], -v[32:33], v[48:49], v[10:11]
	v_fmac_f64_e32 v[76:77], v[30:31], v[48:49]
	global_load_dwordx4 v[18:21], v[34:35], off offset:112
	global_load_dwordx4 v[22:25], v[34:35], off offset:96
	global_load_dwordx4 v[30:33], v[34:35], off offset:80
	global_load_dwordx4 v[38:41], v[34:35], off offset:64
	s_waitcnt vmcnt(0)
	v_fmac_f64_e32 v[12:13], v[38:39], v[58:59]
	v_fmac_f64_e32 v[74:75], v[40:41], v[58:59]
	v_fma_f64 v[10:11], -v[40:41], v[60:61], v[12:13]
	v_fmac_f64_e32 v[74:75], v[38:39], v[60:61]
	v_fmac_f64_e32 v[10:11], v[30:31], v[54:55]
	v_fmac_f64_e32 v[74:75], v[32:33], v[54:55]
	v_fma_f64 v[10:11], -v[32:33], v[56:57], v[10:11]
	v_fmac_f64_e32 v[74:75], v[30:31], v[56:57]
	v_fmac_f64_e32 v[10:11], v[22:23], v[50:51]
	v_fmac_f64_e32 v[74:75], v[24:25], v[50:51]
	v_fma_f64 v[10:11], -v[24:25], v[52:53], v[10:11]
	v_fmac_f64_e32 v[74:75], v[22:23], v[52:53]
	v_fmac_f64_e32 v[10:11], v[18:19], v[46:47]
	v_fmac_f64_e32 v[74:75], v[20:21], v[46:47]
	v_fma_f64 v[82:83], -v[20:21], v[48:49], v[10:11]
	v_fmac_f64_e32 v[74:75], v[18:19], v[48:49]
	global_load_dwordx4 v[10:13], v[34:35], off offset:176
	global_load_dwordx4 v[18:21], v[34:35], off offset:160
	global_load_dwordx4 v[22:25], v[34:35], off offset:144
	global_load_dwordx4 v[30:33], v[34:35], off offset:128
	;; [unrolled: 21-line block ×3, first 2 shown]
	s_waitcnt vmcnt(0)
	v_fmac_f64_e32 v[16:17], v[30:31], v[58:59]
	v_fmac_f64_e32 v[0:1], v[32:33], v[58:59]
	v_fma_f64 v[14:15], -v[32:33], v[60:61], v[16:17]
	v_fmac_f64_e32 v[0:1], v[30:31], v[60:61]
	v_fmac_f64_e32 v[14:15], v[22:23], v[54:55]
	v_fmac_f64_e32 v[0:1], v[24:25], v[54:55]
	v_fma_f64 v[14:15], -v[24:25], v[56:57], v[14:15]
	v_fmac_f64_e32 v[0:1], v[22:23], v[56:57]
	;; [unrolled: 4-line block ×4, first 2 shown]
	s_andn2_b64 exec, exec, s[14:15]
	s_cbranch_execnz .LBB19_19
; %bb.20:
	s_or_b64 exec, exec, s[14:15]
.LBB19_21:
	s_or_b64 exec, exec, s[10:11]
.LBB19_22:
	s_or_b64 exec, exec, s[4:5]
	s_cbranch_execz .LBB19_24
	s_branch .LBB19_35
.LBB19_23:
                                        ; implicit-def: $vgpr76_vgpr77
                                        ; implicit-def: $vgpr84_vgpr85
                                        ; implicit-def: $vgpr66_vgpr67
                                        ; implicit-def: $vgpr0_vgpr1
                                        ; implicit-def: $vgpr68_vgpr69
                                        ; implicit-def: $vgpr72_vgpr73
                                        ; implicit-def: $vgpr82_vgpr83
                                        ; implicit-def: $vgpr74_vgpr75
.LBB19_24:
	v_mov_b64_e32 v[76:77], 0
	v_mov_b64_e32 v[84:85], 0
	;; [unrolled: 1-line block ×8, first 2 shown]
	s_and_saveexec_b64 s[10:11], s[2:3]
	s_cbranch_execz .LBB19_34
; %bb.25:
	v_add_u32_e32 v0, v36, v71
	v_subrev_u32_e32 v0, s12, v0
	v_add_u32_e32 v0, 64, v0
	v_max_i32_e32 v0, v0, v90
	v_not_b32_e32 v1, v36
	v_add3_u32 v0, s12, v0, v1
	v_sub_u32_e32 v10, v0, v71
	s_movk_i32 s2, 0xc0
	v_and_b32_e32 v0, 0xc0, v10
	v_cmp_ne_u32_e32 vcc, s2, v0
	v_mov_b64_e32 v[74:75], 0
	v_mov_b64_e32 v[82:83], 0
	;; [unrolled: 1-line block ×8, first 2 shown]
	s_and_saveexec_b64 s[2:3], vcc
	s_cbranch_execz .LBB19_29
; %bb.26:
	v_lshrrev_b32_e32 v0, 6, v10
	v_add_u32_e32 v0, 1, v0
	v_and_b32_e32 v0, 3, v0
	v_sub_u32_e32 v11, 0, v0
	v_mov_b64_e32 v[76:77], 0
	s_mov_b64 s[4:5], 0
	s_mov_b64 s[14:15], 0x4000
	v_mov_b64_e32 v[84:85], 0
	v_mov_b64_e32 v[66:67], 0
	;; [unrolled: 1-line block ×7, first 2 shown]
.LBB19_27:                              ; =>This Inner Loop Header: Depth=1
	v_ashrrev_i32_e32 v79, 31, v78
	v_lshl_add_u64 v[64:65], v[78:79], 2, s[8:9]
	global_load_dword v79, v[64:65], off
	global_load_dwordx4 v[12:15], v[80:81], off offset:48
	global_load_dwordx4 v[16:19], v[80:81], off offset:32
	;; [unrolled: 1-line block ×3, first 2 shown]
	global_load_dwordx4 v[24:27], v[80:81], off
	global_load_dwordx4 v[28:31], v[80:81], off offset:112
	global_load_dwordx4 v[32:35], v[80:81], off offset:96
	;; [unrolled: 1-line block ×10, first 2 shown]
                                        ; kill: killed $vgpr64_vgpr65
	global_load_dwordx4 v[92:95], v[80:81], off offset:224
	global_load_dwordx4 v[96:99], v[80:81], off offset:240
	v_add_co_u32_e32 v11, vcc, 1, v11
	v_lshl_add_u64 v[80:81], v[80:81], 0, s[14:15]
	v_add_u32_e32 v78, 64, v78
	s_or_b64 s[4:5], vcc, s[4:5]
	s_waitcnt vmcnt(16)
	v_subrev_u32_e32 v64, s12, v79
	v_lshlrev_b32_e32 v64, 2, v64
	v_ashrrev_i32_e32 v65, 31, v64
	s_waitcnt lgkmcnt(0)
	v_lshl_add_u64 v[64:65], v[64:65], 4, s[6:7]
	global_load_dwordx4 v[100:103], v[64:65], off
	global_load_dwordx4 v[104:107], v[64:65], off offset:16
	global_load_dwordx4 v[108:111], v[64:65], off offset:32
	;; [unrolled: 1-line block ×3, first 2 shown]
	s_waitcnt vmcnt(3)
	v_fmac_f64_e32 v[84:85], v[24:25], v[100:101]
	v_fmac_f64_e32 v[76:77], v[26:27], v[100:101]
	v_fmac_f64_e32 v[82:83], v[20:21], v[100:101]
	v_fmac_f64_e32 v[74:75], v[22:23], v[100:101]
	v_fmac_f64_e32 v[68:69], v[16:17], v[100:101]
	v_fmac_f64_e32 v[72:73], v[18:19], v[100:101]
	v_fmac_f64_e32 v[66:67], v[12:13], v[100:101]
	v_fmac_f64_e32 v[0:1], v[14:15], v[100:101]
	v_fma_f64 v[26:27], -v[26:27], v[102:103], v[84:85]
	v_fmac_f64_e32 v[76:77], v[24:25], v[102:103]
	v_fma_f64 v[22:23], -v[22:23], v[102:103], v[82:83]
	v_fmac_f64_e32 v[74:75], v[20:21], v[102:103]
	v_fma_f64 v[18:19], -v[18:19], v[102:103], v[68:69]
	v_fmac_f64_e32 v[72:73], v[16:17], v[102:103]
	v_fma_f64 v[14:15], -v[14:15], v[102:103], v[66:67]
	v_fmac_f64_e32 v[0:1], v[12:13], v[102:103]
	s_waitcnt vmcnt(2)
	v_fmac_f64_e32 v[26:27], v[40:41], v[104:105]
	v_fmac_f64_e32 v[76:77], v[42:43], v[104:105]
	v_fmac_f64_e32 v[22:23], v[36:37], v[104:105]
	v_fmac_f64_e32 v[74:75], v[38:39], v[104:105]
	v_fmac_f64_e32 v[18:19], v[32:33], v[104:105]
	v_fmac_f64_e32 v[72:73], v[34:35], v[104:105]
	v_fmac_f64_e32 v[14:15], v[28:29], v[104:105]
	v_fmac_f64_e32 v[0:1], v[30:31], v[104:105]
	v_fma_f64 v[12:13], -v[42:43], v[106:107], v[26:27]
	v_fmac_f64_e32 v[76:77], v[40:41], v[106:107]
	v_fma_f64 v[16:17], -v[38:39], v[106:107], v[22:23]
	v_fmac_f64_e32 v[74:75], v[36:37], v[106:107]
	v_fma_f64 v[18:19], -v[34:35], v[106:107], v[18:19]
	v_fmac_f64_e32 v[72:73], v[32:33], v[106:107]
	v_fma_f64 v[14:15], -v[30:31], v[106:107], v[14:15]
	v_fmac_f64_e32 v[0:1], v[28:29], v[106:107]
	;; [unrolled: 17-line block ×4, first 2 shown]
	s_andn2_b64 exec, exec, s[4:5]
	s_cbranch_execnz .LBB19_27
; %bb.28:
	s_or_b64 exec, exec, s[4:5]
.LBB19_29:
	s_or_b64 exec, exec, s[2:3]
	s_movk_i32 s2, 0xbf
	v_cmp_lt_u32_e32 vcc, s2, v10
	s_and_saveexec_b64 s[14:15], vcc
	s_cbranch_execz .LBB19_33
; %bb.30:
	s_mov_b64 s[16:17], 0
	s_mov_b64 s[18:19], 0x4000
	s_movk_i32 s13, 0x4000
	s_mov_b64 s[20:21], 0x8000
	s_mov_b32 s26, 0x8000
	s_mov_b64 s[22:23], 0xc000
	s_mov_b32 s27, 0xc000
	s_mov_b64 s[24:25], 0x10000
.LBB19_31:                              ; =>This Inner Loop Header: Depth=1
	v_ashrrev_i32_e32 v79, 31, v78
	v_lshl_add_u64 v[86:87], v[78:79], 2, s[8:9]
	global_load_dwordx4 v[10:13], v[80:81], off offset:48
	global_load_dwordx4 v[14:17], v[80:81], off offset:32
	;; [unrolled: 1-line block ×3, first 2 shown]
	global_load_dwordx4 v[92:95], v[80:81], off
	global_load_dwordx4 v[18:21], v[80:81], off offset:112
	global_load_dwordx4 v[26:29], v[80:81], off offset:96
	;; [unrolled: 1-line block ×10, first 2 shown]
	global_load_dword v62, v[86:87], off
	v_lshl_add_u64 v[96:97], v[80:81], 0, s[18:19]
	v_add_co_u32_e32 v98, vcc, s13, v80
	v_lshl_add_u64 v[100:101], v[80:81], 0, s[20:21]
	s_nop 0
	v_addc_co_u32_e32 v99, vcc, 0, v81, vcc
	v_add_co_u32_e64 v102, s[2:3], s26, v80
	v_add_co_u32_e64 v108, s[4:5], s27, v80
	s_nop 0
	v_addc_co_u32_e64 v103, vcc, 0, v81, s[2:3]
	v_addc_co_u32_e64 v109, vcc, 0, v81, s[4:5]
	v_add_u32_e32 v78, 0x100, v78
	v_cmp_ge_i32_e32 vcc, v78, v90
	s_or_b64 s[16:17], vcc, s[16:17]
	s_waitcnt vmcnt(0)
	v_subrev_u32_e32 v62, s12, v62
	v_lshlrev_b32_e32 v62, 2, v62
	v_ashrrev_i32_e32 v63, 31, v62
	s_waitcnt lgkmcnt(0)
	v_lshl_add_u64 v[88:89], v[62:63], 4, s[6:7]
	global_load_dwordx4 v[62:65], v[88:89], off
	s_waitcnt vmcnt(0)
	v_fmac_f64_e32 v[66:67], v[10:11], v[62:63]
	v_fmac_f64_e32 v[0:1], v[12:13], v[62:63]
	v_fma_f64 v[66:67], -v[12:13], v[64:65], v[66:67]
	v_fmac_f64_e32 v[0:1], v[10:11], v[64:65]
	global_load_dwordx4 v[10:13], v[88:89], off offset:16
	v_fmac_f64_e32 v[84:85], v[92:93], v[62:63]
	v_fmac_f64_e32 v[76:77], v[94:95], v[62:63]
	;; [unrolled: 1-line block ×6, first 2 shown]
	v_fma_f64 v[84:85], -v[94:95], v[64:65], v[84:85]
	v_fmac_f64_e32 v[76:77], v[92:93], v[64:65]
	v_fma_f64 v[82:83], -v[24:25], v[64:65], v[82:83]
	v_fmac_f64_e32 v[74:75], v[22:23], v[64:65]
	;; [unrolled: 2-line block ×3, first 2 shown]
	global_load_dwordx4 v[92:95], v[80:81], off offset:208
	global_load_dwordx4 v[22:25], v[80:81], off offset:192
	;; [unrolled: 1-line block ×3, first 2 shown]
	v_lshl_add_u64 v[62:63], v[80:81], 0, s[22:23]
	v_lshl_add_u64 v[80:81], v[80:81], 0, s[24:25]
	s_waitcnt vmcnt(3)
	v_fmac_f64_e32 v[84:85], v[42:43], v[10:11]
	v_fmac_f64_e32 v[76:77], v[44:45], v[10:11]
	;; [unrolled: 1-line block ×8, first 2 shown]
	v_fma_f64 v[44:45], -v[44:45], v[12:13], v[84:85]
	v_fmac_f64_e32 v[76:77], v[42:43], v[12:13]
	v_fma_f64 v[42:43], -v[32:33], v[12:13], v[82:83]
	v_fmac_f64_e32 v[74:75], v[30:31], v[12:13]
	;; [unrolled: 2-line block ×3, first 2 shown]
	global_load_dwordx4 v[26:29], v[96:97], off offset:32
	v_fma_f64 v[66:67], -v[20:21], v[12:13], v[66:67]
	v_fmac_f64_e32 v[0:1], v[18:19], v[12:13]
	global_load_dwordx4 v[10:13], v[96:97], off offset:16
	global_load_dwordx4 v[18:21], v[88:89], off offset:32
	;; [unrolled: 1-line block ×3, first 2 shown]
	s_waitcnt vmcnt(1)
	v_fmac_f64_e32 v[44:45], v[50:51], v[18:19]
	v_fmac_f64_e32 v[76:77], v[52:53], v[18:19]
	;; [unrolled: 1-line block ×8, first 2 shown]
	v_fma_f64 v[52:53], -v[52:53], v[20:21], v[44:45]
	v_fmac_f64_e32 v[76:77], v[50:51], v[20:21]
	v_fma_f64 v[48:49], -v[48:49], v[20:21], v[42:43]
	v_fmac_f64_e32 v[74:75], v[46:47], v[20:21]
	global_load_dwordx4 v[42:45], v[96:97], off offset:96
	v_fma_f64 v[50:51], -v[40:41], v[20:21], v[64:65]
	v_fmac_f64_e32 v[72:73], v[38:39], v[20:21]
	global_load_dwordx4 v[38:41], v[96:97], off offset:80
	;; [unrolled: 3-line block ×3, first 2 shown]
	global_load_dwordx4 v[34:37], v[88:89], off offset:48
	s_waitcnt vmcnt(0)
	v_fmac_f64_e32 v[52:53], v[22:23], v[34:35]
	v_fmac_f64_e32 v[76:77], v[24:25], v[34:35]
	;; [unrolled: 1-line block ×4, first 2 shown]
	v_fma_f64 v[66:67], -v[24:25], v[36:37], v[52:53]
	v_fmac_f64_e32 v[76:77], v[22:23], v[36:37]
	global_load_dwordx4 v[22:25], v[96:97], off offset:176
	v_fma_f64 v[68:69], -v[94:95], v[36:37], v[48:49]
	global_load_dwordx4 v[46:49], v[96:97], off offset:160
	v_fmac_f64_e32 v[72:73], v[60:61], v[34:35]
	v_fma_f64 v[60:61], -v[60:61], v[36:37], v[50:51]
	global_load_dwordx4 v[50:53], v[96:97], off offset:144
	global_load_dword v79, v[86:87], off offset:256
	v_fmac_f64_e32 v[0:1], v[56:57], v[34:35]
	v_fmac_f64_e32 v[64:65], v[54:55], v[34:35]
	;; [unrolled: 1-line block ×4, first 2 shown]
	v_fma_f64 v[58:59], -v[56:57], v[36:37], v[64:65]
	v_fmac_f64_e32 v[74:75], v[94:95], v[34:35]
	v_fmac_f64_e32 v[74:75], v[92:93], v[36:37]
	global_load_dwordx4 v[34:37], v[98:99], off
	s_waitcnt vmcnt(1)
	v_subrev_u32_e32 v54, s12, v79
	v_lshlrev_b32_e32 v54, 2, v54
	v_ashrrev_i32_e32 v55, 31, v54
	v_lshl_add_u64 v[64:65], v[54:55], 4, s[6:7]
	global_load_dwordx4 v[54:57], v[64:65], off
	s_waitcnt vmcnt(0)
	v_fmac_f64_e32 v[68:69], v[10:11], v[54:55]
	v_fmac_f64_e32 v[74:75], v[12:13], v[54:55]
	v_fma_f64 v[68:69], -v[12:13], v[56:57], v[68:69]
	v_fmac_f64_e32 v[74:75], v[10:11], v[56:57]
	global_load_dwordx4 v[10:13], v[96:97], off offset:240
	v_fmac_f64_e32 v[66:67], v[34:35], v[54:55]
	v_fmac_f64_e32 v[76:77], v[36:37], v[54:55]
	;; [unrolled: 1-line block ×6, first 2 shown]
	v_fma_f64 v[66:67], -v[36:37], v[56:57], v[66:67]
	v_fmac_f64_e32 v[76:77], v[34:35], v[56:57]
	global_load_dwordx4 v[34:37], v[96:97], off offset:128
	v_fma_f64 v[82:83], -v[28:29], v[56:57], v[60:61]
	v_fmac_f64_e32 v[72:73], v[26:27], v[56:57]
	global_load_dwordx4 v[26:29], v[96:97], off offset:224
	;; [unrolled: 3-line block ×3, first 2 shown]
	global_load_dwordx4 v[54:57], v[96:97], off offset:192
	global_load_dwordx4 v[58:61], v[64:65], off offset:16
	s_waitcnt vmcnt(0)
	v_fmac_f64_e32 v[66:67], v[18:19], v[58:59]
	v_fmac_f64_e32 v[76:77], v[20:21], v[58:59]
	;; [unrolled: 1-line block ×8, first 2 shown]
	v_fma_f64 v[66:67], -v[20:21], v[60:61], v[66:67]
	v_fmac_f64_e32 v[76:77], v[18:19], v[60:61]
	global_load_dwordx4 v[18:21], v[100:101], off offset:48
	v_fma_f64 v[68:69], -v[40:41], v[60:61], v[68:69]
	v_fmac_f64_e32 v[74:75], v[38:39], v[60:61]
	global_load_dwordx4 v[38:41], v[100:101], off offset:32
	;; [unrolled: 3-line block ×4, first 2 shown]
	global_load_dwordx4 v[58:61], v[64:65], off offset:32
	s_waitcnt vmcnt(0)
	v_fmac_f64_e32 v[66:67], v[34:35], v[58:59]
	v_fmac_f64_e32 v[76:77], v[36:37], v[58:59]
	;; [unrolled: 1-line block ×8, first 2 shown]
	v_fma_f64 v[66:67], -v[36:37], v[60:61], v[66:67]
	v_fmac_f64_e32 v[76:77], v[34:35], v[60:61]
	global_load_dwordx4 v[34:37], v[100:101], off offset:96
	v_fma_f64 v[68:69], -v[52:53], v[60:61], v[68:69]
	v_fmac_f64_e32 v[74:75], v[50:51], v[60:61]
	global_load_dwordx4 v[50:53], v[100:101], off offset:80
	v_fma_f64 v[82:83], -v[48:49], v[60:61], v[82:83]
	v_fmac_f64_e32 v[72:73], v[46:47], v[60:61]
	global_load_dwordx4 v[46:49], v[100:101], off offset:64
	v_fma_f64 v[88:89], -v[24:25], v[60:61], v[84:85]
	v_fmac_f64_e32 v[0:1], v[22:23], v[60:61]
	global_load_dwordx4 v[58:61], v[100:101], off offset:160
	global_load_dwordx4 v[22:25], v[64:65], off offset:48
	s_waitcnt vmcnt(0)
	v_fmac_f64_e32 v[66:67], v[54:55], v[22:23]
	v_fmac_f64_e32 v[76:77], v[56:57], v[22:23]
	;; [unrolled: 1-line block ×4, first 2 shown]
	v_fma_f64 v[92:93], -v[56:57], v[24:25], v[66:67]
	v_fmac_f64_e32 v[76:77], v[54:55], v[24:25]
	global_load_dwordx4 v[54:57], v[100:101], off offset:144
	global_load_dwordx4 v[64:67], v[100:101], off offset:128
	v_fmac_f64_e32 v[68:69], v[14:15], v[22:23]
	v_fmac_f64_e32 v[74:75], v[14:15], v[24:25]
	v_fma_f64 v[94:95], -v[28:29], v[24:25], v[82:83]
	global_load_dwordx4 v[82:85], v[100:101], off offset:240
	global_load_dword v14, v[86:87], off offset:512
	v_fmac_f64_e32 v[88:89], v[10:11], v[22:23]
	v_fmac_f64_e32 v[72:73], v[28:29], v[22:23]
	;; [unrolled: 1-line block ×3, first 2 shown]
	v_fma_f64 v[22:23], -v[12:13], v[24:25], v[88:89]
	v_fma_f64 v[68:69], -v[16:17], v[24:25], v[68:69]
	v_fmac_f64_e32 v[0:1], v[10:11], v[24:25]
	global_load_dwordx4 v[10:13], v[102:103], off
	v_fmac_f64_e32 v[72:73], v[26:27], v[24:25]
	global_load_dwordx4 v[26:29], v[100:101], off offset:224
	s_waitcnt vmcnt(2)
	v_subrev_u32_e32 v14, s12, v14
	v_lshlrev_b32_e32 v14, 2, v14
	v_ashrrev_i32_e32 v15, 31, v14
	v_lshl_add_u64 v[88:89], v[14:15], 4, s[6:7]
	global_load_dwordx4 v[14:17], v[88:89], off
	s_waitcnt vmcnt(0)
	v_fmac_f64_e32 v[92:93], v[10:11], v[14:15]
	v_fmac_f64_e32 v[76:77], v[12:13], v[14:15]
	v_fmac_f64_e32 v[68:69], v[42:43], v[14:15]
	v_fmac_f64_e32 v[74:75], v[44:45], v[14:15]
	v_fmac_f64_e32 v[94:95], v[38:39], v[14:15]
	v_fmac_f64_e32 v[72:73], v[40:41], v[14:15]
	v_fma_f64 v[24:25], -v[12:13], v[16:17], v[92:93]
	v_fmac_f64_e32 v[76:77], v[10:11], v[16:17]
	v_fma_f64 v[68:69], -v[44:45], v[16:17], v[68:69]
	v_fmac_f64_e32 v[74:75], v[42:43], v[16:17]
	global_load_dwordx4 v[42:45], v[100:101], off offset:208
	v_fma_f64 v[110:111], -v[40:41], v[16:17], v[94:95]
	v_fmac_f64_e32 v[72:73], v[38:39], v[16:17]
	global_load_dwordx4 v[38:41], v[100:101], off offset:176
	global_load_dwordx4 v[92:95], v[100:101], off offset:192
	;; [unrolled: 1-line block ×4, first 2 shown]
	v_fmac_f64_e32 v[22:23], v[18:19], v[14:15]
	v_fmac_f64_e32 v[0:1], v[20:21], v[14:15]
	v_fma_f64 v[20:21], -v[20:21], v[16:17], v[22:23]
	v_fmac_f64_e32 v[0:1], v[18:19], v[16:17]
	global_load_dwordx4 v[100:103], v[62:63], off offset:32
	global_load_dwordx4 v[104:107], v[62:63], off offset:16
	global_load_dwordx4 v[14:17], v[62:63], off offset:96
	s_waitcnt vmcnt(3)
	v_fmac_f64_e32 v[24:25], v[46:47], v[10:11]
	v_fmac_f64_e32 v[74:75], v[52:53], v[10:11]
	;; [unrolled: 1-line block ×4, first 2 shown]
	v_fma_f64 v[18:19], -v[48:49], v[12:13], v[24:25]
	v_fmac_f64_e32 v[68:69], v[50:51], v[10:11]
	v_fmac_f64_e32 v[74:75], v[50:51], v[12:13]
	v_fma_f64 v[50:51], -v[32:33], v[12:13], v[20:21]
	v_fmac_f64_e32 v[0:1], v[30:31], v[12:13]
	global_load_dwordx4 v[22:25], v[62:63], off offset:80
	global_load_dwordx4 v[30:33], v[88:89], off offset:32
	v_fmac_f64_e32 v[76:77], v[48:49], v[10:11]
	v_fmac_f64_e32 v[110:111], v[34:35], v[10:11]
	;; [unrolled: 1-line block ×4, first 2 shown]
	v_fma_f64 v[46:47], -v[52:53], v[12:13], v[68:69]
	v_fma_f64 v[48:49], -v[36:37], v[12:13], v[110:111]
	v_fmac_f64_e32 v[72:73], v[34:35], v[12:13]
	global_load_dwordx4 v[34:37], v[62:63], off offset:64
	global_load_dwordx4 v[10:13], v[62:63], off offset:176
	s_waitcnt vmcnt(2)
	v_fmac_f64_e32 v[18:19], v[64:65], v[30:31]
	v_fmac_f64_e32 v[76:77], v[66:67], v[30:31]
	;; [unrolled: 1-line block ×8, first 2 shown]
	v_fma_f64 v[52:53], -v[66:67], v[32:33], v[18:19]
	v_fmac_f64_e32 v[76:77], v[64:65], v[32:33]
	v_fma_f64 v[56:57], -v[56:57], v[32:33], v[46:47]
	v_fmac_f64_e32 v[74:75], v[54:55], v[32:33]
	;; [unrolled: 2-line block ×3, first 2 shown]
	global_load_dwordx4 v[18:21], v[62:63], off offset:160
	v_fma_f64 v[50:51], -v[40:41], v[32:33], v[50:51]
	v_fmac_f64_e32 v[0:1], v[38:39], v[32:33]
	global_load_dwordx4 v[30:33], v[62:63], off offset:144
	global_load_dwordx4 v[38:41], v[88:89], off offset:48
	;; [unrolled: 1-line block ×3, first 2 shown]
	s_waitcnt vmcnt(1)
	v_fmac_f64_e32 v[52:53], v[92:93], v[38:39]
	v_fmac_f64_e32 v[76:77], v[94:95], v[38:39]
	;; [unrolled: 1-line block ×8, first 2 shown]
	v_fma_f64 v[64:65], -v[94:95], v[40:41], v[52:53]
	v_fmac_f64_e32 v[76:77], v[92:93], v[40:41]
	v_fma_f64 v[56:57], -v[44:45], v[40:41], v[56:57]
	v_fmac_f64_e32 v[74:75], v[42:43], v[40:41]
	global_load_dwordx4 v[42:45], v[62:63], off offset:128
	v_fma_f64 v[66:67], -v[28:29], v[40:41], v[54:55]
	v_fmac_f64_e32 v[72:73], v[26:27], v[40:41]
	global_load_dwordx4 v[26:29], v[62:63], off offset:240
	;; [unrolled: 3-line block ×3, first 2 shown]
	global_load_dword v54, v[86:87], off offset:768
	global_load_dwordx4 v[50:53], v[108:109], off
	s_waitcnt vmcnt(1)
	v_subrev_u32_e32 v54, s12, v54
	v_lshlrev_b32_e32 v54, 2, v54
	v_ashrrev_i32_e32 v55, 31, v54
	v_lshl_add_u64 v[92:93], v[54:55], 4, s[6:7]
	global_load_dwordx4 v[58:61], v[92:93], off
	s_waitcnt vmcnt(0)
	v_fmac_f64_e32 v[66:67], v[100:101], v[58:59]
	v_fma_f64 v[86:87], -v[102:103], v[60:61], v[66:67]
	global_load_dwordx4 v[66:69], v[92:93], off offset:16
	v_fmac_f64_e32 v[64:65], v[50:51], v[58:59]
	v_fmac_f64_e32 v[76:77], v[52:53], v[58:59]
	;; [unrolled: 1-line block ×7, first 2 shown]
	v_fma_f64 v[82:83], -v[52:53], v[60:61], v[64:65]
	v_fmac_f64_e32 v[76:77], v[50:51], v[60:61]
	global_load_dwordx4 v[50:53], v[62:63], off offset:192
	v_fma_f64 v[84:85], -v[106:107], v[60:61], v[56:57]
	v_fmac_f64_e32 v[74:75], v[104:105], v[60:61]
	global_load_dwordx4 v[54:57], v[62:63], off offset:224
	v_fmac_f64_e32 v[72:73], v[100:101], v[60:61]
	v_fma_f64 v[88:89], -v[98:99], v[60:61], v[88:89]
	v_fmac_f64_e32 v[0:1], v[96:97], v[60:61]
	global_load_dwordx4 v[62:65], v[92:93], off offset:32
	global_load_dwordx4 v[58:61], v[92:93], off offset:48
	s_waitcnt vmcnt(4)
	v_fmac_f64_e32 v[82:83], v[34:35], v[66:67]
	v_fmac_f64_e32 v[76:77], v[36:37], v[66:67]
	v_fmac_f64_e32 v[84:85], v[22:23], v[66:67]
	v_fmac_f64_e32 v[74:75], v[24:25], v[66:67]
	v_fmac_f64_e32 v[86:87], v[14:15], v[66:67]
	v_fmac_f64_e32 v[72:73], v[16:17], v[66:67]
	v_fmac_f64_e32 v[88:89], v[46:47], v[66:67]
	v_fmac_f64_e32 v[0:1], v[48:49], v[66:67]
	v_fma_f64 v[36:37], -v[36:37], v[68:69], v[82:83]
	v_fmac_f64_e32 v[76:77], v[34:35], v[68:69]
	v_fma_f64 v[24:25], -v[24:25], v[68:69], v[84:85]
	v_fmac_f64_e32 v[74:75], v[22:23], v[68:69]
	v_fma_f64 v[16:17], -v[16:17], v[68:69], v[86:87]
	v_fmac_f64_e32 v[72:73], v[14:15], v[68:69]
	v_fma_f64 v[14:15], -v[48:49], v[68:69], v[88:89]
	v_fmac_f64_e32 v[0:1], v[46:47], v[68:69]
	s_waitcnt vmcnt(1)
	v_fmac_f64_e32 v[36:37], v[42:43], v[62:63]
	v_fmac_f64_e32 v[76:77], v[44:45], v[62:63]
	v_fmac_f64_e32 v[24:25], v[30:31], v[62:63]
	v_fmac_f64_e32 v[74:75], v[32:33], v[62:63]
	v_fmac_f64_e32 v[16:17], v[18:19], v[62:63]
	v_fmac_f64_e32 v[72:73], v[20:21], v[62:63]
	v_fmac_f64_e32 v[14:15], v[10:11], v[62:63]
	v_fmac_f64_e32 v[0:1], v[12:13], v[62:63]
	v_fma_f64 v[22:23], -v[44:45], v[64:65], v[36:37]
	v_fmac_f64_e32 v[76:77], v[42:43], v[64:65]
	v_fma_f64 v[24:25], -v[32:33], v[64:65], v[24:25]
	v_fmac_f64_e32 v[74:75], v[30:31], v[64:65]
	v_fma_f64 v[16:17], -v[20:21], v[64:65], v[16:17]
	v_fmac_f64_e32 v[72:73], v[18:19], v[64:65]
	v_fma_f64 v[12:13], -v[12:13], v[64:65], v[14:15]
	v_fmac_f64_e32 v[0:1], v[10:11], v[64:65]
	;; [unrolled: 17-line block ×3, first 2 shown]
	s_andn2_b64 exec, exec, s[16:17]
	s_cbranch_execnz .LBB19_31
; %bb.32:
	s_or_b64 exec, exec, s[16:17]
.LBB19_33:
	s_or_b64 exec, exec, s[14:15]
.LBB19_34:
	s_or_b64 exec, exec, s[10:11]
.LBB19_35:
	v_mov_b32_dpp v10, v84 row_shr:1 row_mask:0xf bank_mask:0xf
	v_mov_b32_dpp v11, v85 row_shr:1 row_mask:0xf bank_mask:0xf
	v_mov_b32_dpp v14, v76 row_shr:1 row_mask:0xf bank_mask:0xf
	v_mov_b32_dpp v15, v77 row_shr:1 row_mask:0xf bank_mask:0xf
	v_mov_b32_dpp v18, v82 row_shr:1 row_mask:0xf bank_mask:0xf
	v_mov_b32_dpp v19, v83 row_shr:1 row_mask:0xf bank_mask:0xf
	v_mov_b32_dpp v22, v74 row_shr:1 row_mask:0xf bank_mask:0xf
	v_mov_b32_dpp v23, v75 row_shr:1 row_mask:0xf bank_mask:0xf
	v_mov_b32_dpp v26, v68 row_shr:1 row_mask:0xf bank_mask:0xf
	v_mov_b32_dpp v27, v69 row_shr:1 row_mask:0xf bank_mask:0xf
	v_mov_b32_dpp v30, v72 row_shr:1 row_mask:0xf bank_mask:0xf
	v_mov_b32_dpp v31, v73 row_shr:1 row_mask:0xf bank_mask:0xf
	v_mov_b32_dpp v34, v66 row_shr:1 row_mask:0xf bank_mask:0xf
	v_mov_b32_dpp v35, v67 row_shr:1 row_mask:0xf bank_mask:0xf
	v_mov_b32_dpp v38, v0 row_shr:1 row_mask:0xf bank_mask:0xf
	v_mov_b32_dpp v39, v1 row_shr:1 row_mask:0xf bank_mask:0xf
	v_add_f64 v[10:11], v[84:85], v[10:11]
	v_add_f64 v[14:15], v[76:77], v[14:15]
	v_add_f64 v[18:19], v[82:83], v[18:19]
	v_add_f64 v[22:23], v[74:75], v[22:23]
	v_add_f64 v[26:27], v[68:69], v[26:27]
	v_add_f64 v[30:31], v[72:73], v[30:31]
	v_add_f64 v[34:35], v[66:67], v[34:35]
	v_add_f64 v[0:1], v[0:1], v[38:39]
	v_mov_b32_dpp v12, v10 row_shr:2 row_mask:0xf bank_mask:0xf
	v_mov_b32_dpp v13, v11 row_shr:2 row_mask:0xf bank_mask:0xf
	v_mov_b32_dpp v16, v14 row_shr:2 row_mask:0xf bank_mask:0xf
	v_mov_b32_dpp v17, v15 row_shr:2 row_mask:0xf bank_mask:0xf
	v_mov_b32_dpp v20, v18 row_shr:2 row_mask:0xf bank_mask:0xf
	v_mov_b32_dpp v21, v19 row_shr:2 row_mask:0xf bank_mask:0xf
	v_mov_b32_dpp v24, v22 row_shr:2 row_mask:0xf bank_mask:0xf
	v_mov_b32_dpp v25, v23 row_shr:2 row_mask:0xf bank_mask:0xf
	v_mov_b32_dpp v28, v26 row_shr:2 row_mask:0xf bank_mask:0xf
	v_mov_b32_dpp v29, v27 row_shr:2 row_mask:0xf bank_mask:0xf
	v_mov_b32_dpp v32, v30 row_shr:2 row_mask:0xf bank_mask:0xf
	v_mov_b32_dpp v33, v31 row_shr:2 row_mask:0xf bank_mask:0xf
	v_mov_b32_dpp v36, v34 row_shr:2 row_mask:0xf bank_mask:0xf
	v_mov_b32_dpp v37, v35 row_shr:2 row_mask:0xf bank_mask:0xf
	v_mov_b32_dpp v38, v0 row_shr:2 row_mask:0xf bank_mask:0xf
	v_mov_b32_dpp v39, v1 row_shr:2 row_mask:0xf bank_mask:0xf
	v_add_f64 v[10:11], v[10:11], v[12:13]
	v_add_f64 v[14:15], v[14:15], v[16:17]
	v_add_f64 v[18:19], v[18:19], v[20:21]
	v_add_f64 v[22:23], v[22:23], v[24:25]
	v_add_f64 v[26:27], v[26:27], v[28:29]
	v_add_f64 v[30:31], v[30:31], v[32:33]
	v_add_f64 v[34:35], v[34:35], v[36:37]
	v_add_f64 v[0:1], v[0:1], v[38:39]
	v_mov_b32_dpp v12, v10 row_shr:4 row_mask:0xf bank_mask:0xe
	v_mov_b32_dpp v13, v11 row_shr:4 row_mask:0xf bank_mask:0xe
	v_mov_b32_dpp v16, v14 row_shr:4 row_mask:0xf bank_mask:0xe
	v_mov_b32_dpp v17, v15 row_shr:4 row_mask:0xf bank_mask:0xe
	v_mov_b32_dpp v20, v18 row_shr:4 row_mask:0xf bank_mask:0xe
	v_mov_b32_dpp v21, v19 row_shr:4 row_mask:0xf bank_mask:0xe
	v_mov_b32_dpp v24, v22 row_shr:4 row_mask:0xf bank_mask:0xe
	v_mov_b32_dpp v25, v23 row_shr:4 row_mask:0xf bank_mask:0xe
	v_mov_b32_dpp v28, v26 row_shr:4 row_mask:0xf bank_mask:0xe
	v_mov_b32_dpp v29, v27 row_shr:4 row_mask:0xf bank_mask:0xe
	v_mov_b32_dpp v32, v30 row_shr:4 row_mask:0xf bank_mask:0xe
	v_mov_b32_dpp v33, v31 row_shr:4 row_mask:0xf bank_mask:0xe
	v_mov_b32_dpp v36, v34 row_shr:4 row_mask:0xf bank_mask:0xe
	v_mov_b32_dpp v37, v35 row_shr:4 row_mask:0xf bank_mask:0xe
	v_mov_b32_dpp v38, v0 row_shr:4 row_mask:0xf bank_mask:0xe
	v_mov_b32_dpp v39, v1 row_shr:4 row_mask:0xf bank_mask:0xe
	v_add_f64 v[10:11], v[10:11], v[12:13]
	v_add_f64 v[14:15], v[14:15], v[16:17]
	v_add_f64 v[18:19], v[18:19], v[20:21]
	v_add_f64 v[22:23], v[22:23], v[24:25]
	v_add_f64 v[26:27], v[26:27], v[28:29]
	v_add_f64 v[30:31], v[30:31], v[32:33]
	v_add_f64 v[34:35], v[34:35], v[36:37]
	v_add_f64 v[0:1], v[0:1], v[38:39]
	v_mov_b32_dpp v12, v10 row_shr:8 row_mask:0xf bank_mask:0xc
	v_mov_b32_dpp v13, v11 row_shr:8 row_mask:0xf bank_mask:0xc
	v_mov_b32_dpp v16, v14 row_shr:8 row_mask:0xf bank_mask:0xc
	v_mov_b32_dpp v17, v15 row_shr:8 row_mask:0xf bank_mask:0xc
	v_mov_b32_dpp v20, v18 row_shr:8 row_mask:0xf bank_mask:0xc
	v_mov_b32_dpp v21, v19 row_shr:8 row_mask:0xf bank_mask:0xc
	v_mov_b32_dpp v24, v22 row_shr:8 row_mask:0xf bank_mask:0xc
	v_mov_b32_dpp v25, v23 row_shr:8 row_mask:0xf bank_mask:0xc
	v_mov_b32_dpp v28, v26 row_shr:8 row_mask:0xf bank_mask:0xc
	v_mov_b32_dpp v29, v27 row_shr:8 row_mask:0xf bank_mask:0xc
	v_mov_b32_dpp v32, v30 row_shr:8 row_mask:0xf bank_mask:0xc
	v_mov_b32_dpp v33, v31 row_shr:8 row_mask:0xf bank_mask:0xc
	v_mov_b32_dpp v36, v34 row_shr:8 row_mask:0xf bank_mask:0xc
	v_mov_b32_dpp v37, v35 row_shr:8 row_mask:0xf bank_mask:0xc
	v_mov_b32_dpp v38, v0 row_shr:8 row_mask:0xf bank_mask:0xc
	v_mov_b32_dpp v39, v1 row_shr:8 row_mask:0xf bank_mask:0xc
	v_add_f64 v[10:11], v[10:11], v[12:13]
	v_add_f64 v[14:15], v[14:15], v[16:17]
	v_add_f64 v[18:19], v[18:19], v[20:21]
	v_add_f64 v[22:23], v[22:23], v[24:25]
	v_add_f64 v[26:27], v[26:27], v[28:29]
	v_add_f64 v[30:31], v[30:31], v[32:33]
	v_add_f64 v[34:35], v[34:35], v[36:37]
	v_add_f64 v[0:1], v[0:1], v[38:39]
	v_mov_b32_dpp v12, v10 row_bcast:15 row_mask:0xa bank_mask:0xf
	v_mov_b32_dpp v13, v11 row_bcast:15 row_mask:0xa bank_mask:0xf
	;; [unrolled: 1-line block ×16, first 2 shown]
	v_add_f64 v[10:11], v[10:11], v[12:13]
	v_add_f64 v[14:15], v[14:15], v[16:17]
	;; [unrolled: 1-line block ×8, first 2 shown]
	v_mov_b32_dpp v12, v10 row_bcast:31 row_mask:0xc bank_mask:0xf
	v_mov_b32_dpp v13, v11 row_bcast:31 row_mask:0xc bank_mask:0xf
	;; [unrolled: 1-line block ×16, first 2 shown]
	v_cmp_eq_u32_e32 vcc, 63, v71
	s_and_b64 exec, exec, vcc
	s_cbranch_execz .LBB19_8
; %bb.36:
	s_load_dwordx2 s[2:3], s[0:1], 0x60
	v_add_f64 v[40:41], v[10:11], v[12:13]
	v_add_f64 v[10:11], v[14:15], v[16:17]
	;; [unrolled: 1-line block ×8, first 2 shown]
	v_cmp_eq_f64_e32 vcc, 0, v[2:3]
	v_cmp_eq_f64_e64 s[0:1], 0, v[4:5]
	v_mul_f64 v[22:23], v[10:11], -v[8:9]
	v_mul_f64 v[24:25], v[6:7], v[10:11]
	v_mul_f64 v[18:19], v[12:13], -v[8:9]
	v_mul_f64 v[20:21], v[6:7], v[12:13]
	;; [unrolled: 2-line block ×4, first 2 shown]
	s_and_b64 s[0:1], vcc, s[0:1]
	v_fmac_f64_e32 v[22:23], v[6:7], v[40:41]
	v_fmac_f64_e32 v[24:25], v[8:9], v[40:41]
	v_lshlrev_b32_e32 v0, 2, v70
	v_fmac_f64_e32 v[18:19], v[6:7], v[42:43]
	v_fmac_f64_e32 v[20:21], v[8:9], v[42:43]
	;; [unrolled: 1-line block ×6, first 2 shown]
	s_and_saveexec_b64 s[4:5], s[0:1]
	s_xor_b64 s[0:1], exec, s[4:5]
	s_cbranch_execz .LBB19_38
; %bb.37:
	v_ashrrev_i32_e32 v1, 31, v0
	s_waitcnt lgkmcnt(0)
	v_lshl_add_u64 v[0:1], v[0:1], 4, s[2:3]
	global_store_dwordx4 v[0:1], v[22:25], off
	global_store_dwordx4 v[0:1], v[18:21], off offset:16
	global_store_dwordx4 v[0:1], v[14:17], off offset:32
	;; [unrolled: 1-line block ×3, first 2 shown]
                                        ; implicit-def: $vgpr4_vgpr5
                                        ; implicit-def: $vgpr22_vgpr23
                                        ; implicit-def: $vgpr0
                                        ; implicit-def: $vgpr18_vgpr19
                                        ; implicit-def: $vgpr14_vgpr15
                                        ; implicit-def: $vgpr10_vgpr11
.LBB19_38:
	s_andn2_saveexec_b64 s[0:1], s[0:1]
	s_cbranch_execz .LBB19_8
; %bb.39:
	v_ashrrev_i32_e32 v1, 31, v0
	s_waitcnt lgkmcnt(0)
	v_lshl_add_u64 v[0:1], v[0:1], 4, s[2:3]
	global_load_dwordx4 v[6:9], v[0:1], off
	global_load_dwordx4 v[26:29], v[0:1], off offset:16
	global_load_dwordx4 v[30:33], v[0:1], off offset:32
	;; [unrolled: 1-line block ×3, first 2 shown]
	s_waitcnt vmcnt(3)
	v_fmac_f64_e32 v[22:23], v[2:3], v[6:7]
	v_fmac_f64_e32 v[24:25], v[4:5], v[6:7]
	s_waitcnt vmcnt(2)
	v_fmac_f64_e32 v[18:19], v[2:3], v[26:27]
	v_fmac_f64_e32 v[20:21], v[4:5], v[26:27]
	;; [unrolled: 3-line block ×4, first 2 shown]
	v_fma_f64 v[22:23], -v[4:5], v[8:9], v[22:23]
	v_fmac_f64_e32 v[24:25], v[2:3], v[8:9]
	v_fma_f64 v[18:19], -v[4:5], v[28:29], v[18:19]
	v_fmac_f64_e32 v[20:21], v[2:3], v[28:29]
	;; [unrolled: 2-line block ×4, first 2 shown]
	global_store_dwordx4 v[0:1], v[22:25], off
	global_store_dwordx4 v[0:1], v[18:21], off offset:16
	global_store_dwordx4 v[0:1], v[14:17], off offset:32
	;; [unrolled: 1-line block ×3, first 2 shown]
	s_endpgm
	.section	.rodata,"a",@progbits
	.p2align	6, 0x0
	.amdhsa_kernel _ZN9rocsparseL18bsrxmvn_4x4_kernelILj128ELj64E21rocsparse_complex_numIdEiiS2_S2_S2_EEvT3_20rocsparse_direction_NS_24const_host_device_scalarIT1_EES3_PKS3_PKT2_SC_S9_PKT4_PKT5_S7_PT6_21rocsparse_index_base_b
		.amdhsa_group_segment_fixed_size 0
		.amdhsa_private_segment_fixed_size 0
		.amdhsa_kernarg_size 112
		.amdhsa_user_sgpr_count 2
		.amdhsa_user_sgpr_dispatch_ptr 0
		.amdhsa_user_sgpr_queue_ptr 0
		.amdhsa_user_sgpr_kernarg_segment_ptr 1
		.amdhsa_user_sgpr_dispatch_id 0
		.amdhsa_user_sgpr_kernarg_preload_length 0
		.amdhsa_user_sgpr_kernarg_preload_offset 0
		.amdhsa_user_sgpr_private_segment_size 0
		.amdhsa_uses_dynamic_stack 0
		.amdhsa_enable_private_segment 0
		.amdhsa_system_sgpr_workgroup_id_x 1
		.amdhsa_system_sgpr_workgroup_id_y 0
		.amdhsa_system_sgpr_workgroup_id_z 0
		.amdhsa_system_sgpr_workgroup_info 0
		.amdhsa_system_vgpr_workitem_id 0
		.amdhsa_next_free_vgpr 116
		.amdhsa_next_free_sgpr 28
		.amdhsa_accum_offset 116
		.amdhsa_reserve_vcc 1
		.amdhsa_float_round_mode_32 0
		.amdhsa_float_round_mode_16_64 0
		.amdhsa_float_denorm_mode_32 3
		.amdhsa_float_denorm_mode_16_64 3
		.amdhsa_dx10_clamp 1
		.amdhsa_ieee_mode 1
		.amdhsa_fp16_overflow 0
		.amdhsa_tg_split 0
		.amdhsa_exception_fp_ieee_invalid_op 0
		.amdhsa_exception_fp_denorm_src 0
		.amdhsa_exception_fp_ieee_div_zero 0
		.amdhsa_exception_fp_ieee_overflow 0
		.amdhsa_exception_fp_ieee_underflow 0
		.amdhsa_exception_fp_ieee_inexact 0
		.amdhsa_exception_int_div_zero 0
	.end_amdhsa_kernel
	.section	.text._ZN9rocsparseL18bsrxmvn_4x4_kernelILj128ELj64E21rocsparse_complex_numIdEiiS2_S2_S2_EEvT3_20rocsparse_direction_NS_24const_host_device_scalarIT1_EES3_PKS3_PKT2_SC_S9_PKT4_PKT5_S7_PT6_21rocsparse_index_base_b,"axG",@progbits,_ZN9rocsparseL18bsrxmvn_4x4_kernelILj128ELj64E21rocsparse_complex_numIdEiiS2_S2_S2_EEvT3_20rocsparse_direction_NS_24const_host_device_scalarIT1_EES3_PKS3_PKT2_SC_S9_PKT4_PKT5_S7_PT6_21rocsparse_index_base_b,comdat
.Lfunc_end19:
	.size	_ZN9rocsparseL18bsrxmvn_4x4_kernelILj128ELj64E21rocsparse_complex_numIdEiiS2_S2_S2_EEvT3_20rocsparse_direction_NS_24const_host_device_scalarIT1_EES3_PKS3_PKT2_SC_S9_PKT4_PKT5_S7_PT6_21rocsparse_index_base_b, .Lfunc_end19-_ZN9rocsparseL18bsrxmvn_4x4_kernelILj128ELj64E21rocsparse_complex_numIdEiiS2_S2_S2_EEvT3_20rocsparse_direction_NS_24const_host_device_scalarIT1_EES3_PKS3_PKT2_SC_S9_PKT4_PKT5_S7_PT6_21rocsparse_index_base_b
                                        ; -- End function
	.set _ZN9rocsparseL18bsrxmvn_4x4_kernelILj128ELj64E21rocsparse_complex_numIdEiiS2_S2_S2_EEvT3_20rocsparse_direction_NS_24const_host_device_scalarIT1_EES3_PKS3_PKT2_SC_S9_PKT4_PKT5_S7_PT6_21rocsparse_index_base_b.num_vgpr, 116
	.set _ZN9rocsparseL18bsrxmvn_4x4_kernelILj128ELj64E21rocsparse_complex_numIdEiiS2_S2_S2_EEvT3_20rocsparse_direction_NS_24const_host_device_scalarIT1_EES3_PKS3_PKT2_SC_S9_PKT4_PKT5_S7_PT6_21rocsparse_index_base_b.num_agpr, 0
	.set _ZN9rocsparseL18bsrxmvn_4x4_kernelILj128ELj64E21rocsparse_complex_numIdEiiS2_S2_S2_EEvT3_20rocsparse_direction_NS_24const_host_device_scalarIT1_EES3_PKS3_PKT2_SC_S9_PKT4_PKT5_S7_PT6_21rocsparse_index_base_b.numbered_sgpr, 28
	.set _ZN9rocsparseL18bsrxmvn_4x4_kernelILj128ELj64E21rocsparse_complex_numIdEiiS2_S2_S2_EEvT3_20rocsparse_direction_NS_24const_host_device_scalarIT1_EES3_PKS3_PKT2_SC_S9_PKT4_PKT5_S7_PT6_21rocsparse_index_base_b.num_named_barrier, 0
	.set _ZN9rocsparseL18bsrxmvn_4x4_kernelILj128ELj64E21rocsparse_complex_numIdEiiS2_S2_S2_EEvT3_20rocsparse_direction_NS_24const_host_device_scalarIT1_EES3_PKS3_PKT2_SC_S9_PKT4_PKT5_S7_PT6_21rocsparse_index_base_b.private_seg_size, 0
	.set _ZN9rocsparseL18bsrxmvn_4x4_kernelILj128ELj64E21rocsparse_complex_numIdEiiS2_S2_S2_EEvT3_20rocsparse_direction_NS_24const_host_device_scalarIT1_EES3_PKS3_PKT2_SC_S9_PKT4_PKT5_S7_PT6_21rocsparse_index_base_b.uses_vcc, 1
	.set _ZN9rocsparseL18bsrxmvn_4x4_kernelILj128ELj64E21rocsparse_complex_numIdEiiS2_S2_S2_EEvT3_20rocsparse_direction_NS_24const_host_device_scalarIT1_EES3_PKS3_PKT2_SC_S9_PKT4_PKT5_S7_PT6_21rocsparse_index_base_b.uses_flat_scratch, 0
	.set _ZN9rocsparseL18bsrxmvn_4x4_kernelILj128ELj64E21rocsparse_complex_numIdEiiS2_S2_S2_EEvT3_20rocsparse_direction_NS_24const_host_device_scalarIT1_EES3_PKS3_PKT2_SC_S9_PKT4_PKT5_S7_PT6_21rocsparse_index_base_b.has_dyn_sized_stack, 0
	.set _ZN9rocsparseL18bsrxmvn_4x4_kernelILj128ELj64E21rocsparse_complex_numIdEiiS2_S2_S2_EEvT3_20rocsparse_direction_NS_24const_host_device_scalarIT1_EES3_PKS3_PKT2_SC_S9_PKT4_PKT5_S7_PT6_21rocsparse_index_base_b.has_recursion, 0
	.set _ZN9rocsparseL18bsrxmvn_4x4_kernelILj128ELj64E21rocsparse_complex_numIdEiiS2_S2_S2_EEvT3_20rocsparse_direction_NS_24const_host_device_scalarIT1_EES3_PKS3_PKT2_SC_S9_PKT4_PKT5_S7_PT6_21rocsparse_index_base_b.has_indirect_call, 0
	.section	.AMDGPU.csdata,"",@progbits
; Kernel info:
; codeLenInByte = 8180
; TotalNumSgprs: 34
; NumVgprs: 116
; NumAgprs: 0
; TotalNumVgprs: 116
; ScratchSize: 0
; MemoryBound: 1
; FloatMode: 240
; IeeeMode: 1
; LDSByteSize: 0 bytes/workgroup (compile time only)
; SGPRBlocks: 4
; VGPRBlocks: 14
; NumSGPRsForWavesPerEU: 34
; NumVGPRsForWavesPerEU: 116
; AccumOffset: 116
; Occupancy: 4
; WaveLimiterHint : 1
; COMPUTE_PGM_RSRC2:SCRATCH_EN: 0
; COMPUTE_PGM_RSRC2:USER_SGPR: 2
; COMPUTE_PGM_RSRC2:TRAP_HANDLER: 0
; COMPUTE_PGM_RSRC2:TGID_X_EN: 1
; COMPUTE_PGM_RSRC2:TGID_Y_EN: 0
; COMPUTE_PGM_RSRC2:TGID_Z_EN: 0
; COMPUTE_PGM_RSRC2:TIDIG_COMP_CNT: 0
; COMPUTE_PGM_RSRC3_GFX90A:ACCUM_OFFSET: 28
; COMPUTE_PGM_RSRC3_GFX90A:TG_SPLIT: 0
	.section	.text._ZN9rocsparseL18bsrxmvn_4x4_kernelILj128ELj4EflifffEEvT3_20rocsparse_direction_NS_24const_host_device_scalarIT1_EES1_PKS1_PKT2_SA_S7_PKT4_PKT5_S5_PT6_21rocsparse_index_base_b,"axG",@progbits,_ZN9rocsparseL18bsrxmvn_4x4_kernelILj128ELj4EflifffEEvT3_20rocsparse_direction_NS_24const_host_device_scalarIT1_EES1_PKS1_PKT2_SA_S7_PKT4_PKT5_S5_PT6_21rocsparse_index_base_b,comdat
	.globl	_ZN9rocsparseL18bsrxmvn_4x4_kernelILj128ELj4EflifffEEvT3_20rocsparse_direction_NS_24const_host_device_scalarIT1_EES1_PKS1_PKT2_SA_S7_PKT4_PKT5_S5_PT6_21rocsparse_index_base_b ; -- Begin function _ZN9rocsparseL18bsrxmvn_4x4_kernelILj128ELj4EflifffEEvT3_20rocsparse_direction_NS_24const_host_device_scalarIT1_EES1_PKS1_PKT2_SA_S7_PKT4_PKT5_S5_PT6_21rocsparse_index_base_b
	.p2align	8
	.type	_ZN9rocsparseL18bsrxmvn_4x4_kernelILj128ELj4EflifffEEvT3_20rocsparse_direction_NS_24const_host_device_scalarIT1_EES1_PKS1_PKT2_SA_S7_PKT4_PKT5_S5_PT6_21rocsparse_index_base_b,@function
_ZN9rocsparseL18bsrxmvn_4x4_kernelILj128ELj4EflifffEEvT3_20rocsparse_direction_NS_24const_host_device_scalarIT1_EES1_PKS1_PKT2_SA_S7_PKT4_PKT5_S5_PT6_21rocsparse_index_base_b: ; @_ZN9rocsparseL18bsrxmvn_4x4_kernelILj128ELj4EflifffEEvT3_20rocsparse_direction_NS_24const_host_device_scalarIT1_EES1_PKS1_PKT2_SA_S7_PKT4_PKT5_S5_PT6_21rocsparse_index_base_b
; %bb.0:
	s_load_dwordx2 s[16:17], s[0:1], 0x58
	s_load_dwordx2 s[12:13], s[0:1], 0x8
	;; [unrolled: 1-line block ×3, first 2 shown]
	s_waitcnt lgkmcnt(0)
	s_bitcmp1_b32 s17, 0
	s_cselect_b64 s[6:7], -1, 0
	s_xor_b64 s[4:5], s[6:7], -1
	s_and_b64 vcc, exec, s[6:7]
	s_cbranch_vccnz .LBB20_2
; %bb.1:
	s_load_dword s12, s[12:13], 0x0
.LBB20_2:
	s_andn2_b64 vcc, exec, s[4:5]
	s_cbranch_vccnz .LBB20_4
; %bb.3:
	s_load_dword s14, s[14:15], 0x0
.LBB20_4:
	s_waitcnt lgkmcnt(0)
	v_cmp_neq_f32_e64 s[4:5], s12, 0
	v_cmp_neq_f32_e64 s[6:7], s14, 1.0
	s_or_b64 s[4:5], s[4:5], s[6:7]
	s_andn2_b64 vcc, exec, s[4:5]
	s_cbranch_vccnz .LBB20_10
; %bb.5:
	s_load_dwordx2 s[4:5], s[0:1], 0x18
	s_load_dwordx2 s[18:19], s[0:1], 0x0
	v_lshrrev_b32_e32 v1, 2, v0
	v_lshl_or_b32 v2, s2, 5, v1
	s_mov_b64 s[2:3], 0
	s_waitcnt lgkmcnt(0)
	s_cmp_lg_u64 s[4:5], 0
	s_cbranch_scc0 .LBB20_11
; %bb.6:
	s_load_dword s6, s[0:1], 0x10
                                        ; implicit-def: $vgpr1
	s_waitcnt lgkmcnt(0)
	v_cmp_gt_i32_e32 vcc, s6, v2
	s_and_saveexec_b64 s[6:7], vcc
	s_xor_b64 s[6:7], exec, s[6:7]
	s_cbranch_execz .LBB20_8
; %bb.7:
	v_ashrrev_i32_e32 v3, 31, v2
	v_lshl_add_u64 v[4:5], v[2:3], 2, s[4:5]
	global_load_dword v1, v[4:5], off
	s_mov_b64 s[2:3], exec
	s_waitcnt vmcnt(0)
	v_subrev_u32_e32 v1, s16, v1
.LBB20_8:
	s_or_b64 exec, exec, s[6:7]
	s_branch .LBB20_12
.LBB20_9:
	v_cmp_gt_i32_e32 vcc, s18, v2
	s_andn2_b64 s[2:3], s[2:3], exec
	s_and_b64 s[4:5], vcc, exec
	s_or_b64 s[2:3], s[2:3], s[4:5]
	s_and_saveexec_b64 s[4:5], s[2:3]
	s_cbranch_execnz .LBB20_13
.LBB20_10:
	s_endpgm
.LBB20_11:
                                        ; implicit-def: $vgpr1
	s_cbranch_execnz .LBB20_9
.LBB20_12:
	v_mov_b32_e32 v2, v1
	s_and_saveexec_b64 s[4:5], s[2:3]
	s_cbranch_execz .LBB20_10
.LBB20_13:
	s_load_dwordx8 s[4:11], s[0:1], 0x20
	v_ashrrev_i32_e32 v3, 31, v2
	v_lshlrev_b64 v[4:5], 3, v[2:3]
	v_and_b32_e32 v0, 3, v0
	v_mov_b32_e32 v1, 0
	s_waitcnt lgkmcnt(0)
	v_lshl_add_u64 v[6:7], s[4:5], 0, v[4:5]
	s_cmp_eq_u64 s[6:7], 0
	v_lshl_add_u64 v[4:5], s[6:7], 0, v[4:5]
	global_load_dwordx2 v[14:15], v[6:7], off
	v_lshl_add_u64 v[6:7], v[6:7], 0, 8
	s_cselect_b64 vcc, -1, 0
	v_cndmask_b32_e32 v5, v5, v7, vcc
	v_cndmask_b32_e32 v4, v4, v6, vcc
	global_load_dwordx2 v[6:7], v[4:5], off
	s_load_dwordx2 s[4:5], s[0:1], 0x40
	s_cmp_eq_u32 s19, 1
	s_waitcnt vmcnt(1)
	v_subrev_co_u32_e32 v4, vcc, s16, v14
	s_nop 1
	v_subbrev_co_u32_e32 v5, vcc, 0, v15, vcc
	v_lshl_add_u64 v[4:5], v[4:5], 0, v[0:1]
	s_waitcnt vmcnt(0)
	v_subrev_co_u32_e32 v6, vcc, s16, v6
	v_lshlrev_b64 v[8:9], 6, v[4:5]
	s_nop 0
	v_subbrev_co_u32_e32 v7, vcc, 0, v7, vcc
	v_lshl_add_u64 v[8:9], s[10:11], 0, v[8:9]
	v_cmp_lt_i64_e64 s[2:3], v[4:5], v[6:7]
	s_cbranch_scc1 .LBB20_25
; %bb.14:
	v_mov_b32_e32 v12, v1
	v_mov_b32_e32 v11, v1
	;; [unrolled: 1-line block ×3, first 2 shown]
	s_and_saveexec_b64 s[6:7], s[2:3]
	s_cbranch_execz .LBB20_24
; %bb.15:
	v_or_b32_e32 v1, 4, v0
	v_subrev_co_u32_e32 v10, vcc, s16, v1
	v_not_b32_e32 v13, v15
	s_nop 0
	v_subb_co_u32_e64 v11, s[10:11], 0, 0, vcc
	v_lshl_add_u64 v[10:11], v[10:11], 0, v[14:15]
	v_cmp_gt_i64_e32 vcc, v[10:11], v[6:7]
	v_not_b32_e32 v12, v14
	v_mov_b64_e32 v[18:19], v[8:9]
	v_cndmask_b32_e32 v11, v7, v11, vcc
	v_cndmask_b32_e32 v10, v6, v10, vcc
	v_sub_co_u32_e32 v16, vcc, s16, v0
	s_nop 1
	v_subb_co_u32_e64 v17, s[10:11], 0, 0, vcc
	v_lshl_add_u64 v[12:13], v[16:17], 0, v[12:13]
	v_lshl_add_u64 v[20:21], v[12:13], 0, v[10:11]
	v_and_b32_e32 v10, 12, v20
	v_mov_b32_e32 v11, 0
	v_cmp_ne_u64_e32 vcc, 12, v[10:11]
	v_mov_b32_e32 v10, v11
	v_mov_b32_e32 v12, v11
	;; [unrolled: 1-line block ×3, first 2 shown]
	v_mov_b64_e32 v[16:17], v[4:5]
	s_and_saveexec_b64 s[10:11], vcc
	s_cbranch_execz .LBB20_19
; %bb.16:
	v_lshrrev_b32_e32 v1, 2, v20
	v_add_u32_e32 v1, 1, v1
	v_and_b32_e32 v1, 3, v1
	v_sub_co_u32_e32 v24, vcc, 0, v1
	v_mov_b32_e32 v10, 0
	s_nop 0
	v_subb_co_u32_e64 v25, s[20:21], 0, 0, vcc
	v_lshl_add_u64 v[22:23], v[4:5], 2, s[8:9]
	s_mov_b64 s[18:19], 0
	s_mov_b64 s[20:21], 0x100
	v_mov_b64_e32 v[18:19], v[8:9]
	v_mov_b64_e32 v[16:17], v[4:5]
	v_mov_b32_e32 v11, v10
	v_mov_b32_e32 v12, v10
	;; [unrolled: 1-line block ×3, first 2 shown]
.LBB20_17:                              ; =>This Inner Loop Header: Depth=1
	global_load_dword v1, v[22:23], off
	global_load_dwordx4 v[40:43], v[18:19], off
	global_load_dwordx4 v[26:29], v[18:19], off offset:16
	global_load_dwordx4 v[44:47], v[18:19], off offset:32
	;; [unrolled: 1-line block ×3, first 2 shown]
	v_lshl_add_u64 v[24:25], v[24:25], 0, 1
	v_cmp_eq_u64_e32 vcc, 0, v[24:25]
	v_lshl_add_u64 v[18:19], v[18:19], 0, s[20:21]
	v_lshl_add_u64 v[16:17], v[16:17], 0, 4
	v_lshl_add_u64 v[22:23], v[22:23], 0, 16
	s_or_b64 s[18:19], vcc, s[18:19]
	s_waitcnt vmcnt(4)
	v_subrev_u32_e32 v1, s16, v1
	v_lshlrev_b32_e32 v34, 2, v1
	v_ashrrev_i32_e32 v35, 31, v34
	s_waitcnt lgkmcnt(0)
	v_lshl_add_u64 v[34:35], v[34:35], 2, s[4:5]
	global_load_dwordx4 v[34:37], v[34:35], off
	s_waitcnt vmcnt(4)
	v_mov_b32_e32 v38, v40
	s_waitcnt vmcnt(3)
	v_mov_b32_e32 v39, v26
	v_mov_b32_e32 v26, v41
	;; [unrolled: 1-line block ×5, first 2 shown]
	s_waitcnt vmcnt(2)
	v_mov_b32_e32 v42, v44
	s_waitcnt vmcnt(1)
	v_mov_b32_e32 v43, v30
	v_mov_b32_e32 v30, v45
	;; [unrolled: 1-line block ×5, first 2 shown]
	s_waitcnt vmcnt(0)
	v_pk_fma_f32 v[10:11], v[38:39], v[34:35], v[10:11] op_sel_hi:[1,0,1]
	v_pk_fma_f32 v[12:13], v[42:43], v[34:35], v[12:13] op_sel_hi:[1,0,1]
	v_pk_fma_f32 v[10:11], v[26:27], v[34:35], v[10:11] op_sel:[0,1,0]
	v_pk_fma_f32 v[12:13], v[30:31], v[34:35], v[12:13] op_sel:[0,1,0]
	v_mov_b32_e32 v38, v37
	v_pk_fma_f32 v[10:11], v[40:41], v[36:37], v[10:11] op_sel_hi:[1,0,1]
	v_pk_fma_f32 v[12:13], v[44:45], v[36:37], v[12:13] op_sel_hi:[1,0,1]
	;; [unrolled: 1-line block ×4, first 2 shown]
	s_andn2_b64 exec, exec, s[18:19]
	s_cbranch_execnz .LBB20_17
; %bb.18:
	s_or_b64 exec, exec, s[18:19]
.LBB20_19:
	s_or_b64 exec, exec, s[10:11]
	v_cmp_lt_u64_e32 vcc, 11, v[20:21]
	s_and_saveexec_b64 s[10:11], vcc
	s_cbranch_execz .LBB20_23
; %bb.20:
	v_lshl_add_u64 v[20:21], v[16:17], 2, s[8:9]
	v_lshl_add_u64 v[20:21], v[20:21], 0, 32
	s_mov_b64 s[18:19], 0
	s_mov_b64 s[20:21], 0x400
.LBB20_21:                              ; =>This Inner Loop Header: Depth=1
	global_load_dword v1, v[20:21], off offset:-32
	global_load_dword v3, v[20:21], off offset:-16
	global_load_dword v54, v[20:21], off
	global_load_dword v55, v[20:21], off offset:16
	global_load_dwordx4 v[80:83], v[18:19], off
	global_load_dwordx4 v[22:25], v[18:19], off offset:16
	global_load_dwordx4 v[84:87], v[18:19], off offset:32
	;; [unrolled: 1-line block ×15, first 2 shown]
	v_lshl_add_u64 v[16:17], v[16:17], 0, 16
	v_cmp_ge_i64_e32 vcc, v[16:17], v[6:7]
	v_lshl_add_u64 v[20:21], v[20:21], 0, 64
	v_lshl_add_u64 v[18:19], v[18:19], 0, s[20:21]
	s_or_b64 s[18:19], vcc, s[18:19]
	s_waitcnt vmcnt(19)
	v_subrev_u32_e32 v1, s16, v1
	s_waitcnt vmcnt(18)
	v_subrev_u32_e32 v3, s16, v3
	s_waitcnt vmcnt(17)
	v_subrev_u32_e32 v57, s16, v54
	s_waitcnt vmcnt(16)
	v_subrev_u32_e32 v55, s16, v55
	v_lshlrev_b32_e32 v54, 2, v1
	v_lshlrev_b32_e32 v56, 2, v3
	;; [unrolled: 1-line block ×4, first 2 shown]
	v_ashrrev_i32_e32 v55, 31, v54
	v_ashrrev_i32_e32 v57, 31, v56
	;; [unrolled: 1-line block ×4, first 2 shown]
	s_waitcnt lgkmcnt(0)
	v_lshl_add_u64 v[72:73], v[54:55], 2, s[4:5]
	v_lshl_add_u64 v[74:75], v[56:57], 2, s[4:5]
	;; [unrolled: 1-line block ×4, first 2 shown]
	global_load_dwordx4 v[54:57], v[72:73], off
	global_load_dwordx4 v[58:61], v[74:75], off
	;; [unrolled: 1-line block ×4, first 2 shown]
	s_waitcnt vmcnt(19)
	v_mov_b32_e32 v70, v80
	s_waitcnt vmcnt(18)
	v_mov_b32_e32 v71, v22
	;; [unrolled: 2-line block ×4, first 2 shown]
	v_mov_b32_e32 v22, v81
	v_mov_b32_e32 v26, v85
	;; [unrolled: 1-line block ×8, first 2 shown]
	s_waitcnt vmcnt(12)
	v_mov_b32_e32 v78, v92
	v_mov_b32_e32 v79, v34
	v_mov_b32_e32 v84, v88
	v_mov_b32_e32 v85, v30
	v_mov_b32_e32 v34, v93
	v_mov_b32_e32 v30, v89
	v_mov_b32_e32 v80, v94
	v_mov_b32_e32 v81, v36
	v_mov_b32_e32 v86, v90
	v_mov_b32_e32 v87, v32
	v_mov_b32_e32 v36, v95
	v_mov_b32_e32 v32, v91
	s_waitcnt vmcnt(8)
	v_mov_b32_e32 v82, v100
	v_mov_b32_e32 v83, v42
	;; [unrolled: 1-line block ×9, first 2 shown]
	s_waitcnt vmcnt(4)
	v_mov_b32_e32 v92, v108
	v_mov_b32_e32 v93, v50
	;; [unrolled: 1-line block ×3, first 2 shown]
	s_waitcnt vmcnt(3)
	v_pk_fma_f32 v[10:11], v[70:71], v[54:55], v[10:11] op_sel_hi:[1,0,1]
	v_pk_fma_f32 v[12:13], v[74:75], v[54:55], v[12:13] op_sel_hi:[1,0,1]
	v_pk_fma_f32 v[10:11], v[22:23], v[54:55], v[10:11] op_sel:[0,1,0]
	v_pk_fma_f32 v[12:13], v[26:27], v[54:55], v[12:13] op_sel:[0,1,0]
	v_pk_fma_f32 v[10:11], v[72:73], v[56:57], v[10:11] op_sel_hi:[1,0,1]
	v_pk_fma_f32 v[12:13], v[76:77], v[56:57], v[12:13] op_sel_hi:[1,0,1]
	v_mov_b32_e32 v54, v57
	v_pk_fma_f32 v[10:11], v[24:25], v[54:55], v[10:11] op_sel_hi:[1,0,1]
	v_pk_fma_f32 v[12:13], v[28:29], v[54:55], v[12:13] op_sel_hi:[1,0,1]
	s_waitcnt vmcnt(2)
	v_pk_fma_f32 v[10:11], v[78:79], v[58:59], v[10:11] op_sel_hi:[1,0,1]
	v_pk_fma_f32 v[12:13], v[84:85], v[58:59], v[12:13] op_sel_hi:[1,0,1]
	v_pk_fma_f32 v[10:11], v[34:35], v[58:59], v[10:11] op_sel:[0,1,0]
	v_pk_fma_f32 v[12:13], v[30:31], v[58:59], v[12:13] op_sel:[0,1,0]
	v_mov_b32_e32 v56, v61
	v_pk_fma_f32 v[10:11], v[80:81], v[60:61], v[10:11] op_sel_hi:[1,0,1]
	v_pk_fma_f32 v[12:13], v[86:87], v[60:61], v[12:13] op_sel_hi:[1,0,1]
	;; [unrolled: 1-line block ×4, first 2 shown]
	s_waitcnt vmcnt(1)
	v_pk_fma_f32 v[10:11], v[82:83], v[62:63], v[10:11] op_sel_hi:[1,0,1]
	v_pk_fma_f32 v[12:13], v[88:89], v[62:63], v[12:13] op_sel_hi:[1,0,1]
	v_mov_b32_e32 v74, v98
	v_mov_b32_e32 v75, v40
	v_pk_fma_f32 v[10:11], v[42:43], v[62:63], v[10:11] op_sel:[0,1,0]
	v_pk_fma_f32 v[12:13], v[38:39], v[62:63], v[12:13] op_sel:[0,1,0]
	v_mov_b32_e32 v40, v99
	v_mov_b32_e32 v24, v65
	v_pk_fma_f32 v[10:11], v[90:91], v[64:65], v[10:11] op_sel_hi:[1,0,1]
	v_pk_fma_f32 v[12:13], v[74:75], v[64:65], v[12:13] op_sel_hi:[1,0,1]
	v_mov_b32_e32 v22, v104
	v_mov_b32_e32 v23, v46
	v_pk_fma_f32 v[10:11], v[44:45], v[24:25], v[10:11] op_sel_hi:[1,0,1]
	v_pk_fma_f32 v[12:13], v[40:41], v[24:25], v[12:13] op_sel_hi:[1,0,1]
	v_mov_b32_e32 v46, v105
	s_waitcnt vmcnt(0)
	v_pk_fma_f32 v[10:11], v[92:93], v[66:67], v[10:11] op_sel_hi:[1,0,1]
	v_pk_fma_f32 v[12:13], v[22:23], v[66:67], v[12:13] op_sel_hi:[1,0,1]
	v_mov_b32_e32 v70, v110
	v_mov_b32_e32 v71, v52
	;; [unrolled: 1-line block ×4, first 2 shown]
	v_pk_fma_f32 v[10:11], v[50:51], v[66:67], v[10:11] op_sel:[0,1,0]
	v_pk_fma_f32 v[12:13], v[46:47], v[66:67], v[12:13] op_sel:[0,1,0]
	v_mov_b32_e32 v52, v111
	v_mov_b32_e32 v48, v107
	;; [unrolled: 1-line block ×3, first 2 shown]
	v_pk_fma_f32 v[10:11], v[70:71], v[68:69], v[10:11] op_sel_hi:[1,0,1]
	v_pk_fma_f32 v[12:13], v[26:27], v[68:69], v[12:13] op_sel_hi:[1,0,1]
	;; [unrolled: 1-line block ×4, first 2 shown]
	s_andn2_b64 exec, exec, s[18:19]
	s_cbranch_execnz .LBB20_21
; %bb.22:
	s_or_b64 exec, exec, s[18:19]
.LBB20_23:
	s_or_b64 exec, exec, s[10:11]
	v_mov_b32_e32 v1, v13
.LBB20_24:
	s_or_b64 exec, exec, s[6:7]
	v_mov_b32_e32 v13, v1
	s_cbranch_execz .LBB20_26
	s_branch .LBB20_37
.LBB20_25:
                                        ; implicit-def: $vgpr13
                                        ; implicit-def: $vgpr11
.LBB20_26:
	v_mov_b32_e32 v13, 0
	v_mov_b32_e32 v12, 0
	;; [unrolled: 1-line block ×4, first 2 shown]
	s_and_saveexec_b64 s[6:7], s[2:3]
	s_cbranch_execz .LBB20_36
; %bb.27:
	v_or_b32_e32 v1, 4, v0
	v_subrev_co_u32_e32 v10, vcc, s16, v1
	v_not_b32_e32 v12, v14
	s_nop 0
	v_subb_co_u32_e64 v11, s[2:3], 0, 0, vcc
	v_lshl_add_u64 v[10:11], v[10:11], 0, v[14:15]
	v_cmp_gt_i64_e32 vcc, v[10:11], v[6:7]
	v_not_b32_e32 v13, v15
	s_nop 0
	v_cndmask_b32_e32 v11, v7, v11, vcc
	v_cndmask_b32_e32 v10, v6, v10, vcc
	v_sub_co_u32_e32 v14, vcc, s16, v0
	s_nop 1
	v_subb_co_u32_e64 v15, s[2:3], 0, 0, vcc
	v_lshl_add_u64 v[12:13], v[14:15], 0, v[12:13]
	v_lshl_add_u64 v[14:15], v[12:13], 0, v[10:11]
	v_and_b32_e32 v10, 12, v14
	v_mov_b32_e32 v11, 0
	v_cmp_ne_u64_e32 vcc, 12, v[10:11]
	v_mov_b32_e32 v10, v11
	v_mov_b32_e32 v12, v11
	;; [unrolled: 1-line block ×3, first 2 shown]
	s_and_saveexec_b64 s[2:3], vcc
	s_cbranch_execz .LBB20_31
; %bb.28:
	v_lshrrev_b32_e32 v1, 2, v14
	v_add_u32_e32 v1, 1, v1
	v_and_b32_e32 v1, 3, v1
	v_sub_co_u32_e32 v18, vcc, 0, v1
	v_mov_b32_e32 v10, 0
	s_nop 0
	v_subb_co_u32_e64 v19, s[18:19], 0, 0, vcc
	v_lshl_add_u64 v[16:17], v[4:5], 2, s[8:9]
	s_mov_b64 s[10:11], 0
	s_mov_b64 s[18:19], 0x100
	v_mov_b32_e32 v11, v10
	v_mov_b32_e32 v12, v10
	;; [unrolled: 1-line block ×3, first 2 shown]
.LBB20_29:                              ; =>This Inner Loop Header: Depth=1
	global_load_dword v1, v[16:17], off
	global_load_dwordx4 v[20:23], v[8:9], off offset:16
	global_load_dwordx4 v[24:27], v[8:9], off
	v_lshl_add_u64 v[18:19], v[18:19], 0, 1
	v_cmp_eq_u64_e32 vcc, 0, v[18:19]
	v_lshl_add_u64 v[4:5], v[4:5], 0, 4
	v_lshl_add_u64 v[16:17], v[16:17], 0, 16
	s_or_b64 s[10:11], vcc, s[10:11]
	s_waitcnt vmcnt(2)
	v_subrev_u32_e32 v1, s16, v1
	v_lshlrev_b32_e32 v28, 2, v1
	v_ashrrev_i32_e32 v29, 31, v28
	s_waitcnt lgkmcnt(0)
	v_lshl_add_u64 v[40:41], v[28:29], 2, s[4:5]
	global_load_dwordx4 v[28:31], v[40:41], off
	global_load_dwordx4 v[32:35], v[8:9], off offset:32
	global_load_dwordx4 v[36:39], v[8:9], off offset:48
	v_lshl_add_u64 v[8:9], v[8:9], 0, s[18:19]
	s_waitcnt vmcnt(2)
	v_pk_fma_f32 v[10:11], v[24:25], v[28:29], v[10:11] op_sel_hi:[1,0,1]
	v_pk_fma_f32 v[12:13], v[26:27], v[28:29], v[12:13] op_sel_hi:[1,0,1]
	v_pk_fma_f32 v[10:11], v[20:21], v[28:29], v[10:11] op_sel:[0,1,0]
	v_pk_fma_f32 v[12:13], v[22:23], v[28:29], v[12:13] op_sel:[0,1,0]
	v_mov_b32_e32 v24, v31
	s_waitcnt vmcnt(1)
	v_pk_fma_f32 v[10:11], v[32:33], v[30:31], v[10:11] op_sel_hi:[1,0,1]
	v_pk_fma_f32 v[12:13], v[34:35], v[30:31], v[12:13] op_sel_hi:[1,0,1]
	s_waitcnt vmcnt(0)
	v_pk_fma_f32 v[10:11], v[36:37], v[24:25], v[10:11] op_sel_hi:[1,0,1]
	v_pk_fma_f32 v[12:13], v[38:39], v[24:25], v[12:13] op_sel_hi:[1,0,1]
	s_andn2_b64 exec, exec, s[10:11]
	s_cbranch_execnz .LBB20_29
; %bb.30:
	s_or_b64 exec, exec, s[10:11]
.LBB20_31:
	s_or_b64 exec, exec, s[2:3]
	v_cmp_lt_u64_e32 vcc, 11, v[14:15]
	s_and_saveexec_b64 s[2:3], vcc
	s_cbranch_execz .LBB20_35
; %bb.32:
	v_lshl_add_u64 v[14:15], v[4:5], 2, s[8:9]
	v_lshl_add_u64 v[14:15], v[14:15], 0, 32
	s_mov_b64 s[8:9], 0
	s_mov_b64 s[10:11], 0x400
.LBB20_33:                              ; =>This Inner Loop Header: Depth=1
	global_load_dword v1, v[14:15], off offset:-32
	global_load_dword v3, v[14:15], off offset:-16
	global_load_dword v72, v[14:15], off
	global_load_dword v73, v[14:15], off offset:16
	global_load_dwordx4 v[16:19], v[8:9], off offset:48
	global_load_dwordx4 v[20:23], v[8:9], off offset:32
	;; [unrolled: 1-line block ×3, first 2 shown]
	global_load_dwordx4 v[28:31], v[8:9], off
	global_load_dwordx4 v[32:35], v[8:9], off offset:304
	global_load_dwordx4 v[36:39], v[8:9], off offset:288
	;; [unrolled: 1-line block ×10, first 2 shown]
	v_lshl_add_u64 v[4:5], v[4:5], 0, 16
	v_cmp_ge_i64_e32 vcc, v[4:5], v[6:7]
	v_lshl_add_u64 v[14:15], v[14:15], 0, 64
	s_or_b64 s[8:9], vcc, s[8:9]
	s_waitcnt vmcnt(17)
	v_subrev_u32_e32 v1, s16, v1
	s_waitcnt vmcnt(16)
	v_subrev_u32_e32 v3, s16, v3
	;; [unrolled: 2-line block ×4, first 2 shown]
	v_lshlrev_b32_e32 v72, 2, v1
	v_lshlrev_b32_e32 v74, 2, v3
	;; [unrolled: 1-line block ×4, first 2 shown]
	v_ashrrev_i32_e32 v73, 31, v72
	v_ashrrev_i32_e32 v75, 31, v74
	;; [unrolled: 1-line block ×4, first 2 shown]
	s_waitcnt lgkmcnt(0)
	v_lshl_add_u64 v[96:97], v[72:73], 2, s[4:5]
	v_lshl_add_u64 v[98:99], v[74:75], 2, s[4:5]
	;; [unrolled: 1-line block ×4, first 2 shown]
	global_load_dwordx4 v[72:75], v[96:97], off
	global_load_dwordx4 v[76:79], v[98:99], off
	;; [unrolled: 1-line block ×4, first 2 shown]
	global_load_dwordx4 v[88:91], v[8:9], off offset:800
	global_load_dwordx4 v[92:95], v[8:9], off offset:816
	v_lshl_add_u64 v[8:9], v[8:9], 0, s[10:11]
	s_waitcnt vmcnt(5)
	v_pk_fma_f32 v[10:11], v[28:29], v[72:73], v[10:11] op_sel_hi:[1,0,1]
	v_pk_fma_f32 v[12:13], v[30:31], v[72:73], v[12:13] op_sel_hi:[1,0,1]
	v_pk_fma_f32 v[10:11], v[24:25], v[72:73], v[10:11] op_sel:[0,1,0]
	v_pk_fma_f32 v[12:13], v[26:27], v[72:73], v[12:13] op_sel:[0,1,0]
	v_mov_b32_e32 v28, v75
	v_pk_fma_f32 v[10:11], v[20:21], v[74:75], v[10:11] op_sel_hi:[1,0,1]
	v_pk_fma_f32 v[12:13], v[22:23], v[74:75], v[12:13] op_sel_hi:[1,0,1]
	v_pk_fma_f32 v[10:11], v[16:17], v[28:29], v[10:11] op_sel_hi:[1,0,1]
	v_pk_fma_f32 v[12:13], v[18:19], v[28:29], v[12:13] op_sel_hi:[1,0,1]
	s_waitcnt vmcnt(4)
	v_pk_fma_f32 v[10:11], v[44:45], v[76:77], v[10:11] op_sel_hi:[1,0,1]
	v_pk_fma_f32 v[12:13], v[46:47], v[76:77], v[12:13] op_sel_hi:[1,0,1]
	v_pk_fma_f32 v[10:11], v[40:41], v[76:77], v[10:11] op_sel:[0,1,0]
	v_pk_fma_f32 v[12:13], v[42:43], v[76:77], v[12:13] op_sel:[0,1,0]
	v_mov_b32_e32 v30, v79
	v_pk_fma_f32 v[10:11], v[36:37], v[78:79], v[10:11] op_sel_hi:[1,0,1]
	v_pk_fma_f32 v[12:13], v[38:39], v[78:79], v[12:13] op_sel_hi:[1,0,1]
	v_pk_fma_f32 v[10:11], v[32:33], v[30:31], v[10:11] op_sel_hi:[1,0,1]
	v_pk_fma_f32 v[12:13], v[34:35], v[30:31], v[12:13] op_sel_hi:[1,0,1]
	;; [unrolled: 10-line block ×3, first 2 shown]
	s_waitcnt vmcnt(2)
	v_pk_fma_f32 v[10:11], v[68:69], v[84:85], v[10:11] op_sel_hi:[1,0,1]
	v_pk_fma_f32 v[12:13], v[70:71], v[84:85], v[12:13] op_sel_hi:[1,0,1]
	v_pk_fma_f32 v[10:11], v[64:65], v[84:85], v[10:11] op_sel:[0,1,0]
	v_pk_fma_f32 v[12:13], v[66:67], v[84:85], v[12:13] op_sel:[0,1,0]
	v_mov_b32_e32 v98, v87
	s_waitcnt vmcnt(1)
	v_pk_fma_f32 v[10:11], v[88:89], v[86:87], v[10:11] op_sel_hi:[1,0,1]
	v_pk_fma_f32 v[12:13], v[90:91], v[86:87], v[12:13] op_sel_hi:[1,0,1]
	s_waitcnt vmcnt(0)
	v_pk_fma_f32 v[10:11], v[92:93], v[98:99], v[10:11] op_sel_hi:[1,0,1]
	v_pk_fma_f32 v[12:13], v[94:95], v[98:99], v[12:13] op_sel_hi:[1,0,1]
	s_andn2_b64 exec, exec, s[8:9]
	s_cbranch_execnz .LBB20_33
; %bb.34:
	s_or_b64 exec, exec, s[8:9]
.LBB20_35:
	s_or_b64 exec, exec, s[2:3]
.LBB20_36:
	s_or_b64 exec, exec, s[6:7]
.LBB20_37:
	v_mov_b32_dpp v4, v10 row_shr:1 row_mask:0xf bank_mask:0xf
	v_mov_b32_dpp v5, v11 row_shr:1 row_mask:0xf bank_mask:0xf
	;; [unrolled: 1-line block ×4, first 2 shown]
	v_pk_add_f32 v[4:5], v[10:11], v[4:5]
	v_pk_add_f32 v[8:9], v[12:13], v[8:9]
	v_cmp_eq_u32_e32 vcc, 3, v0
	v_mov_b32_dpp v6, v4 row_shr:2 row_mask:0xf bank_mask:0xf
	v_mov_b32_dpp v7, v5 row_shr:2 row_mask:0xf bank_mask:0xf
	;; [unrolled: 1-line block ×4, first 2 shown]
	s_and_b64 exec, exec, vcc
	s_cbranch_execz .LBB20_10
; %bb.38:
	s_load_dwordx2 s[0:1], s[0:1], 0x50
	v_cmp_eq_f32_e64 s[2:3], s14, 0
	v_pk_add_f32 v[4:5], v[4:5], v[6:7]
	v_pk_add_f32 v[0:1], v[8:9], v[10:11]
	s_and_b64 vcc, exec, s[2:3]
	v_lshlrev_b32_e32 v2, 2, v2
	s_cbranch_vccz .LBB20_40
; %bb.39:
	v_ashrrev_i32_e32 v3, 31, v2
	s_waitcnt lgkmcnt(0)
	v_lshl_add_u64 v[10:11], v[2:3], 2, s[0:1]
	v_pk_mul_f32 v[6:7], s[12:13], v[4:5] op_sel_hi:[0,1]
	v_pk_mul_f32 v[8:9], s[12:13], v[0:1] op_sel_hi:[0,1]
	global_store_dwordx4 v[10:11], v[6:9], off
	s_cbranch_execnz .LBB20_10
	s_branch .LBB20_41
.LBB20_40:
.LBB20_41:
	v_ashrrev_i32_e32 v3, 31, v2
	s_waitcnt lgkmcnt(0)
	v_lshl_add_u64 v[10:11], v[2:3], 2, s[0:1]
	global_load_dwordx4 v[6:9], v[10:11], off
	v_pk_mul_f32 v[2:3], s[12:13], v[4:5] op_sel_hi:[0,1]
	v_pk_mul_f32 v[4:5], s[12:13], v[0:1] op_sel_hi:[0,1]
	s_waitcnt vmcnt(0)
	v_pk_fma_f32 v[0:1], s[14:15], v[6:7], v[2:3] op_sel_hi:[0,1,1]
	v_pk_fma_f32 v[2:3], s[14:15], v[8:9], v[4:5] op_sel_hi:[0,1,1]
	global_store_dwordx4 v[10:11], v[0:3], off
	s_endpgm
	.section	.rodata,"a",@progbits
	.p2align	6, 0x0
	.amdhsa_kernel _ZN9rocsparseL18bsrxmvn_4x4_kernelILj128ELj4EflifffEEvT3_20rocsparse_direction_NS_24const_host_device_scalarIT1_EES1_PKS1_PKT2_SA_S7_PKT4_PKT5_S5_PT6_21rocsparse_index_base_b
		.amdhsa_group_segment_fixed_size 0
		.amdhsa_private_segment_fixed_size 0
		.amdhsa_kernarg_size 96
		.amdhsa_user_sgpr_count 2
		.amdhsa_user_sgpr_dispatch_ptr 0
		.amdhsa_user_sgpr_queue_ptr 0
		.amdhsa_user_sgpr_kernarg_segment_ptr 1
		.amdhsa_user_sgpr_dispatch_id 0
		.amdhsa_user_sgpr_kernarg_preload_length 0
		.amdhsa_user_sgpr_kernarg_preload_offset 0
		.amdhsa_user_sgpr_private_segment_size 0
		.amdhsa_uses_dynamic_stack 0
		.amdhsa_enable_private_segment 0
		.amdhsa_system_sgpr_workgroup_id_x 1
		.amdhsa_system_sgpr_workgroup_id_y 0
		.amdhsa_system_sgpr_workgroup_id_z 0
		.amdhsa_system_sgpr_workgroup_info 0
		.amdhsa_system_vgpr_workitem_id 0
		.amdhsa_next_free_vgpr 112
		.amdhsa_next_free_sgpr 22
		.amdhsa_accum_offset 112
		.amdhsa_reserve_vcc 1
		.amdhsa_float_round_mode_32 0
		.amdhsa_float_round_mode_16_64 0
		.amdhsa_float_denorm_mode_32 3
		.amdhsa_float_denorm_mode_16_64 3
		.amdhsa_dx10_clamp 1
		.amdhsa_ieee_mode 1
		.amdhsa_fp16_overflow 0
		.amdhsa_tg_split 0
		.amdhsa_exception_fp_ieee_invalid_op 0
		.amdhsa_exception_fp_denorm_src 0
		.amdhsa_exception_fp_ieee_div_zero 0
		.amdhsa_exception_fp_ieee_overflow 0
		.amdhsa_exception_fp_ieee_underflow 0
		.amdhsa_exception_fp_ieee_inexact 0
		.amdhsa_exception_int_div_zero 0
	.end_amdhsa_kernel
	.section	.text._ZN9rocsparseL18bsrxmvn_4x4_kernelILj128ELj4EflifffEEvT3_20rocsparse_direction_NS_24const_host_device_scalarIT1_EES1_PKS1_PKT2_SA_S7_PKT4_PKT5_S5_PT6_21rocsparse_index_base_b,"axG",@progbits,_ZN9rocsparseL18bsrxmvn_4x4_kernelILj128ELj4EflifffEEvT3_20rocsparse_direction_NS_24const_host_device_scalarIT1_EES1_PKS1_PKT2_SA_S7_PKT4_PKT5_S5_PT6_21rocsparse_index_base_b,comdat
.Lfunc_end20:
	.size	_ZN9rocsparseL18bsrxmvn_4x4_kernelILj128ELj4EflifffEEvT3_20rocsparse_direction_NS_24const_host_device_scalarIT1_EES1_PKS1_PKT2_SA_S7_PKT4_PKT5_S5_PT6_21rocsparse_index_base_b, .Lfunc_end20-_ZN9rocsparseL18bsrxmvn_4x4_kernelILj128ELj4EflifffEEvT3_20rocsparse_direction_NS_24const_host_device_scalarIT1_EES1_PKS1_PKT2_SA_S7_PKT4_PKT5_S5_PT6_21rocsparse_index_base_b
                                        ; -- End function
	.set _ZN9rocsparseL18bsrxmvn_4x4_kernelILj128ELj4EflifffEEvT3_20rocsparse_direction_NS_24const_host_device_scalarIT1_EES1_PKS1_PKT2_SA_S7_PKT4_PKT5_S5_PT6_21rocsparse_index_base_b.num_vgpr, 112
	.set _ZN9rocsparseL18bsrxmvn_4x4_kernelILj128ELj4EflifffEEvT3_20rocsparse_direction_NS_24const_host_device_scalarIT1_EES1_PKS1_PKT2_SA_S7_PKT4_PKT5_S5_PT6_21rocsparse_index_base_b.num_agpr, 0
	.set _ZN9rocsparseL18bsrxmvn_4x4_kernelILj128ELj4EflifffEEvT3_20rocsparse_direction_NS_24const_host_device_scalarIT1_EES1_PKS1_PKT2_SA_S7_PKT4_PKT5_S5_PT6_21rocsparse_index_base_b.numbered_sgpr, 22
	.set _ZN9rocsparseL18bsrxmvn_4x4_kernelILj128ELj4EflifffEEvT3_20rocsparse_direction_NS_24const_host_device_scalarIT1_EES1_PKS1_PKT2_SA_S7_PKT4_PKT5_S5_PT6_21rocsparse_index_base_b.num_named_barrier, 0
	.set _ZN9rocsparseL18bsrxmvn_4x4_kernelILj128ELj4EflifffEEvT3_20rocsparse_direction_NS_24const_host_device_scalarIT1_EES1_PKS1_PKT2_SA_S7_PKT4_PKT5_S5_PT6_21rocsparse_index_base_b.private_seg_size, 0
	.set _ZN9rocsparseL18bsrxmvn_4x4_kernelILj128ELj4EflifffEEvT3_20rocsparse_direction_NS_24const_host_device_scalarIT1_EES1_PKS1_PKT2_SA_S7_PKT4_PKT5_S5_PT6_21rocsparse_index_base_b.uses_vcc, 1
	.set _ZN9rocsparseL18bsrxmvn_4x4_kernelILj128ELj4EflifffEEvT3_20rocsparse_direction_NS_24const_host_device_scalarIT1_EES1_PKS1_PKT2_SA_S7_PKT4_PKT5_S5_PT6_21rocsparse_index_base_b.uses_flat_scratch, 0
	.set _ZN9rocsparseL18bsrxmvn_4x4_kernelILj128ELj4EflifffEEvT3_20rocsparse_direction_NS_24const_host_device_scalarIT1_EES1_PKS1_PKT2_SA_S7_PKT4_PKT5_S5_PT6_21rocsparse_index_base_b.has_dyn_sized_stack, 0
	.set _ZN9rocsparseL18bsrxmvn_4x4_kernelILj128ELj4EflifffEEvT3_20rocsparse_direction_NS_24const_host_device_scalarIT1_EES1_PKS1_PKT2_SA_S7_PKT4_PKT5_S5_PT6_21rocsparse_index_base_b.has_recursion, 0
	.set _ZN9rocsparseL18bsrxmvn_4x4_kernelILj128ELj4EflifffEEvT3_20rocsparse_direction_NS_24const_host_device_scalarIT1_EES1_PKS1_PKT2_SA_S7_PKT4_PKT5_S5_PT6_21rocsparse_index_base_b.has_indirect_call, 0
	.section	.AMDGPU.csdata,"",@progbits
; Kernel info:
; codeLenInByte = 3168
; TotalNumSgprs: 28
; NumVgprs: 112
; NumAgprs: 0
; TotalNumVgprs: 112
; ScratchSize: 0
; MemoryBound: 0
; FloatMode: 240
; IeeeMode: 1
; LDSByteSize: 0 bytes/workgroup (compile time only)
; SGPRBlocks: 3
; VGPRBlocks: 13
; NumSGPRsForWavesPerEU: 28
; NumVGPRsForWavesPerEU: 112
; AccumOffset: 112
; Occupancy: 4
; WaveLimiterHint : 1
; COMPUTE_PGM_RSRC2:SCRATCH_EN: 0
; COMPUTE_PGM_RSRC2:USER_SGPR: 2
; COMPUTE_PGM_RSRC2:TRAP_HANDLER: 0
; COMPUTE_PGM_RSRC2:TGID_X_EN: 1
; COMPUTE_PGM_RSRC2:TGID_Y_EN: 0
; COMPUTE_PGM_RSRC2:TGID_Z_EN: 0
; COMPUTE_PGM_RSRC2:TIDIG_COMP_CNT: 0
; COMPUTE_PGM_RSRC3_GFX90A:ACCUM_OFFSET: 27
; COMPUTE_PGM_RSRC3_GFX90A:TG_SPLIT: 0
	.section	.text._ZN9rocsparseL18bsrxmvn_4x4_kernelILj128ELj8EflifffEEvT3_20rocsparse_direction_NS_24const_host_device_scalarIT1_EES1_PKS1_PKT2_SA_S7_PKT4_PKT5_S5_PT6_21rocsparse_index_base_b,"axG",@progbits,_ZN9rocsparseL18bsrxmvn_4x4_kernelILj128ELj8EflifffEEvT3_20rocsparse_direction_NS_24const_host_device_scalarIT1_EES1_PKS1_PKT2_SA_S7_PKT4_PKT5_S5_PT6_21rocsparse_index_base_b,comdat
	.globl	_ZN9rocsparseL18bsrxmvn_4x4_kernelILj128ELj8EflifffEEvT3_20rocsparse_direction_NS_24const_host_device_scalarIT1_EES1_PKS1_PKT2_SA_S7_PKT4_PKT5_S5_PT6_21rocsparse_index_base_b ; -- Begin function _ZN9rocsparseL18bsrxmvn_4x4_kernelILj128ELj8EflifffEEvT3_20rocsparse_direction_NS_24const_host_device_scalarIT1_EES1_PKS1_PKT2_SA_S7_PKT4_PKT5_S5_PT6_21rocsparse_index_base_b
	.p2align	8
	.type	_ZN9rocsparseL18bsrxmvn_4x4_kernelILj128ELj8EflifffEEvT3_20rocsparse_direction_NS_24const_host_device_scalarIT1_EES1_PKS1_PKT2_SA_S7_PKT4_PKT5_S5_PT6_21rocsparse_index_base_b,@function
_ZN9rocsparseL18bsrxmvn_4x4_kernelILj128ELj8EflifffEEvT3_20rocsparse_direction_NS_24const_host_device_scalarIT1_EES1_PKS1_PKT2_SA_S7_PKT4_PKT5_S5_PT6_21rocsparse_index_base_b: ; @_ZN9rocsparseL18bsrxmvn_4x4_kernelILj128ELj8EflifffEEvT3_20rocsparse_direction_NS_24const_host_device_scalarIT1_EES1_PKS1_PKT2_SA_S7_PKT4_PKT5_S5_PT6_21rocsparse_index_base_b
; %bb.0:
	s_load_dwordx2 s[16:17], s[0:1], 0x58
	s_load_dwordx2 s[12:13], s[0:1], 0x8
	;; [unrolled: 1-line block ×3, first 2 shown]
	s_waitcnt lgkmcnt(0)
	s_bitcmp1_b32 s17, 0
	s_cselect_b64 s[6:7], -1, 0
	s_xor_b64 s[4:5], s[6:7], -1
	s_and_b64 vcc, exec, s[6:7]
	s_cbranch_vccnz .LBB21_2
; %bb.1:
	s_load_dword s12, s[12:13], 0x0
.LBB21_2:
	s_andn2_b64 vcc, exec, s[4:5]
	s_cbranch_vccnz .LBB21_4
; %bb.3:
	s_load_dword s14, s[14:15], 0x0
.LBB21_4:
	s_waitcnt lgkmcnt(0)
	v_cmp_neq_f32_e64 s[4:5], s12, 0
	v_cmp_neq_f32_e64 s[6:7], s14, 1.0
	s_or_b64 s[4:5], s[4:5], s[6:7]
	s_andn2_b64 vcc, exec, s[4:5]
	s_cbranch_vccnz .LBB21_10
; %bb.5:
	s_load_dwordx2 s[4:5], s[0:1], 0x18
	s_load_dwordx2 s[18:19], s[0:1], 0x0
	v_lshrrev_b32_e32 v1, 3, v0
	v_lshl_or_b32 v40, s2, 4, v1
	s_mov_b64 s[2:3], 0
	s_waitcnt lgkmcnt(0)
	s_cmp_lg_u64 s[4:5], 0
	s_cbranch_scc0 .LBB21_11
; %bb.6:
	s_load_dword s6, s[0:1], 0x10
                                        ; implicit-def: $vgpr1
	s_waitcnt lgkmcnt(0)
	v_cmp_gt_i32_e32 vcc, s6, v40
	s_and_saveexec_b64 s[6:7], vcc
	s_xor_b64 s[6:7], exec, s[6:7]
	s_cbranch_execz .LBB21_8
; %bb.7:
	v_ashrrev_i32_e32 v41, 31, v40
	v_lshl_add_u64 v[2:3], v[40:41], 2, s[4:5]
	global_load_dword v1, v[2:3], off
	s_mov_b64 s[2:3], exec
	s_waitcnt vmcnt(0)
	v_subrev_u32_e32 v1, s16, v1
.LBB21_8:
	s_or_b64 exec, exec, s[6:7]
	s_branch .LBB21_12
.LBB21_9:
	v_cmp_gt_i32_e32 vcc, s18, v40
	s_andn2_b64 s[2:3], s[2:3], exec
	s_and_b64 s[4:5], vcc, exec
	s_or_b64 s[2:3], s[2:3], s[4:5]
	s_and_saveexec_b64 s[4:5], s[2:3]
	s_cbranch_execnz .LBB21_13
.LBB21_10:
	s_endpgm
.LBB21_11:
                                        ; implicit-def: $vgpr1
	s_cbranch_execnz .LBB21_9
.LBB21_12:
	v_mov_b32_e32 v40, v1
	s_and_saveexec_b64 s[4:5], s[2:3]
	s_cbranch_execz .LBB21_10
.LBB21_13:
	s_load_dwordx8 s[4:11], s[0:1], 0x20
	v_ashrrev_i32_e32 v41, 31, v40
	v_lshlrev_b64 v[2:3], 3, v[40:41]
	v_and_b32_e32 v42, 7, v0
	v_mov_b32_e32 v43, 0
	s_waitcnt lgkmcnt(0)
	v_lshl_add_u64 v[4:5], s[4:5], 0, v[2:3]
	s_cmp_eq_u64 s[6:7], 0
	v_lshl_add_u64 v[2:3], s[6:7], 0, v[2:3]
	global_load_dwordx2 v[50:51], v[4:5], off
	v_lshl_add_u64 v[4:5], v[4:5], 0, 8
	s_cselect_b64 vcc, -1, 0
	v_cndmask_b32_e32 v3, v3, v5, vcc
	v_cndmask_b32_e32 v2, v2, v4, vcc
	global_load_dwordx2 v[2:3], v[2:3], off
	s_load_dwordx2 s[4:5], s[0:1], 0x40
	s_cmp_eq_u32 s19, 1
	s_waitcnt vmcnt(1)
	v_subrev_co_u32_e32 v0, vcc, s16, v50
	s_nop 1
	v_subbrev_co_u32_e32 v1, vcc, 0, v51, vcc
	v_lshl_add_u64 v[44:45], v[0:1], 0, v[42:43]
	s_waitcnt vmcnt(0)
	v_subrev_co_u32_e32 v46, vcc, s16, v2
	v_lshlrev_b64 v[0:1], 6, v[44:45]
	s_nop 0
	v_subbrev_co_u32_e32 v47, vcc, 0, v3, vcc
	v_lshl_add_u64 v[48:49], s[10:11], 0, v[0:1]
	v_cmp_lt_i64_e64 s[2:3], v[44:45], v[46:47]
	s_cbranch_scc1 .LBB21_25
; %bb.14:
	v_mov_b32_e32 v28, v43
	v_mov_b32_e32 v33, v43
	;; [unrolled: 1-line block ×3, first 2 shown]
	s_and_saveexec_b64 s[6:7], s[2:3]
	s_cbranch_execz .LBB21_24
; %bb.15:
	v_or_b32_e32 v0, 8, v42
	v_subrev_co_u32_e32 v0, vcc, s16, v0
	v_not_b32_e32 v3, v51
	s_nop 0
	v_subb_co_u32_e64 v1, s[10:11], 0, 0, vcc
	v_lshl_add_u64 v[0:1], v[0:1], 0, v[50:51]
	v_cmp_gt_i64_e32 vcc, v[0:1], v[46:47]
	v_not_b32_e32 v2, v50
	v_mov_b32_e32 v33, 0
	v_cndmask_b32_e32 v1, v47, v1, vcc
	v_cndmask_b32_e32 v0, v46, v0, vcc
	v_sub_co_u32_e32 v4, vcc, s16, v42
	v_mov_b32_e32 v28, v33
	s_nop 0
	v_subb_co_u32_e64 v5, s[10:11], 0, 0, vcc
	v_lshl_add_u64 v[2:3], v[4:5], 0, v[2:3]
	v_lshl_add_u64 v[0:1], v[2:3], 0, v[0:1]
	v_and_b32_e32 v32, 24, v0
	v_cmp_ne_u64_e32 vcc, 24, v[32:33]
	v_mov_b32_e32 v32, v33
	v_mov_b32_e32 v29, v33
	v_mov_b64_e32 v[52:53], v[44:45]
	v_mov_b64_e32 v[54:55], v[48:49]
	s_and_saveexec_b64 s[10:11], vcc
	s_cbranch_execz .LBB21_19
; %bb.16:
	v_lshrrev_b32_e32 v2, 3, v0
	v_add_u32_e32 v2, 1, v2
	v_and_b32_e32 v4, 3, v2
	v_sub_co_u32_e32 v4, vcc, 0, v4
	v_mov_b32_e32 v29, 0
	s_nop 0
	v_subb_co_u32_e64 v5, s[20:21], 0, 0, vcc
	v_lshl_add_u64 v[2:3], v[44:45], 2, s[8:9]
	s_mov_b64 s[18:19], 0
	s_mov_b64 s[20:21], 0x200
	v_mov_b64_e32 v[54:55], v[48:49]
	v_mov_b64_e32 v[52:53], v[44:45]
	v_mov_b32_e32 v28, v29
	v_mov_b32_e32 v33, v29
	v_mov_b32_e32 v32, v29
.LBB21_17:                              ; =>This Inner Loop Header: Depth=1
	global_load_dword v14, v[2:3], off
	global_load_dwordx4 v[20:23], v[54:55], off
	global_load_dwordx4 v[6:9], v[54:55], off offset:16
	global_load_dwordx4 v[24:27], v[54:55], off offset:32
	global_load_dwordx4 v[10:13], v[54:55], off offset:48
	v_lshl_add_u64 v[4:5], v[4:5], 0, 1
	v_cmp_eq_u64_e32 vcc, 0, v[4:5]
	v_lshl_add_u64 v[54:55], v[54:55], 0, s[20:21]
	v_lshl_add_u64 v[52:53], v[52:53], 0, 8
	;; [unrolled: 1-line block ×3, first 2 shown]
	s_or_b64 s[18:19], vcc, s[18:19]
	s_waitcnt vmcnt(4)
	v_subrev_u32_e32 v14, s16, v14
	v_lshlrev_b32_e32 v14, 2, v14
	v_ashrrev_i32_e32 v15, 31, v14
	s_waitcnt lgkmcnt(0)
	v_lshl_add_u64 v[14:15], v[14:15], 2, s[4:5]
	global_load_dwordx4 v[14:17], v[14:15], off
	s_waitcnt vmcnt(4)
	v_mov_b32_e32 v18, v20
	s_waitcnt vmcnt(3)
	v_mov_b32_e32 v19, v6
	v_mov_b32_e32 v6, v21
	;; [unrolled: 1-line block ×5, first 2 shown]
	s_waitcnt vmcnt(2)
	v_mov_b32_e32 v22, v24
	s_waitcnt vmcnt(1)
	v_mov_b32_e32 v23, v10
	v_mov_b32_e32 v10, v25
	;; [unrolled: 1-line block ×5, first 2 shown]
	s_waitcnt vmcnt(0)
	v_pk_fma_f32 v[18:19], v[18:19], v[14:15], v[32:33] op_sel_hi:[1,0,1]
	v_pk_fma_f32 v[22:23], v[22:23], v[14:15], v[28:29] op_sel_hi:[1,0,1]
	v_pk_fma_f32 v[6:7], v[6:7], v[14:15], v[18:19] op_sel:[0,1,0]
	v_pk_fma_f32 v[10:11], v[10:11], v[14:15], v[22:23] op_sel:[0,1,0]
	v_mov_b32_e32 v26, v17
	v_pk_fma_f32 v[6:7], v[20:21], v[16:17], v[6:7] op_sel_hi:[1,0,1]
	v_pk_fma_f32 v[10:11], v[24:25], v[16:17], v[10:11] op_sel_hi:[1,0,1]
	;; [unrolled: 1-line block ×4, first 2 shown]
	s_andn2_b64 exec, exec, s[18:19]
	s_cbranch_execnz .LBB21_17
; %bb.18:
	s_or_b64 exec, exec, s[18:19]
.LBB21_19:
	s_or_b64 exec, exec, s[10:11]
	v_cmp_lt_u64_e32 vcc, 23, v[0:1]
	s_and_saveexec_b64 s[10:11], vcc
	s_cbranch_execz .LBB21_23
; %bb.20:
	v_lshl_add_u64 v[0:1], v[52:53], 2, s[8:9]
	v_lshl_add_u64 v[56:57], v[0:1], 0, 64
	s_mov_b64 s[18:19], 0
	s_mov_b64 s[20:21], 0x800
	;; [unrolled: 1-line block ×3, first 2 shown]
.LBB21_21:                              ; =>This Inner Loop Header: Depth=1
	global_load_dword v30, v[56:57], off offset:-64
	global_load_dword v31, v[56:57], off offset:-32
	global_load_dwordx4 v[70:73], v[54:55], off
	global_load_dwordx4 v[34:37], v[54:55], off offset:16
	global_load_dwordx4 v[0:3], v[54:55], off offset:1072
	;; [unrolled: 1-line block ×11, first 2 shown]
	global_load_dword v41, v[56:57], off
	global_load_dword v43, v[56:57], off offset:32
	global_load_dwordx4 v[24:27], v[54:55], off offset:1552
	global_load_dwordx4 v[86:89], v[54:55], off offset:1536
	v_lshl_add_u64 v[52:53], v[52:53], 0, 32
	v_cmp_ge_i64_e32 vcc, v[52:53], v[46:47]
	v_lshl_add_u64 v[56:57], v[56:57], 0, s[22:23]
	s_or_b64 s[18:19], vcc, s[18:19]
	s_waitcnt vmcnt(17)
	v_subrev_u32_e32 v38, s16, v30
	s_waitcnt vmcnt(16)
	v_subrev_u32_e32 v39, s16, v31
	v_lshlrev_b32_e32 v38, 2, v38
	v_lshlrev_b32_e32 v62, 2, v39
	v_ashrrev_i32_e32 v39, 31, v38
	v_ashrrev_i32_e32 v63, 31, v62
	s_waitcnt lgkmcnt(0)
	v_lshl_add_u64 v[38:39], v[38:39], 2, s[4:5]
	s_waitcnt vmcnt(15)
	v_mov_b32_e32 v30, v70
	s_waitcnt vmcnt(14)
	v_mov_b32_e32 v31, v34
	v_mov_b32_e32 v34, v71
	v_lshl_add_u64 v[70:71], v[62:63], 2, s[4:5]
	global_load_dwordx4 v[62:65], v[38:39], off
	global_load_dwordx4 v[66:69], v[70:71], off
	s_waitcnt vmcnt(5)
	v_subrev_u32_e32 v38, s16, v41
	s_waitcnt vmcnt(4)
	v_subrev_u32_e32 v39, s16, v43
	s_waitcnt vmcnt(1)
	v_pk_fma_f32 v[30:31], v[30:31], v[62:63], v[32:33] op_sel_hi:[1,0,1]
	v_mov_b32_e32 v32, v74
	v_mov_b32_e32 v33, v58
	v_pk_fma_f32 v[28:29], v[32:33], v[62:63], v[28:29] op_sel_hi:[1,0,1]
	v_mov_b32_e32 v32, v72
	v_mov_b32_e32 v33, v36
	v_mov_b32_e32 v58, v75
	v_pk_fma_f32 v[30:31], v[34:35], v[62:63], v[30:31] op_sel:[0,1,0]
	v_pk_fma_f32 v[28:29], v[58:59], v[62:63], v[28:29] op_sel:[0,1,0]
	v_pk_fma_f32 v[32:33], v[32:33], v[64:65], v[30:31] op_sel_hi:[1,0,1]
	v_mov_b32_e32 v58, v65
	v_mov_b32_e32 v36, v73
	v_pk_fma_f32 v[62:63], v[36:37], v[58:59], v[32:33] op_sel_hi:[1,0,1]
	v_lshlrev_b32_e32 v32, 2, v38
	v_lshlrev_b32_e32 v36, 2, v39
	v_ashrrev_i32_e32 v33, 31, v32
	v_mov_b32_e32 v30, v76
	v_mov_b32_e32 v31, v60
	v_ashrrev_i32_e32 v37, 31, v36
	v_lshl_add_u64 v[32:33], v[32:33], 2, s[4:5]
	v_pk_fma_f32 v[34:35], v[30:31], v[64:65], v[28:29] op_sel_hi:[1,0,1]
	global_load_dwordx4 v[28:31], v[54:55], off offset:1584
	global_load_dwordx4 v[90:93], v[54:55], off offset:1568
	v_lshl_add_u64 v[64:65], v[36:37], 2, s[4:5]
	global_load_dwordx4 v[36:39], v[32:33], off
	v_mov_b32_e32 v60, v77
	v_pk_fma_f32 v[58:59], v[60:61], v[58:59], v[34:35] op_sel_hi:[1,0,1]
	global_load_dwordx4 v[32:35], v[64:65], off
	v_mov_b32_e32 v64, v82
	v_mov_b32_e32 v65, v20
	s_waitcnt vmcnt(4)
	v_pk_fma_f32 v[62:63], v[64:65], v[66:67], v[62:63] op_sel_hi:[1,0,1]
	v_mov_b32_e32 v64, v78
	v_mov_b32_e32 v65, v16
	;; [unrolled: 1-line block ×3, first 2 shown]
	v_pk_fma_f32 v[58:59], v[64:65], v[66:67], v[58:59] op_sel_hi:[1,0,1]
	v_mov_b32_e32 v16, v79
	v_mov_b32_e32 v64, v84
	;; [unrolled: 1-line block ×3, first 2 shown]
	v_pk_fma_f32 v[20:21], v[20:21], v[66:67], v[62:63] op_sel:[0,1,0]
	v_mov_b32_e32 v62, v80
	v_mov_b32_e32 v63, v18
	v_pk_fma_f32 v[16:17], v[16:17], v[66:67], v[58:59] op_sel:[0,1,0]
	v_pk_fma_f32 v[20:21], v[64:65], v[68:69], v[20:21] op_sel_hi:[1,0,1]
	v_pk_fma_f32 v[16:17], v[62:63], v[68:69], v[16:17] op_sel_hi:[1,0,1]
	v_mov_b32_e32 v22, v85
	v_mov_b32_e32 v62, v69
	;; [unrolled: 1-line block ×9, first 2 shown]
	v_pk_fma_f32 v[4:5], v[22:23], v[62:63], v[20:21] op_sel_hi:[1,0,1]
	v_mov_b32_e32 v22, v8
	v_mov_b32_e32 v23, v0
	v_pk_fma_f32 v[0:1], v[18:19], v[62:63], v[16:17] op_sel_hi:[1,0,1]
	v_mov_b32_e32 v16, v10
	v_mov_b32_e32 v17, v2
	;; [unrolled: 1-line block ×3, first 2 shown]
	v_pk_mov_b32 v[10:11], v[12:13], v[60:61] op_sel:[1,0]
	v_pk_mov_b32 v[8:9], v[8:9], v[58:59] op_sel:[1,0]
	v_mov_b32_e32 v20, v14
	v_mov_b32_e32 v21, v6
	;; [unrolled: 1-line block ×9, first 2 shown]
	v_lshl_add_u64 v[54:55], v[54:55], 0, s[20:21]
	s_waitcnt vmcnt(3)
	v_mov_b32_e32 v13, v28
	s_waitcnt vmcnt(2)
	v_mov_b32_e32 v12, v90
	v_mov_b32_e32 v28, v91
	s_waitcnt vmcnt(1)
	v_pk_fma_f32 v[4:5], v[64:65], v[36:37], v[4:5] op_sel_hi:[1,0,1]
	v_pk_fma_f32 v[0:1], v[22:23], v[36:37], v[0:1] op_sel_hi:[1,0,1]
	v_pk_fma_f32 v[4:5], v[10:11], v[36:37], v[4:5] op_sel:[0,1,0]
	v_pk_fma_f32 v[0:1], v[8:9], v[36:37], v[0:1] op_sel:[0,1,0]
	v_mov_b32_e32 v58, v39
	v_pk_fma_f32 v[4:5], v[20:21], v[38:39], v[4:5] op_sel_hi:[1,0,1]
	v_pk_fma_f32 v[0:1], v[16:17], v[38:39], v[0:1] op_sel_hi:[1,0,1]
	;; [unrolled: 1-line block ×4, first 2 shown]
	s_waitcnt vmcnt(0)
	v_pk_fma_f32 v[2:3], v[14:15], v[32:33], v[4:5] op_sel_hi:[1,0,1]
	v_pk_fma_f32 v[0:1], v[12:13], v[32:33], v[0:1] op_sel_hi:[1,0,1]
	v_mov_b32_e32 v60, v92
	v_mov_b32_e32 v61, v30
	v_pk_fma_f32 v[2:3], v[24:25], v[32:33], v[2:3] op_sel:[0,1,0]
	v_pk_fma_f32 v[0:1], v[28:29], v[32:33], v[0:1] op_sel:[0,1,0]
	v_mov_b32_e32 v30, v93
	v_mov_b32_e32 v62, v35
	v_pk_fma_f32 v[2:3], v[18:19], v[34:35], v[2:3] op_sel_hi:[1,0,1]
	v_pk_fma_f32 v[0:1], v[60:61], v[34:35], v[0:1] op_sel_hi:[1,0,1]
	;; [unrolled: 1-line block ×4, first 2 shown]
	s_andn2_b64 exec, exec, s[18:19]
	s_cbranch_execnz .LBB21_21
; %bb.22:
	s_or_b64 exec, exec, s[18:19]
.LBB21_23:
	s_or_b64 exec, exec, s[10:11]
	v_mov_b32_e32 v43, v29
.LBB21_24:
	s_or_b64 exec, exec, s[6:7]
	v_mov_b32_e32 v29, v43
	s_cbranch_execz .LBB21_26
	s_branch .LBB21_37
.LBB21_25:
                                        ; implicit-def: $vgpr29
                                        ; implicit-def: $vgpr33
.LBB21_26:
	v_mov_b32_e32 v29, 0
	v_mov_b32_e32 v28, 0
	;; [unrolled: 1-line block ×4, first 2 shown]
	s_and_saveexec_b64 s[6:7], s[2:3]
	s_cbranch_execz .LBB21_36
; %bb.27:
	v_or_b32_e32 v0, 8, v42
	v_subrev_co_u32_e32 v0, vcc, s16, v0
	v_not_b32_e32 v3, v51
	s_nop 0
	v_subb_co_u32_e64 v1, s[2:3], 0, 0, vcc
	v_lshl_add_u64 v[0:1], v[0:1], 0, v[50:51]
	v_cmp_gt_i64_e32 vcc, v[0:1], v[46:47]
	v_not_b32_e32 v2, v50
	v_mov_b32_e32 v33, 0
	v_cndmask_b32_e32 v1, v47, v1, vcc
	v_cndmask_b32_e32 v0, v46, v0, vcc
	v_sub_co_u32_e32 v4, vcc, s16, v42
	v_mov_b32_e32 v28, v33
	s_nop 0
	v_subb_co_u32_e64 v5, s[2:3], 0, 0, vcc
	v_lshl_add_u64 v[2:3], v[4:5], 0, v[2:3]
	v_lshl_add_u64 v[0:1], v[2:3], 0, v[0:1]
	v_and_b32_e32 v32, 24, v0
	v_cmp_ne_u64_e32 vcc, 24, v[32:33]
	v_mov_b32_e32 v32, v33
	v_mov_b32_e32 v29, v33
	s_and_saveexec_b64 s[2:3], vcc
	s_cbranch_execz .LBB21_31
; %bb.28:
	v_lshrrev_b32_e32 v2, 3, v0
	v_add_u32_e32 v2, 1, v2
	v_and_b32_e32 v4, 3, v2
	v_sub_co_u32_e32 v4, vcc, 0, v4
	v_mov_b32_e32 v29, 0
	s_nop 0
	v_subb_co_u32_e64 v5, s[18:19], 0, 0, vcc
	v_lshl_add_u64 v[2:3], v[44:45], 2, s[8:9]
	s_mov_b64 s[10:11], 0
	s_mov_b64 s[18:19], 0x200
	v_mov_b32_e32 v28, v29
	v_mov_b32_e32 v33, v29
	;; [unrolled: 1-line block ×3, first 2 shown]
.LBB21_29:                              ; =>This Inner Loop Header: Depth=1
	global_load_dword v14, v[2:3], off
	global_load_dwordx4 v[6:9], v[48:49], off offset:16
	global_load_dwordx4 v[10:13], v[48:49], off
	v_lshl_add_u64 v[4:5], v[4:5], 0, 1
	v_cmp_eq_u64_e32 vcc, 0, v[4:5]
	v_lshl_add_u64 v[44:45], v[44:45], 0, 8
	v_lshl_add_u64 v[2:3], v[2:3], 0, 32
	s_or_b64 s[10:11], vcc, s[10:11]
	s_waitcnt vmcnt(2)
	v_subrev_u32_e32 v14, s16, v14
	v_lshlrev_b32_e32 v14, 2, v14
	v_ashrrev_i32_e32 v15, 31, v14
	s_waitcnt lgkmcnt(0)
	v_lshl_add_u64 v[26:27], v[14:15], 2, s[4:5]
	global_load_dwordx4 v[14:17], v[26:27], off
	global_load_dwordx4 v[18:21], v[48:49], off offset:32
	global_load_dwordx4 v[22:25], v[48:49], off offset:48
	v_lshl_add_u64 v[48:49], v[48:49], 0, s[18:19]
	s_waitcnt vmcnt(2)
	v_pk_fma_f32 v[10:11], v[10:11], v[14:15], v[32:33] op_sel_hi:[1,0,1]
	v_pk_fma_f32 v[12:13], v[12:13], v[14:15], v[28:29] op_sel_hi:[1,0,1]
	v_pk_fma_f32 v[6:7], v[6:7], v[14:15], v[10:11] op_sel:[0,1,0]
	v_pk_fma_f32 v[8:9], v[8:9], v[14:15], v[12:13] op_sel:[0,1,0]
	v_mov_b32_e32 v26, v17
	s_waitcnt vmcnt(1)
	v_pk_fma_f32 v[6:7], v[18:19], v[16:17], v[6:7] op_sel_hi:[1,0,1]
	v_pk_fma_f32 v[8:9], v[20:21], v[16:17], v[8:9] op_sel_hi:[1,0,1]
	s_waitcnt vmcnt(0)
	v_pk_fma_f32 v[32:33], v[22:23], v[26:27], v[6:7] op_sel_hi:[1,0,1]
	v_pk_fma_f32 v[28:29], v[24:25], v[26:27], v[8:9] op_sel_hi:[1,0,1]
	s_andn2_b64 exec, exec, s[10:11]
	s_cbranch_execnz .LBB21_29
; %bb.30:
	s_or_b64 exec, exec, s[10:11]
.LBB21_31:
	s_or_b64 exec, exec, s[2:3]
	v_cmp_lt_u64_e32 vcc, 23, v[0:1]
	s_and_saveexec_b64 s[2:3], vcc
	s_cbranch_execz .LBB21_35
; %bb.32:
	v_lshl_add_u64 v[0:1], v[44:45], 2, s[8:9]
	v_lshl_add_u64 v[0:1], v[0:1], 0, 64
	s_mov_b64 s[8:9], 0
	s_mov_b64 s[10:11], 0x80
	s_mov_b64 s[18:19], 0x800
.LBB21_33:                              ; =>This Inner Loop Header: Depth=1
	global_load_dword v26, v[0:1], off offset:-64
	global_load_dword v27, v[0:1], off offset:-32
	global_load_dword v30, v[0:1], off
	global_load_dword v31, v[0:1], off offset:32
	global_load_dwordx4 v[2:5], v[48:49], off offset:48
	global_load_dwordx4 v[6:9], v[48:49], off offset:32
	;; [unrolled: 1-line block ×3, first 2 shown]
	global_load_dwordx4 v[14:17], v[48:49], off
	global_load_dwordx4 v[18:21], v[48:49], off offset:560
	global_load_dwordx4 v[22:25], v[48:49], off offset:544
	;; [unrolled: 1-line block ×10, first 2 shown]
	v_lshl_add_u64 v[44:45], v[44:45], 0, 32
	v_cmp_ge_i64_e32 vcc, v[44:45], v[46:47]
	v_lshl_add_u64 v[0:1], v[0:1], 0, s[10:11]
	s_or_b64 s[8:9], vcc, s[8:9]
	s_waitcnt vmcnt(17)
	v_subrev_u32_e32 v26, s16, v26
	s_waitcnt vmcnt(16)
	v_subrev_u32_e32 v27, s16, v27
	s_waitcnt vmcnt(15)
	v_subrev_u32_e32 v38, s16, v30
	s_waitcnt vmcnt(14)
	v_subrev_u32_e32 v31, s16, v31
	v_lshlrev_b32_e32 v26, 2, v26
	v_lshlrev_b32_e32 v30, 2, v27
	;; [unrolled: 1-line block ×4, first 2 shown]
	v_ashrrev_i32_e32 v27, 31, v26
	v_ashrrev_i32_e32 v31, 31, v30
	;; [unrolled: 1-line block ×4, first 2 shown]
	s_waitcnt lgkmcnt(0)
	v_lshl_add_u64 v[26:27], v[26:27], 2, s[4:5]
	v_lshl_add_u64 v[30:31], v[30:31], 2, s[4:5]
	v_lshl_add_u64 v[38:39], v[38:39], 2, s[4:5]
	v_lshl_add_u64 v[102:103], v[78:79], 2, s[4:5]
	global_load_dwordx4 v[78:81], v[26:27], off
	global_load_dwordx4 v[82:85], v[30:31], off
	;; [unrolled: 1-line block ×4, first 2 shown]
	global_load_dwordx4 v[94:97], v[48:49], off offset:1568
	global_load_dwordx4 v[98:101], v[48:49], off offset:1584
	v_lshl_add_u64 v[48:49], v[48:49], 0, s[18:19]
	s_waitcnt vmcnt(5)
	v_pk_fma_f32 v[14:15], v[14:15], v[78:79], v[32:33] op_sel_hi:[1,0,1]
	v_pk_fma_f32 v[16:17], v[16:17], v[78:79], v[28:29] op_sel_hi:[1,0,1]
	v_pk_fma_f32 v[10:11], v[10:11], v[78:79], v[14:15] op_sel:[0,1,0]
	v_pk_fma_f32 v[12:13], v[12:13], v[78:79], v[16:17] op_sel:[0,1,0]
	v_mov_b32_e32 v26, v81
	v_pk_fma_f32 v[6:7], v[6:7], v[80:81], v[10:11] op_sel_hi:[1,0,1]
	v_pk_fma_f32 v[8:9], v[8:9], v[80:81], v[12:13] op_sel_hi:[1,0,1]
	v_pk_fma_f32 v[2:3], v[2:3], v[26:27], v[6:7] op_sel_hi:[1,0,1]
	v_pk_fma_f32 v[4:5], v[4:5], v[26:27], v[8:9] op_sel_hi:[1,0,1]
	s_waitcnt vmcnt(4)
	v_pk_fma_f32 v[2:3], v[50:51], v[82:83], v[2:3] op_sel_hi:[1,0,1]
	v_pk_fma_f32 v[4:5], v[52:53], v[82:83], v[4:5] op_sel_hi:[1,0,1]
	v_pk_fma_f32 v[2:3], v[34:35], v[82:83], v[2:3] op_sel:[0,1,0]
	v_pk_fma_f32 v[4:5], v[36:37], v[82:83], v[4:5] op_sel:[0,1,0]
	v_mov_b32_e32 v28, v85
	v_pk_fma_f32 v[2:3], v[22:23], v[84:85], v[2:3] op_sel_hi:[1,0,1]
	v_pk_fma_f32 v[4:5], v[24:25], v[84:85], v[4:5] op_sel_hi:[1,0,1]
	v_pk_fma_f32 v[2:3], v[18:19], v[28:29], v[2:3] op_sel_hi:[1,0,1]
	v_pk_fma_f32 v[4:5], v[20:21], v[28:29], v[4:5] op_sel_hi:[1,0,1]
	;; [unrolled: 10-line block ×3, first 2 shown]
	s_waitcnt vmcnt(2)
	v_pk_fma_f32 v[2:3], v[74:75], v[90:91], v[2:3] op_sel_hi:[1,0,1]
	v_pk_fma_f32 v[4:5], v[76:77], v[90:91], v[4:5] op_sel_hi:[1,0,1]
	v_pk_fma_f32 v[2:3], v[70:71], v[90:91], v[2:3] op_sel:[0,1,0]
	v_pk_fma_f32 v[4:5], v[72:73], v[90:91], v[4:5] op_sel:[0,1,0]
	v_mov_b32_e32 v38, v93
	s_waitcnt vmcnt(1)
	v_pk_fma_f32 v[2:3], v[94:95], v[92:93], v[2:3] op_sel_hi:[1,0,1]
	v_pk_fma_f32 v[4:5], v[96:97], v[92:93], v[4:5] op_sel_hi:[1,0,1]
	s_waitcnt vmcnt(0)
	v_pk_fma_f32 v[32:33], v[98:99], v[38:39], v[2:3] op_sel_hi:[1,0,1]
	v_pk_fma_f32 v[28:29], v[100:101], v[38:39], v[4:5] op_sel_hi:[1,0,1]
	s_andn2_b64 exec, exec, s[8:9]
	s_cbranch_execnz .LBB21_33
; %bb.34:
	s_or_b64 exec, exec, s[8:9]
.LBB21_35:
	s_or_b64 exec, exec, s[2:3]
.LBB21_36:
	s_or_b64 exec, exec, s[6:7]
.LBB21_37:
	v_mov_b32_dpp v0, v32 row_shr:1 row_mask:0xf bank_mask:0xf
	v_mov_b32_dpp v1, v33 row_shr:1 row_mask:0xf bank_mask:0xf
	;; [unrolled: 1-line block ×4, first 2 shown]
	v_pk_add_f32 v[0:1], v[32:33], v[0:1]
	v_pk_add_f32 v[4:5], v[28:29], v[4:5]
	v_cmp_eq_u32_e32 vcc, 7, v42
	v_mov_b32_dpp v2, v0 row_shr:2 row_mask:0xf bank_mask:0xf
	v_mov_b32_dpp v3, v1 row_shr:2 row_mask:0xf bank_mask:0xf
	;; [unrolled: 1-line block ×4, first 2 shown]
	v_pk_add_f32 v[0:1], v[0:1], v[2:3]
	v_pk_add_f32 v[4:5], v[4:5], v[6:7]
	s_nop 0
	v_mov_b32_dpp v2, v0 row_shr:4 row_mask:0xf bank_mask:0xe
	v_mov_b32_dpp v3, v1 row_shr:4 row_mask:0xf bank_mask:0xe
	;; [unrolled: 1-line block ×4, first 2 shown]
	s_and_b64 exec, exec, vcc
	s_cbranch_execz .LBB21_10
; %bb.38:
	s_load_dwordx2 s[0:1], s[0:1], 0x50
	v_cmp_eq_f32_e64 s[2:3], s14, 0
	v_pk_add_f32 v[2:3], v[0:1], v[2:3]
	v_pk_add_f32 v[0:1], v[4:5], v[6:7]
	s_and_b64 vcc, exec, s[2:3]
	v_lshlrev_b32_e32 v4, 2, v40
	s_cbranch_vccz .LBB21_40
; %bb.39:
	v_ashrrev_i32_e32 v5, 31, v4
	s_waitcnt lgkmcnt(0)
	v_lshl_add_u64 v[10:11], v[4:5], 2, s[0:1]
	v_pk_mul_f32 v[6:7], s[12:13], v[2:3] op_sel_hi:[0,1]
	v_pk_mul_f32 v[8:9], s[12:13], v[0:1] op_sel_hi:[0,1]
	global_store_dwordx4 v[10:11], v[6:9], off
	s_cbranch_execnz .LBB21_10
	s_branch .LBB21_41
.LBB21_40:
.LBB21_41:
	v_ashrrev_i32_e32 v5, 31, v4
	s_waitcnt lgkmcnt(0)
	v_lshl_add_u64 v[8:9], v[4:5], 2, s[0:1]
	global_load_dwordx4 v[4:7], v[8:9], off
	v_pk_mul_f32 v[2:3], s[12:13], v[2:3] op_sel_hi:[0,1]
	v_pk_mul_f32 v[10:11], s[12:13], v[0:1] op_sel_hi:[0,1]
	s_waitcnt vmcnt(0)
	v_pk_fma_f32 v[0:1], s[14:15], v[4:5], v[2:3] op_sel_hi:[0,1,1]
	v_pk_fma_f32 v[2:3], s[14:15], v[6:7], v[10:11] op_sel_hi:[0,1,1]
	global_store_dwordx4 v[8:9], v[0:3], off
	s_endpgm
	.section	.rodata,"a",@progbits
	.p2align	6, 0x0
	.amdhsa_kernel _ZN9rocsparseL18bsrxmvn_4x4_kernelILj128ELj8EflifffEEvT3_20rocsparse_direction_NS_24const_host_device_scalarIT1_EES1_PKS1_PKT2_SA_S7_PKT4_PKT5_S5_PT6_21rocsparse_index_base_b
		.amdhsa_group_segment_fixed_size 0
		.amdhsa_private_segment_fixed_size 0
		.amdhsa_kernarg_size 96
		.amdhsa_user_sgpr_count 2
		.amdhsa_user_sgpr_dispatch_ptr 0
		.amdhsa_user_sgpr_queue_ptr 0
		.amdhsa_user_sgpr_kernarg_segment_ptr 1
		.amdhsa_user_sgpr_dispatch_id 0
		.amdhsa_user_sgpr_kernarg_preload_length 0
		.amdhsa_user_sgpr_kernarg_preload_offset 0
		.amdhsa_user_sgpr_private_segment_size 0
		.amdhsa_uses_dynamic_stack 0
		.amdhsa_enable_private_segment 0
		.amdhsa_system_sgpr_workgroup_id_x 1
		.amdhsa_system_sgpr_workgroup_id_y 0
		.amdhsa_system_sgpr_workgroup_id_z 0
		.amdhsa_system_sgpr_workgroup_info 0
		.amdhsa_system_vgpr_workitem_id 0
		.amdhsa_next_free_vgpr 104
		.amdhsa_next_free_sgpr 24
		.amdhsa_accum_offset 104
		.amdhsa_reserve_vcc 1
		.amdhsa_float_round_mode_32 0
		.amdhsa_float_round_mode_16_64 0
		.amdhsa_float_denorm_mode_32 3
		.amdhsa_float_denorm_mode_16_64 3
		.amdhsa_dx10_clamp 1
		.amdhsa_ieee_mode 1
		.amdhsa_fp16_overflow 0
		.amdhsa_tg_split 0
		.amdhsa_exception_fp_ieee_invalid_op 0
		.amdhsa_exception_fp_denorm_src 0
		.amdhsa_exception_fp_ieee_div_zero 0
		.amdhsa_exception_fp_ieee_overflow 0
		.amdhsa_exception_fp_ieee_underflow 0
		.amdhsa_exception_fp_ieee_inexact 0
		.amdhsa_exception_int_div_zero 0
	.end_amdhsa_kernel
	.section	.text._ZN9rocsparseL18bsrxmvn_4x4_kernelILj128ELj8EflifffEEvT3_20rocsparse_direction_NS_24const_host_device_scalarIT1_EES1_PKS1_PKT2_SA_S7_PKT4_PKT5_S5_PT6_21rocsparse_index_base_b,"axG",@progbits,_ZN9rocsparseL18bsrxmvn_4x4_kernelILj128ELj8EflifffEEvT3_20rocsparse_direction_NS_24const_host_device_scalarIT1_EES1_PKS1_PKT2_SA_S7_PKT4_PKT5_S5_PT6_21rocsparse_index_base_b,comdat
.Lfunc_end21:
	.size	_ZN9rocsparseL18bsrxmvn_4x4_kernelILj128ELj8EflifffEEvT3_20rocsparse_direction_NS_24const_host_device_scalarIT1_EES1_PKS1_PKT2_SA_S7_PKT4_PKT5_S5_PT6_21rocsparse_index_base_b, .Lfunc_end21-_ZN9rocsparseL18bsrxmvn_4x4_kernelILj128ELj8EflifffEEvT3_20rocsparse_direction_NS_24const_host_device_scalarIT1_EES1_PKS1_PKT2_SA_S7_PKT4_PKT5_S5_PT6_21rocsparse_index_base_b
                                        ; -- End function
	.set _ZN9rocsparseL18bsrxmvn_4x4_kernelILj128ELj8EflifffEEvT3_20rocsparse_direction_NS_24const_host_device_scalarIT1_EES1_PKS1_PKT2_SA_S7_PKT4_PKT5_S5_PT6_21rocsparse_index_base_b.num_vgpr, 104
	.set _ZN9rocsparseL18bsrxmvn_4x4_kernelILj128ELj8EflifffEEvT3_20rocsparse_direction_NS_24const_host_device_scalarIT1_EES1_PKS1_PKT2_SA_S7_PKT4_PKT5_S5_PT6_21rocsparse_index_base_b.num_agpr, 0
	.set _ZN9rocsparseL18bsrxmvn_4x4_kernelILj128ELj8EflifffEEvT3_20rocsparse_direction_NS_24const_host_device_scalarIT1_EES1_PKS1_PKT2_SA_S7_PKT4_PKT5_S5_PT6_21rocsparse_index_base_b.numbered_sgpr, 24
	.set _ZN9rocsparseL18bsrxmvn_4x4_kernelILj128ELj8EflifffEEvT3_20rocsparse_direction_NS_24const_host_device_scalarIT1_EES1_PKS1_PKT2_SA_S7_PKT4_PKT5_S5_PT6_21rocsparse_index_base_b.num_named_barrier, 0
	.set _ZN9rocsparseL18bsrxmvn_4x4_kernelILj128ELj8EflifffEEvT3_20rocsparse_direction_NS_24const_host_device_scalarIT1_EES1_PKS1_PKT2_SA_S7_PKT4_PKT5_S5_PT6_21rocsparse_index_base_b.private_seg_size, 0
	.set _ZN9rocsparseL18bsrxmvn_4x4_kernelILj128ELj8EflifffEEvT3_20rocsparse_direction_NS_24const_host_device_scalarIT1_EES1_PKS1_PKT2_SA_S7_PKT4_PKT5_S5_PT6_21rocsparse_index_base_b.uses_vcc, 1
	.set _ZN9rocsparseL18bsrxmvn_4x4_kernelILj128ELj8EflifffEEvT3_20rocsparse_direction_NS_24const_host_device_scalarIT1_EES1_PKS1_PKT2_SA_S7_PKT4_PKT5_S5_PT6_21rocsparse_index_base_b.uses_flat_scratch, 0
	.set _ZN9rocsparseL18bsrxmvn_4x4_kernelILj128ELj8EflifffEEvT3_20rocsparse_direction_NS_24const_host_device_scalarIT1_EES1_PKS1_PKT2_SA_S7_PKT4_PKT5_S5_PT6_21rocsparse_index_base_b.has_dyn_sized_stack, 0
	.set _ZN9rocsparseL18bsrxmvn_4x4_kernelILj128ELj8EflifffEEvT3_20rocsparse_direction_NS_24const_host_device_scalarIT1_EES1_PKS1_PKT2_SA_S7_PKT4_PKT5_S5_PT6_21rocsparse_index_base_b.has_recursion, 0
	.set _ZN9rocsparseL18bsrxmvn_4x4_kernelILj128ELj8EflifffEEvT3_20rocsparse_direction_NS_24const_host_device_scalarIT1_EES1_PKS1_PKT2_SA_S7_PKT4_PKT5_S5_PT6_21rocsparse_index_base_b.has_indirect_call, 0
	.section	.AMDGPU.csdata,"",@progbits
; Kernel info:
; codeLenInByte = 3244
; TotalNumSgprs: 30
; NumVgprs: 104
; NumAgprs: 0
; TotalNumVgprs: 104
; ScratchSize: 0
; MemoryBound: 0
; FloatMode: 240
; IeeeMode: 1
; LDSByteSize: 0 bytes/workgroup (compile time only)
; SGPRBlocks: 3
; VGPRBlocks: 12
; NumSGPRsForWavesPerEU: 30
; NumVGPRsForWavesPerEU: 104
; AccumOffset: 104
; Occupancy: 4
; WaveLimiterHint : 1
; COMPUTE_PGM_RSRC2:SCRATCH_EN: 0
; COMPUTE_PGM_RSRC2:USER_SGPR: 2
; COMPUTE_PGM_RSRC2:TRAP_HANDLER: 0
; COMPUTE_PGM_RSRC2:TGID_X_EN: 1
; COMPUTE_PGM_RSRC2:TGID_Y_EN: 0
; COMPUTE_PGM_RSRC2:TGID_Z_EN: 0
; COMPUTE_PGM_RSRC2:TIDIG_COMP_CNT: 0
; COMPUTE_PGM_RSRC3_GFX90A:ACCUM_OFFSET: 25
; COMPUTE_PGM_RSRC3_GFX90A:TG_SPLIT: 0
	.section	.text._ZN9rocsparseL18bsrxmvn_4x4_kernelILj128ELj16EflifffEEvT3_20rocsparse_direction_NS_24const_host_device_scalarIT1_EES1_PKS1_PKT2_SA_S7_PKT4_PKT5_S5_PT6_21rocsparse_index_base_b,"axG",@progbits,_ZN9rocsparseL18bsrxmvn_4x4_kernelILj128ELj16EflifffEEvT3_20rocsparse_direction_NS_24const_host_device_scalarIT1_EES1_PKS1_PKT2_SA_S7_PKT4_PKT5_S5_PT6_21rocsparse_index_base_b,comdat
	.globl	_ZN9rocsparseL18bsrxmvn_4x4_kernelILj128ELj16EflifffEEvT3_20rocsparse_direction_NS_24const_host_device_scalarIT1_EES1_PKS1_PKT2_SA_S7_PKT4_PKT5_S5_PT6_21rocsparse_index_base_b ; -- Begin function _ZN9rocsparseL18bsrxmvn_4x4_kernelILj128ELj16EflifffEEvT3_20rocsparse_direction_NS_24const_host_device_scalarIT1_EES1_PKS1_PKT2_SA_S7_PKT4_PKT5_S5_PT6_21rocsparse_index_base_b
	.p2align	8
	.type	_ZN9rocsparseL18bsrxmvn_4x4_kernelILj128ELj16EflifffEEvT3_20rocsparse_direction_NS_24const_host_device_scalarIT1_EES1_PKS1_PKT2_SA_S7_PKT4_PKT5_S5_PT6_21rocsparse_index_base_b,@function
_ZN9rocsparseL18bsrxmvn_4x4_kernelILj128ELj16EflifffEEvT3_20rocsparse_direction_NS_24const_host_device_scalarIT1_EES1_PKS1_PKT2_SA_S7_PKT4_PKT5_S5_PT6_21rocsparse_index_base_b: ; @_ZN9rocsparseL18bsrxmvn_4x4_kernelILj128ELj16EflifffEEvT3_20rocsparse_direction_NS_24const_host_device_scalarIT1_EES1_PKS1_PKT2_SA_S7_PKT4_PKT5_S5_PT6_21rocsparse_index_base_b
; %bb.0:
	s_load_dwordx2 s[16:17], s[0:1], 0x58
	s_load_dwordx2 s[12:13], s[0:1], 0x8
	;; [unrolled: 1-line block ×3, first 2 shown]
	s_waitcnt lgkmcnt(0)
	s_bitcmp1_b32 s17, 0
	s_cselect_b64 s[6:7], -1, 0
	s_xor_b64 s[4:5], s[6:7], -1
	s_and_b64 vcc, exec, s[6:7]
	s_cbranch_vccnz .LBB22_2
; %bb.1:
	s_load_dword s12, s[12:13], 0x0
.LBB22_2:
	s_andn2_b64 vcc, exec, s[4:5]
	s_cbranch_vccnz .LBB22_4
; %bb.3:
	s_load_dword s14, s[14:15], 0x0
.LBB22_4:
	s_waitcnt lgkmcnt(0)
	v_cmp_neq_f32_e64 s[4:5], s12, 0
	v_cmp_neq_f32_e64 s[6:7], s14, 1.0
	s_or_b64 s[4:5], s[4:5], s[6:7]
	s_andn2_b64 vcc, exec, s[4:5]
	s_cbranch_vccnz .LBB22_10
; %bb.5:
	s_load_dwordx2 s[4:5], s[0:1], 0x18
	s_load_dwordx2 s[18:19], s[0:1], 0x0
	v_lshrrev_b32_e32 v1, 4, v0
	v_lshl_or_b32 v2, s2, 3, v1
	s_mov_b64 s[2:3], 0
	s_waitcnt lgkmcnt(0)
	s_cmp_lg_u64 s[4:5], 0
	s_cbranch_scc0 .LBB22_11
; %bb.6:
	s_load_dword s6, s[0:1], 0x10
                                        ; implicit-def: $vgpr1
	s_waitcnt lgkmcnt(0)
	v_cmp_gt_i32_e32 vcc, s6, v2
	s_and_saveexec_b64 s[6:7], vcc
	s_xor_b64 s[6:7], exec, s[6:7]
	s_cbranch_execz .LBB22_8
; %bb.7:
	v_ashrrev_i32_e32 v3, 31, v2
	v_lshl_add_u64 v[4:5], v[2:3], 2, s[4:5]
	global_load_dword v1, v[4:5], off
	s_mov_b64 s[2:3], exec
	s_waitcnt vmcnt(0)
	v_subrev_u32_e32 v1, s16, v1
.LBB22_8:
	s_or_b64 exec, exec, s[6:7]
	s_branch .LBB22_12
.LBB22_9:
	v_cmp_gt_i32_e32 vcc, s18, v2
	s_andn2_b64 s[2:3], s[2:3], exec
	s_and_b64 s[4:5], vcc, exec
	s_or_b64 s[2:3], s[2:3], s[4:5]
	s_and_saveexec_b64 s[4:5], s[2:3]
	s_cbranch_execnz .LBB22_13
.LBB22_10:
	s_endpgm
.LBB22_11:
                                        ; implicit-def: $vgpr1
	s_cbranch_execnz .LBB22_9
.LBB22_12:
	v_mov_b32_e32 v2, v1
	s_and_saveexec_b64 s[4:5], s[2:3]
	s_cbranch_execz .LBB22_10
.LBB22_13:
	s_load_dwordx8 s[4:11], s[0:1], 0x20
	v_ashrrev_i32_e32 v3, 31, v2
	v_lshlrev_b64 v[4:5], 3, v[2:3]
	v_and_b32_e32 v0, 15, v0
	v_mov_b32_e32 v1, 0
	s_waitcnt lgkmcnt(0)
	v_lshl_add_u64 v[6:7], s[4:5], 0, v[4:5]
	s_cmp_eq_u64 s[6:7], 0
	v_lshl_add_u64 v[4:5], s[6:7], 0, v[4:5]
	global_load_dwordx2 v[14:15], v[6:7], off
	v_lshl_add_u64 v[6:7], v[6:7], 0, 8
	s_cselect_b64 vcc, -1, 0
	v_cndmask_b32_e32 v5, v5, v7, vcc
	v_cndmask_b32_e32 v4, v4, v6, vcc
	global_load_dwordx2 v[6:7], v[4:5], off
	s_load_dwordx2 s[4:5], s[0:1], 0x40
	s_cmp_eq_u32 s19, 1
	s_waitcnt vmcnt(1)
	v_subrev_co_u32_e32 v4, vcc, s16, v14
	s_nop 1
	v_subbrev_co_u32_e32 v5, vcc, 0, v15, vcc
	v_lshl_add_u64 v[4:5], v[4:5], 0, v[0:1]
	s_waitcnt vmcnt(0)
	v_subrev_co_u32_e32 v6, vcc, s16, v6
	v_lshlrev_b64 v[8:9], 6, v[4:5]
	s_nop 0
	v_subbrev_co_u32_e32 v7, vcc, 0, v7, vcc
	v_lshl_add_u64 v[8:9], s[10:11], 0, v[8:9]
	v_cmp_lt_i64_e64 s[2:3], v[4:5], v[6:7]
	s_cbranch_scc1 .LBB22_25
; %bb.14:
	v_mov_b32_e32 v10, v1
	v_mov_b32_e32 v13, v1
	v_mov_b32_e32 v12, v1
	s_and_saveexec_b64 s[6:7], s[2:3]
	s_cbranch_execz .LBB22_24
; %bb.15:
	v_or_b32_e32 v1, 16, v0
	v_subrev_co_u32_e32 v10, vcc, s16, v1
	v_not_b32_e32 v13, v15
	s_nop 0
	v_subb_co_u32_e64 v11, s[10:11], 0, 0, vcc
	v_lshl_add_u64 v[10:11], v[10:11], 0, v[14:15]
	v_cmp_gt_i64_e32 vcc, v[10:11], v[6:7]
	v_not_b32_e32 v12, v14
	v_mov_b64_e32 v[18:19], v[8:9]
	v_cndmask_b32_e32 v11, v7, v11, vcc
	v_cndmask_b32_e32 v10, v6, v10, vcc
	v_sub_co_u32_e32 v16, vcc, s16, v0
	s_nop 1
	v_subb_co_u32_e64 v17, s[10:11], 0, 0, vcc
	v_lshl_add_u64 v[12:13], v[16:17], 0, v[12:13]
	v_lshl_add_u64 v[20:21], v[12:13], 0, v[10:11]
	v_mov_b32_e32 v10, 0
	v_and_b32_e32 v12, 48, v20
	v_mov_b32_e32 v13, v10
	v_mov_b32_e32 v11, v10
	v_cmp_ne_u64_e32 vcc, 48, v[12:13]
	v_mov_b64_e32 v[12:13], v[10:11]
	v_mov_b64_e32 v[16:17], v[4:5]
	s_and_saveexec_b64 s[10:11], vcc
	s_cbranch_execz .LBB22_19
; %bb.16:
	v_lshrrev_b32_e32 v1, 4, v20
	v_add_u32_e32 v1, 1, v1
	v_and_b32_e32 v1, 3, v1
	v_sub_co_u32_e32 v24, vcc, 0, v1
	v_lshl_add_u64 v[22:23], v[4:5], 2, s[8:9]
	s_nop 0
	v_subb_co_u32_e64 v25, s[20:21], 0, 0, vcc
	s_mov_b64 s[18:19], 0
	s_mov_b64 s[20:21], 0x400
	v_mov_b64_e32 v[18:19], v[8:9]
	v_mov_b64_e32 v[16:17], v[4:5]
	v_mov_b32_e32 v11, v10
	v_mov_b32_e32 v12, v10
	;; [unrolled: 1-line block ×3, first 2 shown]
.LBB22_17:                              ; =>This Inner Loop Header: Depth=1
	global_load_dword v1, v[22:23], off
	global_load_dwordx4 v[40:43], v[18:19], off
	global_load_dwordx4 v[26:29], v[18:19], off offset:16
	global_load_dwordx4 v[44:47], v[18:19], off offset:32
	global_load_dwordx4 v[30:33], v[18:19], off offset:48
	v_lshl_add_u64 v[24:25], v[24:25], 0, 1
	v_cmp_eq_u64_e32 vcc, 0, v[24:25]
	v_lshl_add_u64 v[18:19], v[18:19], 0, s[20:21]
	v_lshl_add_u64 v[16:17], v[16:17], 0, 16
	v_lshl_add_u64 v[22:23], v[22:23], 0, 64
	s_or_b64 s[18:19], vcc, s[18:19]
	s_waitcnt vmcnt(4)
	v_subrev_u32_e32 v1, s16, v1
	v_lshlrev_b32_e32 v34, 2, v1
	v_ashrrev_i32_e32 v35, 31, v34
	s_waitcnt lgkmcnt(0)
	v_lshl_add_u64 v[34:35], v[34:35], 2, s[4:5]
	global_load_dwordx4 v[34:37], v[34:35], off
	s_waitcnt vmcnt(4)
	v_mov_b32_e32 v38, v40
	s_waitcnt vmcnt(3)
	v_mov_b32_e32 v39, v26
	v_mov_b32_e32 v26, v41
	;; [unrolled: 1-line block ×5, first 2 shown]
	s_waitcnt vmcnt(2)
	v_mov_b32_e32 v42, v44
	s_waitcnt vmcnt(1)
	v_mov_b32_e32 v43, v30
	v_mov_b32_e32 v30, v45
	;; [unrolled: 1-line block ×5, first 2 shown]
	s_waitcnt vmcnt(0)
	v_pk_fma_f32 v[12:13], v[38:39], v[34:35], v[12:13] op_sel_hi:[1,0,1]
	v_pk_fma_f32 v[10:11], v[42:43], v[34:35], v[10:11] op_sel_hi:[1,0,1]
	v_pk_fma_f32 v[12:13], v[26:27], v[34:35], v[12:13] op_sel:[0,1,0]
	v_pk_fma_f32 v[10:11], v[30:31], v[34:35], v[10:11] op_sel:[0,1,0]
	v_mov_b32_e32 v38, v37
	v_pk_fma_f32 v[12:13], v[40:41], v[36:37], v[12:13] op_sel_hi:[1,0,1]
	v_pk_fma_f32 v[10:11], v[44:45], v[36:37], v[10:11] op_sel_hi:[1,0,1]
	;; [unrolled: 1-line block ×4, first 2 shown]
	s_andn2_b64 exec, exec, s[18:19]
	s_cbranch_execnz .LBB22_17
; %bb.18:
	s_or_b64 exec, exec, s[18:19]
.LBB22_19:
	s_or_b64 exec, exec, s[10:11]
	v_cmp_lt_u64_e32 vcc, 47, v[20:21]
	s_and_saveexec_b64 s[10:11], vcc
	s_cbranch_execz .LBB22_23
; %bb.20:
	v_lshl_add_u64 v[20:21], v[16:17], 2, s[8:9]
	s_mov_b64 s[18:19], 0x80
	v_lshl_add_u64 v[20:21], v[20:21], 0, s[18:19]
	s_mov_b64 s[18:19], 0
	s_mov_b64 s[20:21], 0x1000
	s_mov_b64 s[22:23], 0x100
.LBB22_21:                              ; =>This Inner Loop Header: Depth=1
	global_load_dword v1, v[20:21], off offset:-128
	global_load_dword v3, v[20:21], off offset:-64
	global_load_dword v54, v[20:21], off
	global_load_dword v55, v[20:21], off offset:64
	global_load_dwordx4 v[80:83], v[18:19], off
	global_load_dwordx4 v[22:25], v[18:19], off offset:16
	global_load_dwordx4 v[84:87], v[18:19], off offset:32
	;; [unrolled: 1-line block ×15, first 2 shown]
	v_lshl_add_u64 v[16:17], v[16:17], 0, 64
	v_cmp_ge_i64_e32 vcc, v[16:17], v[6:7]
	v_lshl_add_u64 v[18:19], v[18:19], 0, s[20:21]
	v_lshl_add_u64 v[20:21], v[20:21], 0, s[22:23]
	s_or_b64 s[18:19], vcc, s[18:19]
	s_waitcnt vmcnt(19)
	v_subrev_u32_e32 v1, s16, v1
	s_waitcnt vmcnt(18)
	v_subrev_u32_e32 v3, s16, v3
	;; [unrolled: 2-line block ×4, first 2 shown]
	v_lshlrev_b32_e32 v54, 2, v1
	v_lshlrev_b32_e32 v56, 2, v3
	;; [unrolled: 1-line block ×4, first 2 shown]
	v_ashrrev_i32_e32 v55, 31, v54
	v_ashrrev_i32_e32 v57, 31, v56
	;; [unrolled: 1-line block ×4, first 2 shown]
	s_waitcnt lgkmcnt(0)
	v_lshl_add_u64 v[72:73], v[54:55], 2, s[4:5]
	v_lshl_add_u64 v[74:75], v[56:57], 2, s[4:5]
	;; [unrolled: 1-line block ×4, first 2 shown]
	global_load_dwordx4 v[54:57], v[72:73], off
	global_load_dwordx4 v[58:61], v[74:75], off
	;; [unrolled: 1-line block ×4, first 2 shown]
	s_waitcnt vmcnt(19)
	v_mov_b32_e32 v70, v80
	s_waitcnt vmcnt(18)
	v_mov_b32_e32 v71, v22
	;; [unrolled: 2-line block ×4, first 2 shown]
	v_mov_b32_e32 v22, v81
	v_mov_b32_e32 v26, v85
	;; [unrolled: 1-line block ×8, first 2 shown]
	s_waitcnt vmcnt(12)
	v_mov_b32_e32 v78, v92
	v_mov_b32_e32 v79, v34
	;; [unrolled: 1-line block ×12, first 2 shown]
	s_waitcnt vmcnt(8)
	v_mov_b32_e32 v82, v100
	v_mov_b32_e32 v83, v42
	;; [unrolled: 1-line block ×12, first 2 shown]
	s_waitcnt vmcnt(3)
	v_pk_fma_f32 v[12:13], v[70:71], v[54:55], v[12:13] op_sel_hi:[1,0,1]
	v_pk_fma_f32 v[10:11], v[72:73], v[54:55], v[10:11] op_sel_hi:[1,0,1]
	v_pk_fma_f32 v[12:13], v[22:23], v[54:55], v[12:13] op_sel:[0,1,0]
	v_pk_fma_f32 v[10:11], v[26:27], v[54:55], v[10:11] op_sel:[0,1,0]
	v_pk_fma_f32 v[12:13], v[74:75], v[56:57], v[12:13] op_sel_hi:[1,0,1]
	v_pk_fma_f32 v[10:11], v[76:77], v[56:57], v[10:11] op_sel_hi:[1,0,1]
	v_mov_b32_e32 v54, v57
	v_pk_fma_f32 v[12:13], v[24:25], v[54:55], v[12:13] op_sel_hi:[1,0,1]
	v_pk_fma_f32 v[10:11], v[28:29], v[54:55], v[10:11] op_sel_hi:[1,0,1]
	s_waitcnt vmcnt(2)
	v_pk_fma_f32 v[12:13], v[78:79], v[58:59], v[12:13] op_sel_hi:[1,0,1]
	v_pk_fma_f32 v[10:11], v[86:87], v[58:59], v[10:11] op_sel_hi:[1,0,1]
	v_pk_fma_f32 v[12:13], v[34:35], v[58:59], v[12:13] op_sel:[0,1,0]
	v_pk_fma_f32 v[10:11], v[30:31], v[58:59], v[10:11] op_sel:[0,1,0]
	v_mov_b32_e32 v56, v61
	v_pk_fma_f32 v[12:13], v[80:81], v[60:61], v[12:13] op_sel_hi:[1,0,1]
	v_pk_fma_f32 v[10:11], v[88:89], v[60:61], v[10:11] op_sel_hi:[1,0,1]
	v_pk_fma_f32 v[12:13], v[36:37], v[56:57], v[12:13] op_sel_hi:[1,0,1]
	v_pk_fma_f32 v[10:11], v[32:33], v[56:57], v[10:11] op_sel_hi:[1,0,1]
	s_waitcnt vmcnt(1)
	v_pk_fma_f32 v[12:13], v[82:83], v[62:63], v[12:13] op_sel_hi:[1,0,1]
	v_pk_fma_f32 v[10:11], v[90:91], v[62:63], v[10:11] op_sel_hi:[1,0,1]
	v_pk_fma_f32 v[12:13], v[42:43], v[62:63], v[12:13] op_sel:[0,1,0]
	v_pk_fma_f32 v[10:11], v[38:39], v[62:63], v[10:11] op_sel:[0,1,0]
	v_mov_b32_e32 v24, v65
	v_pk_fma_f32 v[12:13], v[84:85], v[64:65], v[12:13] op_sel_hi:[1,0,1]
	v_pk_fma_f32 v[10:11], v[92:93], v[64:65], v[10:11] op_sel_hi:[1,0,1]
	v_mov_b32_e32 v70, v108
	v_mov_b32_e32 v71, v50
	v_mov_b32_e32 v22, v104
	v_mov_b32_e32 v23, v46
	v_pk_fma_f32 v[12:13], v[44:45], v[24:25], v[12:13] op_sel_hi:[1,0,1]
	v_pk_fma_f32 v[10:11], v[40:41], v[24:25], v[10:11] op_sel_hi:[1,0,1]
	v_mov_b32_e32 v50, v109
	v_mov_b32_e32 v46, v105
	s_waitcnt vmcnt(0)
	v_pk_fma_f32 v[12:13], v[70:71], v[66:67], v[12:13] op_sel_hi:[1,0,1]
	v_pk_fma_f32 v[10:11], v[22:23], v[66:67], v[10:11] op_sel_hi:[1,0,1]
	v_mov_b32_e32 v72, v110
	v_mov_b32_e32 v73, v52
	;; [unrolled: 1-line block ×4, first 2 shown]
	v_pk_fma_f32 v[12:13], v[50:51], v[66:67], v[12:13] op_sel:[0,1,0]
	v_pk_fma_f32 v[10:11], v[46:47], v[66:67], v[10:11] op_sel:[0,1,0]
	v_mov_b32_e32 v52, v111
	v_mov_b32_e32 v48, v107
	v_mov_b32_e32 v74, v69
	v_pk_fma_f32 v[12:13], v[72:73], v[68:69], v[12:13] op_sel_hi:[1,0,1]
	v_pk_fma_f32 v[10:11], v[26:27], v[68:69], v[10:11] op_sel_hi:[1,0,1]
	;; [unrolled: 1-line block ×4, first 2 shown]
	s_andn2_b64 exec, exec, s[18:19]
	s_cbranch_execnz .LBB22_21
; %bb.22:
	s_or_b64 exec, exec, s[18:19]
.LBB22_23:
	s_or_b64 exec, exec, s[10:11]
	v_mov_b32_e32 v1, v11
.LBB22_24:
	s_or_b64 exec, exec, s[6:7]
	v_mov_b32_e32 v11, v1
	s_cbranch_execz .LBB22_26
	s_branch .LBB22_37
.LBB22_25:
                                        ; implicit-def: $vgpr11
                                        ; implicit-def: $vgpr13
.LBB22_26:
	v_mov_b32_e32 v11, 0
	v_mov_b32_e32 v10, 0
	;; [unrolled: 1-line block ×4, first 2 shown]
	s_and_saveexec_b64 s[6:7], s[2:3]
	s_cbranch_execz .LBB22_36
; %bb.27:
	v_or_b32_e32 v1, 16, v0
	v_subrev_co_u32_e32 v10, vcc, s16, v1
	v_not_b32_e32 v12, v14
	s_nop 0
	v_subb_co_u32_e64 v11, s[2:3], 0, 0, vcc
	v_lshl_add_u64 v[10:11], v[10:11], 0, v[14:15]
	v_cmp_gt_i64_e32 vcc, v[10:11], v[6:7]
	v_not_b32_e32 v13, v15
	s_nop 0
	v_cndmask_b32_e32 v11, v7, v11, vcc
	v_cndmask_b32_e32 v10, v6, v10, vcc
	v_sub_co_u32_e32 v14, vcc, s16, v0
	s_nop 1
	v_subb_co_u32_e64 v15, s[2:3], 0, 0, vcc
	v_lshl_add_u64 v[12:13], v[14:15], 0, v[12:13]
	v_lshl_add_u64 v[14:15], v[12:13], 0, v[10:11]
	v_mov_b32_e32 v10, 0
	v_and_b32_e32 v12, 48, v14
	v_mov_b32_e32 v13, v10
	v_mov_b32_e32 v11, v10
	v_cmp_ne_u64_e32 vcc, 48, v[12:13]
	v_mov_b64_e32 v[12:13], v[10:11]
	s_and_saveexec_b64 s[2:3], vcc
	s_cbranch_execz .LBB22_31
; %bb.28:
	v_lshrrev_b32_e32 v1, 4, v14
	v_add_u32_e32 v1, 1, v1
	v_and_b32_e32 v1, 3, v1
	v_sub_co_u32_e32 v18, vcc, 0, v1
	v_lshl_add_u64 v[16:17], v[4:5], 2, s[8:9]
	s_nop 0
	v_subb_co_u32_e64 v19, s[18:19], 0, 0, vcc
	s_mov_b64 s[10:11], 0
	s_mov_b64 s[18:19], 0x400
	v_mov_b32_e32 v11, v10
	v_mov_b32_e32 v12, v10
	;; [unrolled: 1-line block ×3, first 2 shown]
.LBB22_29:                              ; =>This Inner Loop Header: Depth=1
	global_load_dword v1, v[16:17], off
	global_load_dwordx4 v[20:23], v[8:9], off offset:16
	global_load_dwordx4 v[24:27], v[8:9], off
	v_lshl_add_u64 v[18:19], v[18:19], 0, 1
	v_cmp_eq_u64_e32 vcc, 0, v[18:19]
	v_lshl_add_u64 v[4:5], v[4:5], 0, 16
	v_lshl_add_u64 v[16:17], v[16:17], 0, 64
	s_or_b64 s[10:11], vcc, s[10:11]
	s_waitcnt vmcnt(2)
	v_subrev_u32_e32 v1, s16, v1
	v_lshlrev_b32_e32 v28, 2, v1
	v_ashrrev_i32_e32 v29, 31, v28
	s_waitcnt lgkmcnt(0)
	v_lshl_add_u64 v[40:41], v[28:29], 2, s[4:5]
	global_load_dwordx4 v[28:31], v[40:41], off
	global_load_dwordx4 v[32:35], v[8:9], off offset:32
	global_load_dwordx4 v[36:39], v[8:9], off offset:48
	v_lshl_add_u64 v[8:9], v[8:9], 0, s[18:19]
	s_waitcnt vmcnt(2)
	v_pk_fma_f32 v[12:13], v[24:25], v[28:29], v[12:13] op_sel_hi:[1,0,1]
	v_pk_fma_f32 v[10:11], v[26:27], v[28:29], v[10:11] op_sel_hi:[1,0,1]
	v_pk_fma_f32 v[12:13], v[20:21], v[28:29], v[12:13] op_sel:[0,1,0]
	v_pk_fma_f32 v[10:11], v[22:23], v[28:29], v[10:11] op_sel:[0,1,0]
	v_mov_b32_e32 v24, v31
	s_waitcnt vmcnt(1)
	v_pk_fma_f32 v[12:13], v[32:33], v[30:31], v[12:13] op_sel_hi:[1,0,1]
	v_pk_fma_f32 v[10:11], v[34:35], v[30:31], v[10:11] op_sel_hi:[1,0,1]
	s_waitcnt vmcnt(0)
	v_pk_fma_f32 v[12:13], v[36:37], v[24:25], v[12:13] op_sel_hi:[1,0,1]
	v_pk_fma_f32 v[10:11], v[38:39], v[24:25], v[10:11] op_sel_hi:[1,0,1]
	s_andn2_b64 exec, exec, s[10:11]
	s_cbranch_execnz .LBB22_29
; %bb.30:
	s_or_b64 exec, exec, s[10:11]
.LBB22_31:
	s_or_b64 exec, exec, s[2:3]
	v_cmp_lt_u64_e32 vcc, 47, v[14:15]
	s_and_saveexec_b64 s[2:3], vcc
	s_cbranch_execz .LBB22_35
; %bb.32:
	v_lshl_add_u64 v[14:15], v[4:5], 2, s[8:9]
	s_mov_b64 s[8:9], 0x80
	v_lshl_add_u64 v[14:15], v[14:15], 0, s[8:9]
	s_mov_b64 s[8:9], 0
	s_mov_b64 s[10:11], 0x1000
	;; [unrolled: 1-line block ×3, first 2 shown]
.LBB22_33:                              ; =>This Inner Loop Header: Depth=1
	global_load_dword v1, v[14:15], off offset:-128
	global_load_dword v3, v[14:15], off offset:-64
	global_load_dword v72, v[14:15], off
	global_load_dword v73, v[14:15], off offset:64
	global_load_dwordx4 v[16:19], v[8:9], off offset:48
	global_load_dwordx4 v[20:23], v[8:9], off offset:32
	global_load_dwordx4 v[24:27], v[8:9], off offset:16
	global_load_dwordx4 v[28:31], v[8:9], off
	global_load_dwordx4 v[32:35], v[8:9], off offset:1072
	global_load_dwordx4 v[36:39], v[8:9], off offset:1056
	;; [unrolled: 1-line block ×10, first 2 shown]
	v_lshl_add_u64 v[4:5], v[4:5], 0, 64
	v_cmp_ge_i64_e32 vcc, v[4:5], v[6:7]
	v_lshl_add_u64 v[14:15], v[14:15], 0, s[18:19]
	s_or_b64 s[8:9], vcc, s[8:9]
	s_waitcnt vmcnt(17)
	v_subrev_u32_e32 v1, s16, v1
	s_waitcnt vmcnt(16)
	v_subrev_u32_e32 v3, s16, v3
	;; [unrolled: 2-line block ×4, first 2 shown]
	v_lshlrev_b32_e32 v72, 2, v1
	v_lshlrev_b32_e32 v74, 2, v3
	;; [unrolled: 1-line block ×4, first 2 shown]
	v_ashrrev_i32_e32 v73, 31, v72
	v_ashrrev_i32_e32 v75, 31, v74
	;; [unrolled: 1-line block ×4, first 2 shown]
	s_waitcnt lgkmcnt(0)
	v_lshl_add_u64 v[96:97], v[72:73], 2, s[4:5]
	v_lshl_add_u64 v[98:99], v[74:75], 2, s[4:5]
	;; [unrolled: 1-line block ×4, first 2 shown]
	global_load_dwordx4 v[72:75], v[96:97], off
	global_load_dwordx4 v[76:79], v[98:99], off
	global_load_dwordx4 v[80:83], v[100:101], off
	global_load_dwordx4 v[84:87], v[102:103], off
	global_load_dwordx4 v[88:91], v[8:9], off offset:3104
	global_load_dwordx4 v[92:95], v[8:9], off offset:3120
	v_lshl_add_u64 v[8:9], v[8:9], 0, s[10:11]
	s_waitcnt vmcnt(5)
	v_pk_fma_f32 v[12:13], v[28:29], v[72:73], v[12:13] op_sel_hi:[1,0,1]
	v_pk_fma_f32 v[10:11], v[30:31], v[72:73], v[10:11] op_sel_hi:[1,0,1]
	v_pk_fma_f32 v[12:13], v[24:25], v[72:73], v[12:13] op_sel:[0,1,0]
	v_pk_fma_f32 v[10:11], v[26:27], v[72:73], v[10:11] op_sel:[0,1,0]
	v_mov_b32_e32 v28, v75
	v_pk_fma_f32 v[12:13], v[20:21], v[74:75], v[12:13] op_sel_hi:[1,0,1]
	v_pk_fma_f32 v[10:11], v[22:23], v[74:75], v[10:11] op_sel_hi:[1,0,1]
	v_pk_fma_f32 v[12:13], v[16:17], v[28:29], v[12:13] op_sel_hi:[1,0,1]
	v_pk_fma_f32 v[10:11], v[18:19], v[28:29], v[10:11] op_sel_hi:[1,0,1]
	s_waitcnt vmcnt(4)
	v_pk_fma_f32 v[12:13], v[44:45], v[76:77], v[12:13] op_sel_hi:[1,0,1]
	v_pk_fma_f32 v[10:11], v[46:47], v[76:77], v[10:11] op_sel_hi:[1,0,1]
	v_pk_fma_f32 v[12:13], v[40:41], v[76:77], v[12:13] op_sel:[0,1,0]
	v_pk_fma_f32 v[10:11], v[42:43], v[76:77], v[10:11] op_sel:[0,1,0]
	v_mov_b32_e32 v30, v79
	v_pk_fma_f32 v[12:13], v[36:37], v[78:79], v[12:13] op_sel_hi:[1,0,1]
	v_pk_fma_f32 v[10:11], v[38:39], v[78:79], v[10:11] op_sel_hi:[1,0,1]
	v_pk_fma_f32 v[12:13], v[32:33], v[30:31], v[12:13] op_sel_hi:[1,0,1]
	v_pk_fma_f32 v[10:11], v[34:35], v[30:31], v[10:11] op_sel_hi:[1,0,1]
	;; [unrolled: 10-line block ×3, first 2 shown]
	s_waitcnt vmcnt(2)
	v_pk_fma_f32 v[12:13], v[68:69], v[84:85], v[12:13] op_sel_hi:[1,0,1]
	v_pk_fma_f32 v[10:11], v[70:71], v[84:85], v[10:11] op_sel_hi:[1,0,1]
	v_pk_fma_f32 v[12:13], v[64:65], v[84:85], v[12:13] op_sel:[0,1,0]
	v_pk_fma_f32 v[10:11], v[66:67], v[84:85], v[10:11] op_sel:[0,1,0]
	v_mov_b32_e32 v98, v87
	s_waitcnt vmcnt(1)
	v_pk_fma_f32 v[12:13], v[88:89], v[86:87], v[12:13] op_sel_hi:[1,0,1]
	v_pk_fma_f32 v[10:11], v[90:91], v[86:87], v[10:11] op_sel_hi:[1,0,1]
	s_waitcnt vmcnt(0)
	v_pk_fma_f32 v[12:13], v[92:93], v[98:99], v[12:13] op_sel_hi:[1,0,1]
	v_pk_fma_f32 v[10:11], v[94:95], v[98:99], v[10:11] op_sel_hi:[1,0,1]
	s_andn2_b64 exec, exec, s[8:9]
	s_cbranch_execnz .LBB22_33
; %bb.34:
	s_or_b64 exec, exec, s[8:9]
.LBB22_35:
	s_or_b64 exec, exec, s[2:3]
.LBB22_36:
	s_or_b64 exec, exec, s[6:7]
.LBB22_37:
	v_mov_b32_dpp v4, v12 row_shr:1 row_mask:0xf bank_mask:0xf
	v_mov_b32_dpp v5, v13 row_shr:1 row_mask:0xf bank_mask:0xf
	v_mov_b32_dpp v8, v10 row_shr:1 row_mask:0xf bank_mask:0xf
	v_mov_b32_dpp v9, v11 row_shr:1 row_mask:0xf bank_mask:0xf
	v_pk_add_f32 v[4:5], v[12:13], v[4:5]
	v_pk_add_f32 v[8:9], v[10:11], v[8:9]
	v_cmp_eq_u32_e32 vcc, 15, v0
	v_mov_b32_dpp v6, v4 row_shr:2 row_mask:0xf bank_mask:0xf
	v_mov_b32_dpp v7, v5 row_shr:2 row_mask:0xf bank_mask:0xf
	;; [unrolled: 1-line block ×4, first 2 shown]
	v_pk_add_f32 v[4:5], v[4:5], v[6:7]
	v_pk_add_f32 v[8:9], v[8:9], v[10:11]
	s_nop 0
	v_mov_b32_dpp v6, v4 row_shr:4 row_mask:0xf bank_mask:0xe
	v_mov_b32_dpp v7, v5 row_shr:4 row_mask:0xf bank_mask:0xe
	;; [unrolled: 1-line block ×4, first 2 shown]
	v_pk_add_f32 v[4:5], v[4:5], v[6:7]
	v_pk_add_f32 v[8:9], v[8:9], v[10:11]
	s_nop 0
	v_mov_b32_dpp v6, v4 row_shr:8 row_mask:0xf bank_mask:0xc
	v_mov_b32_dpp v7, v5 row_shr:8 row_mask:0xf bank_mask:0xc
	;; [unrolled: 1-line block ×4, first 2 shown]
	s_and_b64 exec, exec, vcc
	s_cbranch_execz .LBB22_10
; %bb.38:
	s_load_dwordx2 s[0:1], s[0:1], 0x50
	v_cmp_eq_f32_e64 s[2:3], s14, 0
	v_pk_add_f32 v[4:5], v[4:5], v[6:7]
	v_pk_add_f32 v[0:1], v[8:9], v[10:11]
	s_and_b64 vcc, exec, s[2:3]
	v_lshlrev_b32_e32 v2, 2, v2
	s_cbranch_vccz .LBB22_40
; %bb.39:
	v_ashrrev_i32_e32 v3, 31, v2
	s_waitcnt lgkmcnt(0)
	v_lshl_add_u64 v[10:11], v[2:3], 2, s[0:1]
	v_pk_mul_f32 v[6:7], s[12:13], v[4:5] op_sel_hi:[0,1]
	v_pk_mul_f32 v[8:9], s[12:13], v[0:1] op_sel_hi:[0,1]
	global_store_dwordx4 v[10:11], v[6:9], off
	s_cbranch_execnz .LBB22_10
	s_branch .LBB22_41
.LBB22_40:
.LBB22_41:
	v_ashrrev_i32_e32 v3, 31, v2
	s_waitcnt lgkmcnt(0)
	v_lshl_add_u64 v[10:11], v[2:3], 2, s[0:1]
	global_load_dwordx4 v[6:9], v[10:11], off
	v_pk_mul_f32 v[2:3], s[12:13], v[4:5] op_sel_hi:[0,1]
	v_pk_mul_f32 v[4:5], s[12:13], v[0:1] op_sel_hi:[0,1]
	s_waitcnt vmcnt(0)
	v_pk_fma_f32 v[0:1], s[14:15], v[6:7], v[2:3] op_sel_hi:[0,1,1]
	v_pk_fma_f32 v[2:3], s[14:15], v[8:9], v[4:5] op_sel_hi:[0,1,1]
	global_store_dwordx4 v[10:11], v[0:3], off
	s_endpgm
	.section	.rodata,"a",@progbits
	.p2align	6, 0x0
	.amdhsa_kernel _ZN9rocsparseL18bsrxmvn_4x4_kernelILj128ELj16EflifffEEvT3_20rocsparse_direction_NS_24const_host_device_scalarIT1_EES1_PKS1_PKT2_SA_S7_PKT4_PKT5_S5_PT6_21rocsparse_index_base_b
		.amdhsa_group_segment_fixed_size 0
		.amdhsa_private_segment_fixed_size 0
		.amdhsa_kernarg_size 96
		.amdhsa_user_sgpr_count 2
		.amdhsa_user_sgpr_dispatch_ptr 0
		.amdhsa_user_sgpr_queue_ptr 0
		.amdhsa_user_sgpr_kernarg_segment_ptr 1
		.amdhsa_user_sgpr_dispatch_id 0
		.amdhsa_user_sgpr_kernarg_preload_length 0
		.amdhsa_user_sgpr_kernarg_preload_offset 0
		.amdhsa_user_sgpr_private_segment_size 0
		.amdhsa_uses_dynamic_stack 0
		.amdhsa_enable_private_segment 0
		.amdhsa_system_sgpr_workgroup_id_x 1
		.amdhsa_system_sgpr_workgroup_id_y 0
		.amdhsa_system_sgpr_workgroup_id_z 0
		.amdhsa_system_sgpr_workgroup_info 0
		.amdhsa_system_vgpr_workitem_id 0
		.amdhsa_next_free_vgpr 112
		.amdhsa_next_free_sgpr 24
		.amdhsa_accum_offset 112
		.amdhsa_reserve_vcc 1
		.amdhsa_float_round_mode_32 0
		.amdhsa_float_round_mode_16_64 0
		.amdhsa_float_denorm_mode_32 3
		.amdhsa_float_denorm_mode_16_64 3
		.amdhsa_dx10_clamp 1
		.amdhsa_ieee_mode 1
		.amdhsa_fp16_overflow 0
		.amdhsa_tg_split 0
		.amdhsa_exception_fp_ieee_invalid_op 0
		.amdhsa_exception_fp_denorm_src 0
		.amdhsa_exception_fp_ieee_div_zero 0
		.amdhsa_exception_fp_ieee_overflow 0
		.amdhsa_exception_fp_ieee_underflow 0
		.amdhsa_exception_fp_ieee_inexact 0
		.amdhsa_exception_int_div_zero 0
	.end_amdhsa_kernel
	.section	.text._ZN9rocsparseL18bsrxmvn_4x4_kernelILj128ELj16EflifffEEvT3_20rocsparse_direction_NS_24const_host_device_scalarIT1_EES1_PKS1_PKT2_SA_S7_PKT4_PKT5_S5_PT6_21rocsparse_index_base_b,"axG",@progbits,_ZN9rocsparseL18bsrxmvn_4x4_kernelILj128ELj16EflifffEEvT3_20rocsparse_direction_NS_24const_host_device_scalarIT1_EES1_PKS1_PKT2_SA_S7_PKT4_PKT5_S5_PT6_21rocsparse_index_base_b,comdat
.Lfunc_end22:
	.size	_ZN9rocsparseL18bsrxmvn_4x4_kernelILj128ELj16EflifffEEvT3_20rocsparse_direction_NS_24const_host_device_scalarIT1_EES1_PKS1_PKT2_SA_S7_PKT4_PKT5_S5_PT6_21rocsparse_index_base_b, .Lfunc_end22-_ZN9rocsparseL18bsrxmvn_4x4_kernelILj128ELj16EflifffEEvT3_20rocsparse_direction_NS_24const_host_device_scalarIT1_EES1_PKS1_PKT2_SA_S7_PKT4_PKT5_S5_PT6_21rocsparse_index_base_b
                                        ; -- End function
	.set _ZN9rocsparseL18bsrxmvn_4x4_kernelILj128ELj16EflifffEEvT3_20rocsparse_direction_NS_24const_host_device_scalarIT1_EES1_PKS1_PKT2_SA_S7_PKT4_PKT5_S5_PT6_21rocsparse_index_base_b.num_vgpr, 112
	.set _ZN9rocsparseL18bsrxmvn_4x4_kernelILj128ELj16EflifffEEvT3_20rocsparse_direction_NS_24const_host_device_scalarIT1_EES1_PKS1_PKT2_SA_S7_PKT4_PKT5_S5_PT6_21rocsparse_index_base_b.num_agpr, 0
	.set _ZN9rocsparseL18bsrxmvn_4x4_kernelILj128ELj16EflifffEEvT3_20rocsparse_direction_NS_24const_host_device_scalarIT1_EES1_PKS1_PKT2_SA_S7_PKT4_PKT5_S5_PT6_21rocsparse_index_base_b.numbered_sgpr, 24
	.set _ZN9rocsparseL18bsrxmvn_4x4_kernelILj128ELj16EflifffEEvT3_20rocsparse_direction_NS_24const_host_device_scalarIT1_EES1_PKS1_PKT2_SA_S7_PKT4_PKT5_S5_PT6_21rocsparse_index_base_b.num_named_barrier, 0
	.set _ZN9rocsparseL18bsrxmvn_4x4_kernelILj128ELj16EflifffEEvT3_20rocsparse_direction_NS_24const_host_device_scalarIT1_EES1_PKS1_PKT2_SA_S7_PKT4_PKT5_S5_PT6_21rocsparse_index_base_b.private_seg_size, 0
	.set _ZN9rocsparseL18bsrxmvn_4x4_kernelILj128ELj16EflifffEEvT3_20rocsparse_direction_NS_24const_host_device_scalarIT1_EES1_PKS1_PKT2_SA_S7_PKT4_PKT5_S5_PT6_21rocsparse_index_base_b.uses_vcc, 1
	.set _ZN9rocsparseL18bsrxmvn_4x4_kernelILj128ELj16EflifffEEvT3_20rocsparse_direction_NS_24const_host_device_scalarIT1_EES1_PKS1_PKT2_SA_S7_PKT4_PKT5_S5_PT6_21rocsparse_index_base_b.uses_flat_scratch, 0
	.set _ZN9rocsparseL18bsrxmvn_4x4_kernelILj128ELj16EflifffEEvT3_20rocsparse_direction_NS_24const_host_device_scalarIT1_EES1_PKS1_PKT2_SA_S7_PKT4_PKT5_S5_PT6_21rocsparse_index_base_b.has_dyn_sized_stack, 0
	.set _ZN9rocsparseL18bsrxmvn_4x4_kernelILj128ELj16EflifffEEvT3_20rocsparse_direction_NS_24const_host_device_scalarIT1_EES1_PKS1_PKT2_SA_S7_PKT4_PKT5_S5_PT6_21rocsparse_index_base_b.has_recursion, 0
	.set _ZN9rocsparseL18bsrxmvn_4x4_kernelILj128ELj16EflifffEEvT3_20rocsparse_direction_NS_24const_host_device_scalarIT1_EES1_PKS1_PKT2_SA_S7_PKT4_PKT5_S5_PT6_21rocsparse_index_base_b.has_indirect_call, 0
	.section	.AMDGPU.csdata,"",@progbits
; Kernel info:
; codeLenInByte = 3292
; TotalNumSgprs: 30
; NumVgprs: 112
; NumAgprs: 0
; TotalNumVgprs: 112
; ScratchSize: 0
; MemoryBound: 1
; FloatMode: 240
; IeeeMode: 1
; LDSByteSize: 0 bytes/workgroup (compile time only)
; SGPRBlocks: 3
; VGPRBlocks: 13
; NumSGPRsForWavesPerEU: 30
; NumVGPRsForWavesPerEU: 112
; AccumOffset: 112
; Occupancy: 4
; WaveLimiterHint : 1
; COMPUTE_PGM_RSRC2:SCRATCH_EN: 0
; COMPUTE_PGM_RSRC2:USER_SGPR: 2
; COMPUTE_PGM_RSRC2:TRAP_HANDLER: 0
; COMPUTE_PGM_RSRC2:TGID_X_EN: 1
; COMPUTE_PGM_RSRC2:TGID_Y_EN: 0
; COMPUTE_PGM_RSRC2:TGID_Z_EN: 0
; COMPUTE_PGM_RSRC2:TIDIG_COMP_CNT: 0
; COMPUTE_PGM_RSRC3_GFX90A:ACCUM_OFFSET: 27
; COMPUTE_PGM_RSRC3_GFX90A:TG_SPLIT: 0
	.section	.text._ZN9rocsparseL18bsrxmvn_4x4_kernelILj128ELj32EflifffEEvT3_20rocsparse_direction_NS_24const_host_device_scalarIT1_EES1_PKS1_PKT2_SA_S7_PKT4_PKT5_S5_PT6_21rocsparse_index_base_b,"axG",@progbits,_ZN9rocsparseL18bsrxmvn_4x4_kernelILj128ELj32EflifffEEvT3_20rocsparse_direction_NS_24const_host_device_scalarIT1_EES1_PKS1_PKT2_SA_S7_PKT4_PKT5_S5_PT6_21rocsparse_index_base_b,comdat
	.globl	_ZN9rocsparseL18bsrxmvn_4x4_kernelILj128ELj32EflifffEEvT3_20rocsparse_direction_NS_24const_host_device_scalarIT1_EES1_PKS1_PKT2_SA_S7_PKT4_PKT5_S5_PT6_21rocsparse_index_base_b ; -- Begin function _ZN9rocsparseL18bsrxmvn_4x4_kernelILj128ELj32EflifffEEvT3_20rocsparse_direction_NS_24const_host_device_scalarIT1_EES1_PKS1_PKT2_SA_S7_PKT4_PKT5_S5_PT6_21rocsparse_index_base_b
	.p2align	8
	.type	_ZN9rocsparseL18bsrxmvn_4x4_kernelILj128ELj32EflifffEEvT3_20rocsparse_direction_NS_24const_host_device_scalarIT1_EES1_PKS1_PKT2_SA_S7_PKT4_PKT5_S5_PT6_21rocsparse_index_base_b,@function
_ZN9rocsparseL18bsrxmvn_4x4_kernelILj128ELj32EflifffEEvT3_20rocsparse_direction_NS_24const_host_device_scalarIT1_EES1_PKS1_PKT2_SA_S7_PKT4_PKT5_S5_PT6_21rocsparse_index_base_b: ; @_ZN9rocsparseL18bsrxmvn_4x4_kernelILj128ELj32EflifffEEvT3_20rocsparse_direction_NS_24const_host_device_scalarIT1_EES1_PKS1_PKT2_SA_S7_PKT4_PKT5_S5_PT6_21rocsparse_index_base_b
; %bb.0:
	s_load_dwordx2 s[16:17], s[0:1], 0x58
	s_load_dwordx2 s[12:13], s[0:1], 0x8
	;; [unrolled: 1-line block ×3, first 2 shown]
	s_waitcnt lgkmcnt(0)
	s_bitcmp1_b32 s17, 0
	s_cselect_b64 s[6:7], -1, 0
	s_xor_b64 s[4:5], s[6:7], -1
	s_and_b64 vcc, exec, s[6:7]
	s_cbranch_vccnz .LBB23_2
; %bb.1:
	s_load_dword s12, s[12:13], 0x0
.LBB23_2:
	s_andn2_b64 vcc, exec, s[4:5]
	s_cbranch_vccnz .LBB23_4
; %bb.3:
	s_load_dword s14, s[14:15], 0x0
.LBB23_4:
	s_waitcnt lgkmcnt(0)
	v_cmp_neq_f32_e64 s[4:5], s12, 0
	v_cmp_neq_f32_e64 s[6:7], s14, 1.0
	s_or_b64 s[4:5], s[4:5], s[6:7]
	s_andn2_b64 vcc, exec, s[4:5]
	s_cbranch_vccnz .LBB23_10
; %bb.5:
	s_load_dwordx2 s[4:5], s[0:1], 0x18
	s_load_dwordx2 s[18:19], s[0:1], 0x0
	v_lshrrev_b32_e32 v1, 5, v0
	v_lshl_or_b32 v16, s2, 2, v1
	s_mov_b64 s[2:3], 0
	s_waitcnt lgkmcnt(0)
	s_cmp_lg_u64 s[4:5], 0
	s_cbranch_scc0 .LBB23_11
; %bb.6:
	s_load_dword s6, s[0:1], 0x10
                                        ; implicit-def: $vgpr1
	s_waitcnt lgkmcnt(0)
	v_cmp_gt_i32_e32 vcc, s6, v16
	s_and_saveexec_b64 s[6:7], vcc
	s_xor_b64 s[6:7], exec, s[6:7]
	s_cbranch_execz .LBB23_8
; %bb.7:
	v_ashrrev_i32_e32 v17, 31, v16
	v_lshl_add_u64 v[2:3], v[16:17], 2, s[4:5]
	global_load_dword v1, v[2:3], off
	s_mov_b64 s[2:3], exec
	s_waitcnt vmcnt(0)
	v_subrev_u32_e32 v1, s16, v1
.LBB23_8:
	s_or_b64 exec, exec, s[6:7]
	s_branch .LBB23_12
.LBB23_9:
	v_cmp_gt_i32_e32 vcc, s18, v16
	s_andn2_b64 s[2:3], s[2:3], exec
	s_and_b64 s[4:5], vcc, exec
	s_or_b64 s[2:3], s[2:3], s[4:5]
	s_and_saveexec_b64 s[4:5], s[2:3]
	s_cbranch_execnz .LBB23_13
.LBB23_10:
	s_endpgm
.LBB23_11:
                                        ; implicit-def: $vgpr1
	s_cbranch_execnz .LBB23_9
.LBB23_12:
	v_mov_b32_e32 v16, v1
	s_and_saveexec_b64 s[4:5], s[2:3]
	s_cbranch_execz .LBB23_10
.LBB23_13:
	s_load_dwordx8 s[4:11], s[0:1], 0x20
	v_ashrrev_i32_e32 v17, 31, v16
	v_lshlrev_b64 v[2:3], 3, v[16:17]
	v_and_b32_e32 v18, 31, v0
	v_mov_b32_e32 v19, 0
	s_waitcnt lgkmcnt(0)
	v_lshl_add_u64 v[4:5], s[4:5], 0, v[2:3]
	s_cmp_eq_u64 s[6:7], 0
	v_lshl_add_u64 v[2:3], s[6:7], 0, v[2:3]
	global_load_dwordx2 v[30:31], v[4:5], off
	v_lshl_add_u64 v[4:5], v[4:5], 0, 8
	s_cselect_b64 vcc, -1, 0
	v_cndmask_b32_e32 v3, v3, v5, vcc
	v_cndmask_b32_e32 v2, v2, v4, vcc
	global_load_dwordx2 v[2:3], v[2:3], off
	s_load_dwordx2 s[4:5], s[0:1], 0x40
	s_cmp_eq_u32 s19, 1
	s_waitcnt vmcnt(1)
	v_subrev_co_u32_e32 v0, vcc, s16, v30
	s_nop 1
	v_subbrev_co_u32_e32 v1, vcc, 0, v31, vcc
	v_lshl_add_u64 v[20:21], v[0:1], 0, v[18:19]
	s_waitcnt vmcnt(0)
	v_subrev_co_u32_e32 v22, vcc, s16, v2
	v_lshlrev_b64 v[0:1], 6, v[20:21]
	s_nop 0
	v_subbrev_co_u32_e32 v23, vcc, 0, v3, vcc
	v_lshl_add_u64 v[24:25], s[10:11], 0, v[0:1]
	v_cmp_lt_i64_e64 s[2:3], v[20:21], v[22:23]
	s_cbranch_scc1 .LBB23_25
; %bb.14:
	v_mov_b32_e32 v26, v19
	v_mov_b32_e32 v29, v19
	;; [unrolled: 1-line block ×3, first 2 shown]
	s_and_saveexec_b64 s[6:7], s[2:3]
	s_cbranch_execz .LBB23_24
; %bb.15:
	v_or_b32_e32 v0, 32, v18
	v_subrev_co_u32_e32 v0, vcc, s16, v0
	v_not_b32_e32 v3, v31
	s_nop 0
	v_subb_co_u32_e64 v1, s[10:11], 0, 0, vcc
	v_lshl_add_u64 v[0:1], v[0:1], 0, v[30:31]
	v_cmp_gt_i64_e32 vcc, v[0:1], v[22:23]
	v_not_b32_e32 v2, v30
	v_mov_b32_e32 v26, 0
	v_cndmask_b32_e32 v1, v23, v1, vcc
	v_cndmask_b32_e32 v0, v22, v0, vcc
	v_sub_co_u32_e32 v4, vcc, s16, v18
	v_mov_b32_e32 v27, v26
	s_nop 0
	v_subb_co_u32_e64 v5, s[10:11], 0, 0, vcc
	v_lshl_add_u64 v[2:3], v[4:5], 0, v[2:3]
	v_lshl_add_u64 v[0:1], v[2:3], 0, v[0:1]
	v_and_b32_e32 v2, 0x60, v0
	v_mov_b32_e32 v3, v26
	s_mov_b64 s[10:11], 0x60
	v_cmp_ne_u64_e32 vcc, s[10:11], v[2:3]
	v_mov_b64_e32 v[28:29], v[26:27]
	v_mov_b64_e32 v[32:33], v[20:21]
	;; [unrolled: 1-line block ×3, first 2 shown]
	s_and_saveexec_b64 s[10:11], vcc
	s_cbranch_execz .LBB23_19
; %bb.16:
	v_lshrrev_b32_e32 v2, 5, v0
	v_add_u32_e32 v2, 1, v2
	v_and_b32_e32 v4, 3, v2
	v_sub_co_u32_e32 v4, vcc, 0, v4
	v_lshl_add_u64 v[2:3], v[20:21], 2, s[8:9]
	s_nop 0
	v_subb_co_u32_e64 v5, s[20:21], 0, 0, vcc
	s_mov_b64 s[18:19], 0
	s_mov_b64 s[20:21], 0x800
	s_mov_b64 s[22:23], 0x80
	v_mov_b64_e32 v[34:35], v[24:25]
	v_mov_b64_e32 v[32:33], v[20:21]
	v_mov_b32_e32 v27, v26
	v_mov_b32_e32 v28, v26
	;; [unrolled: 1-line block ×3, first 2 shown]
.LBB23_17:                              ; =>This Inner Loop Header: Depth=1
	global_load_dword v14, v[2:3], off
	global_load_dwordx4 v[40:43], v[34:35], off
	global_load_dwordx4 v[6:9], v[34:35], off offset:16
	global_load_dwordx4 v[44:47], v[34:35], off offset:32
	;; [unrolled: 1-line block ×3, first 2 shown]
	v_lshl_add_u64 v[4:5], v[4:5], 0, 1
	v_cmp_eq_u64_e32 vcc, 0, v[4:5]
	v_lshl_add_u64 v[34:35], v[34:35], 0, s[20:21]
	v_lshl_add_u64 v[32:33], v[32:33], 0, 32
	;; [unrolled: 1-line block ×3, first 2 shown]
	s_or_b64 s[18:19], vcc, s[18:19]
	s_waitcnt vmcnt(4)
	v_subrev_u32_e32 v14, s16, v14
	v_lshlrev_b32_e32 v14, 2, v14
	v_ashrrev_i32_e32 v15, 31, v14
	s_waitcnt lgkmcnt(0)
	v_lshl_add_u64 v[14:15], v[14:15], 2, s[4:5]
	global_load_dwordx4 v[36:39], v[14:15], off
	s_waitcnt vmcnt(4)
	v_mov_b32_e32 v14, v40
	s_waitcnt vmcnt(3)
	v_mov_b32_e32 v15, v6
	v_mov_b32_e32 v6, v41
	;; [unrolled: 1-line block ×5, first 2 shown]
	s_waitcnt vmcnt(2)
	v_mov_b32_e32 v42, v44
	s_waitcnt vmcnt(1)
	v_mov_b32_e32 v43, v10
	v_mov_b32_e32 v10, v45
	;; [unrolled: 1-line block ×5, first 2 shown]
	s_waitcnt vmcnt(0)
	v_pk_fma_f32 v[14:15], v[14:15], v[36:37], v[28:29] op_sel_hi:[1,0,1]
	v_pk_fma_f32 v[26:27], v[42:43], v[36:37], v[26:27] op_sel_hi:[1,0,1]
	v_pk_fma_f32 v[6:7], v[6:7], v[36:37], v[14:15] op_sel:[0,1,0]
	v_pk_fma_f32 v[10:11], v[10:11], v[36:37], v[26:27] op_sel:[0,1,0]
	v_mov_b32_e32 v46, v39
	v_pk_fma_f32 v[6:7], v[40:41], v[38:39], v[6:7] op_sel_hi:[1,0,1]
	v_pk_fma_f32 v[10:11], v[44:45], v[38:39], v[10:11] op_sel_hi:[1,0,1]
	;; [unrolled: 1-line block ×4, first 2 shown]
	s_andn2_b64 exec, exec, s[18:19]
	s_cbranch_execnz .LBB23_17
; %bb.18:
	s_or_b64 exec, exec, s[18:19]
.LBB23_19:
	s_or_b64 exec, exec, s[10:11]
	s_mov_b64 s[10:11], 0x5f
	v_cmp_lt_u64_e32 vcc, s[10:11], v[0:1]
	s_and_saveexec_b64 s[10:11], vcc
	s_cbranch_execz .LBB23_23
; %bb.20:
	v_lshl_add_u64 v[0:1], v[32:33], 2, s[8:9]
	s_mov_b64 s[18:19], 0x100
	v_lshl_add_u64 v[36:37], v[0:1], 0, s[18:19]
	s_mov_b64 s[18:19], 0
	s_mov_b64 s[20:21], 0x1800
	s_movk_i32 s13, 0x1000
	s_mov_b64 s[22:23], 0x80
	s_mov_b64 s[24:25], 0x200
	;; [unrolled: 1-line block ×3, first 2 shown]
.LBB23_21:                              ; =>This Inner Loop Header: Depth=1
	global_load_dword v17, v[36:37], off offset:-256
	global_load_dwordx4 v[80:83], v[34:35], off
	global_load_dword v19, v[36:37], off offset:-128
	global_load_dword v58, v[36:37], off
	global_load_dword v59, v[36:37], off offset:128
	global_load_dwordx4 v[8:11], v[34:35], off offset:16
	global_load_dwordx4 v[84:87], v[34:35], off offset:32
	;; [unrolled: 1-line block ×3, first 2 shown]
	v_add_co_u32_e32 v56, vcc, s13, v34
	v_lshl_add_u64 v[54:55], v[34:35], 0, s[20:21]
	s_nop 0
	v_addc_co_u32_e32 v57, vcc, 0, v35, vcc
	global_load_dwordx4 v[0:3], v[34:35], off offset:2096
	global_load_dwordx4 v[88:91], v[34:35], off offset:2080
	;; [unrolled: 1-line block ×7, first 2 shown]
	global_load_dwordx4 v[46:49], v[54:55], off offset:-2000
	global_load_dwordx4 v[100:103], v[54:55], off offset:-2016
	;; [unrolled: 1-line block ×4, first 2 shown]
	global_load_dwordx4 v[108:111], v[56:57], off offset:2048
	v_lshl_add_u64 v[32:33], v[32:33], 0, s[22:23]
	v_cmp_ge_i64_e32 vcc, v[32:33], v[22:23]
	v_lshl_add_u64 v[36:37], v[36:37], 0, s[24:25]
	v_lshl_add_u64 v[34:35], v[34:35], 0, s[26:27]
	s_or_b64 s[18:19], vcc, s[18:19]
	s_waitcnt vmcnt(19)
	v_subrev_u32_e32 v17, s16, v17
	v_lshlrev_b32_e32 v54, 2, v17
	s_waitcnt vmcnt(17)
	v_subrev_u32_e32 v19, s16, v19
	s_waitcnt vmcnt(16)
	v_subrev_u32_e32 v55, s16, v58
	s_waitcnt vmcnt(15)
	v_subrev_u32_e32 v57, s16, v59
	v_lshlrev_b32_e32 v56, 2, v19
	v_lshlrev_b32_e32 v58, 2, v55
	v_lshlrev_b32_e32 v60, 2, v57
	v_ashrrev_i32_e32 v55, 31, v54
	v_ashrrev_i32_e32 v57, 31, v56
	v_ashrrev_i32_e32 v59, 31, v58
	v_ashrrev_i32_e32 v61, 31, v60
	s_waitcnt lgkmcnt(0)
	v_lshl_add_u64 v[72:73], v[54:55], 2, s[4:5]
	v_lshl_add_u64 v[74:75], v[56:57], 2, s[4:5]
	;; [unrolled: 1-line block ×4, first 2 shown]
	global_load_dwordx4 v[54:57], v[72:73], off
	global_load_dwordx4 v[58:61], v[74:75], off
	;; [unrolled: 1-line block ×4, first 2 shown]
	v_mov_b32_e32 v70, v80
	s_waitcnt vmcnt(18)
	v_mov_b32_e32 v71, v8
	s_waitcnt vmcnt(17)
	;; [unrolled: 2-line block ×3, first 2 shown]
	v_mov_b32_e32 v73, v4
	v_mov_b32_e32 v8, v81
	;; [unrolled: 1-line block ×9, first 2 shown]
	s_waitcnt vmcnt(12)
	v_mov_b32_e32 v78, v92
	v_mov_b32_e32 v79, v12
	v_mov_b32_e32 v82, v88
	v_mov_b32_e32 v83, v0
	v_mov_b32_e32 v12, v93
	v_mov_b32_e32 v0, v89
	v_mov_b32_e32 v80, v94
	v_mov_b32_e32 v81, v14
	v_mov_b32_e32 v84, v90
	v_mov_b32_e32 v85, v2
	v_mov_b32_e32 v14, v95
	v_mov_b32_e32 v2, v91
	s_waitcnt vmcnt(5)
	v_mov_b32_e32 v86, v104
	v_mov_b32_e32 v87, v50
	v_mov_b32_e32 v50, v105
	v_mov_b32_e32 v88, v106
	v_mov_b32_e32 v89, v52
	v_mov_b32_e32 v52, v107
	v_mov_b32_e32 v91, v42
	s_waitcnt vmcnt(4)
	v_mov_b32_e32 v90, v108
	v_mov_b32_e32 v42, v109
	;; [unrolled: 1-line block ×5, first 2 shown]
	s_waitcnt vmcnt(3)
	v_pk_fma_f32 v[28:29], v[70:71], v[54:55], v[28:29] op_sel_hi:[1,0,1]
	v_pk_fma_f32 v[26:27], v[72:73], v[54:55], v[26:27] op_sel_hi:[1,0,1]
	v_pk_fma_f32 v[8:9], v[8:9], v[54:55], v[28:29] op_sel:[0,1,0]
	v_pk_fma_f32 v[4:5], v[4:5], v[54:55], v[26:27] op_sel:[0,1,0]
	v_pk_fma_f32 v[8:9], v[74:75], v[56:57], v[8:9] op_sel_hi:[1,0,1]
	v_pk_fma_f32 v[4:5], v[76:77], v[56:57], v[4:5] op_sel_hi:[1,0,1]
	v_mov_b32_e32 v54, v57
	v_pk_fma_f32 v[8:9], v[10:11], v[54:55], v[8:9] op_sel_hi:[1,0,1]
	v_pk_fma_f32 v[4:5], v[6:7], v[54:55], v[4:5] op_sel_hi:[1,0,1]
	s_waitcnt vmcnt(2)
	v_pk_fma_f32 v[6:7], v[78:79], v[58:59], v[8:9] op_sel_hi:[1,0,1]
	v_pk_fma_f32 v[4:5], v[82:83], v[58:59], v[4:5] op_sel_hi:[1,0,1]
	v_pk_fma_f32 v[6:7], v[12:13], v[58:59], v[6:7] op_sel:[0,1,0]
	v_pk_fma_f32 v[0:1], v[0:1], v[58:59], v[4:5] op_sel:[0,1,0]
	v_mov_b32_e32 v56, v61
	v_pk_fma_f32 v[4:5], v[80:81], v[60:61], v[6:7] op_sel_hi:[1,0,1]
	v_pk_fma_f32 v[0:1], v[84:85], v[60:61], v[0:1] op_sel_hi:[1,0,1]
	v_mov_b32_e32 v70, v100
	v_mov_b32_e32 v71, v46
	v_pk_fma_f32 v[4:5], v[14:15], v[56:57], v[4:5] op_sel_hi:[1,0,1]
	v_pk_fma_f32 v[0:1], v[2:3], v[56:57], v[0:1] op_sel_hi:[1,0,1]
	v_mov_b32_e32 v46, v101
	s_waitcnt vmcnt(1)
	v_pk_fma_f32 v[2:3], v[86:87], v[62:63], v[4:5] op_sel_hi:[1,0,1]
	v_pk_fma_f32 v[0:1], v[70:71], v[62:63], v[0:1] op_sel_hi:[1,0,1]
	v_mov_b32_e32 v72, v102
	v_mov_b32_e32 v73, v48
	v_pk_fma_f32 v[2:3], v[50:51], v[62:63], v[2:3] op_sel:[0,1,0]
	v_pk_fma_f32 v[0:1], v[46:47], v[62:63], v[0:1] op_sel:[0,1,0]
	v_mov_b32_e32 v48, v103
	v_mov_b32_e32 v10, v65
	v_pk_fma_f32 v[2:3], v[88:89], v[64:65], v[2:3] op_sel_hi:[1,0,1]
	v_pk_fma_f32 v[0:1], v[72:73], v[64:65], v[0:1] op_sel_hi:[1,0,1]
	v_mov_b32_e32 v28, v96
	v_mov_b32_e32 v29, v38
	v_pk_fma_f32 v[2:3], v[52:53], v[10:11], v[2:3] op_sel_hi:[1,0,1]
	v_pk_fma_f32 v[0:1], v[48:49], v[10:11], v[0:1] op_sel_hi:[1,0,1]
	v_mov_b32_e32 v38, v97
	s_waitcnt vmcnt(0)
	v_pk_fma_f32 v[2:3], v[90:91], v[66:67], v[2:3] op_sel_hi:[1,0,1]
	v_pk_fma_f32 v[0:1], v[28:29], v[66:67], v[0:1] op_sel_hi:[1,0,1]
	v_mov_b32_e32 v26, v98
	v_mov_b32_e32 v27, v40
	v_pk_fma_f32 v[2:3], v[42:43], v[66:67], v[2:3] op_sel:[0,1,0]
	v_pk_fma_f32 v[0:1], v[38:39], v[66:67], v[0:1] op_sel:[0,1,0]
	v_mov_b32_e32 v40, v99
	v_mov_b32_e32 v74, v69
	v_pk_fma_f32 v[2:3], v[92:93], v[68:69], v[2:3] op_sel_hi:[1,0,1]
	v_pk_fma_f32 v[0:1], v[26:27], v[68:69], v[0:1] op_sel_hi:[1,0,1]
	;; [unrolled: 1-line block ×4, first 2 shown]
	s_andn2_b64 exec, exec, s[18:19]
	s_cbranch_execnz .LBB23_21
; %bb.22:
	s_or_b64 exec, exec, s[18:19]
.LBB23_23:
	s_or_b64 exec, exec, s[10:11]
	v_mov_b32_e32 v19, v27
.LBB23_24:
	s_or_b64 exec, exec, s[6:7]
	v_mov_b32_e32 v27, v19
	s_cbranch_execz .LBB23_26
	s_branch .LBB23_37
.LBB23_25:
                                        ; implicit-def: $vgpr27
                                        ; implicit-def: $vgpr29
.LBB23_26:
	v_mov_b32_e32 v27, 0
	v_mov_b32_e32 v26, 0
	;; [unrolled: 1-line block ×4, first 2 shown]
	s_and_saveexec_b64 s[6:7], s[2:3]
	s_cbranch_execz .LBB23_36
; %bb.27:
	v_or_b32_e32 v0, 32, v18
	v_subrev_co_u32_e32 v0, vcc, s16, v0
	v_not_b32_e32 v3, v31
	s_nop 0
	v_subb_co_u32_e64 v1, s[2:3], 0, 0, vcc
	v_lshl_add_u64 v[0:1], v[0:1], 0, v[30:31]
	v_cmp_gt_i64_e32 vcc, v[0:1], v[22:23]
	v_not_b32_e32 v2, v30
	v_mov_b32_e32 v26, 0
	v_cndmask_b32_e32 v1, v23, v1, vcc
	v_cndmask_b32_e32 v0, v22, v0, vcc
	v_sub_co_u32_e32 v4, vcc, s16, v18
	v_mov_b32_e32 v27, v26
	s_nop 0
	v_subb_co_u32_e64 v5, s[2:3], 0, 0, vcc
	v_lshl_add_u64 v[2:3], v[4:5], 0, v[2:3]
	v_lshl_add_u64 v[0:1], v[2:3], 0, v[0:1]
	v_and_b32_e32 v2, 0x60, v0
	v_mov_b32_e32 v3, v26
	s_mov_b64 s[2:3], 0x60
	v_cmp_ne_u64_e32 vcc, s[2:3], v[2:3]
	v_mov_b64_e32 v[28:29], v[26:27]
	s_and_saveexec_b64 s[2:3], vcc
	s_cbranch_execz .LBB23_31
; %bb.28:
	v_lshrrev_b32_e32 v2, 5, v0
	v_add_u32_e32 v2, 1, v2
	v_and_b32_e32 v4, 3, v2
	v_sub_co_u32_e32 v4, vcc, 0, v4
	v_lshl_add_u64 v[2:3], v[20:21], 2, s[8:9]
	s_nop 0
	v_subb_co_u32_e64 v5, s[18:19], 0, 0, vcc
	s_mov_b64 s[10:11], 0
	s_mov_b64 s[18:19], 0x800
	;; [unrolled: 1-line block ×3, first 2 shown]
	v_mov_b32_e32 v27, v26
	v_mov_b32_e32 v28, v26
	;; [unrolled: 1-line block ×3, first 2 shown]
.LBB23_29:                              ; =>This Inner Loop Header: Depth=1
	global_load_dword v14, v[2:3], off
	global_load_dwordx4 v[6:9], v[24:25], off offset:16
	global_load_dwordx4 v[10:13], v[24:25], off
	v_lshl_add_u64 v[4:5], v[4:5], 0, 1
	v_cmp_eq_u64_e32 vcc, 0, v[4:5]
	v_lshl_add_u64 v[20:21], v[20:21], 0, 32
	v_lshl_add_u64 v[2:3], v[2:3], 0, s[20:21]
	s_or_b64 s[10:11], vcc, s[10:11]
	s_waitcnt vmcnt(2)
	v_subrev_u32_e32 v14, s16, v14
	v_lshlrev_b32_e32 v14, 2, v14
	v_ashrrev_i32_e32 v15, 31, v14
	s_waitcnt lgkmcnt(0)
	v_lshl_add_u64 v[14:15], v[14:15], 2, s[4:5]
	global_load_dwordx4 v[30:33], v[14:15], off
	global_load_dwordx4 v[34:37], v[24:25], off offset:32
	global_load_dwordx4 v[38:41], v[24:25], off offset:48
	v_lshl_add_u64 v[24:25], v[24:25], 0, s[18:19]
	s_waitcnt vmcnt(2)
	v_pk_fma_f32 v[10:11], v[10:11], v[30:31], v[28:29] op_sel_hi:[1,0,1]
	v_pk_fma_f32 v[12:13], v[12:13], v[30:31], v[26:27] op_sel_hi:[1,0,1]
	v_pk_fma_f32 v[6:7], v[6:7], v[30:31], v[10:11] op_sel:[0,1,0]
	v_pk_fma_f32 v[8:9], v[8:9], v[30:31], v[12:13] op_sel:[0,1,0]
	v_mov_b32_e32 v14, v33
	s_waitcnt vmcnt(1)
	v_pk_fma_f32 v[6:7], v[34:35], v[32:33], v[6:7] op_sel_hi:[1,0,1]
	v_pk_fma_f32 v[8:9], v[36:37], v[32:33], v[8:9] op_sel_hi:[1,0,1]
	s_waitcnt vmcnt(0)
	v_pk_fma_f32 v[28:29], v[38:39], v[14:15], v[6:7] op_sel_hi:[1,0,1]
	v_pk_fma_f32 v[26:27], v[40:41], v[14:15], v[8:9] op_sel_hi:[1,0,1]
	s_andn2_b64 exec, exec, s[10:11]
	s_cbranch_execnz .LBB23_29
; %bb.30:
	s_or_b64 exec, exec, s[10:11]
.LBB23_31:
	s_or_b64 exec, exec, s[2:3]
	s_mov_b64 s[2:3], 0x5f
	v_cmp_lt_u64_e32 vcc, s[2:3], v[0:1]
	s_and_saveexec_b64 s[2:3], vcc
	s_cbranch_execz .LBB23_35
; %bb.32:
	v_lshl_add_u64 v[0:1], v[20:21], 2, s[8:9]
	s_mov_b64 s[8:9], 0x100
	v_lshl_add_u64 v[0:1], v[0:1], 0, s[8:9]
	s_mov_b64 s[8:9], 0
	s_mov_b64 s[10:11], 0x1000
	s_movk_i32 s13, 0x1000
	s_mov_b64 s[18:19], 0x80
	s_mov_b64 s[20:21], 0x200
	;; [unrolled: 1-line block ×3, first 2 shown]
.LBB23_33:                              ; =>This Inner Loop Header: Depth=1
	global_load_dword v17, v[0:1], off offset:-256
	global_load_dword v19, v[0:1], off offset:-128
	global_load_dword v76, v[0:1], off
	global_load_dword v77, v[0:1], off offset:128
	global_load_dwordx4 v[2:5], v[24:25], off offset:48
	global_load_dwordx4 v[6:9], v[24:25], off offset:32
	;; [unrolled: 1-line block ×3, first 2 shown]
	global_load_dwordx4 v[30:33], v[24:25], off
	global_load_dwordx4 v[34:37], v[24:25], off offset:2096
	global_load_dwordx4 v[38:41], v[24:25], off offset:2080
	;; [unrolled: 1-line block ×4, first 2 shown]
	v_add_co_u32_e32 v74, vcc, s13, v24
	v_lshl_add_u64 v[14:15], v[24:25], 0, s[10:11]
	s_nop 0
	v_addc_co_u32_e32 v75, vcc, 0, v25, vcc
	global_load_dwordx4 v[50:53], v[74:75], off
	global_load_dwordx4 v[54:57], v[14:15], off offset:32
	global_load_dwordx4 v[58:61], v[14:15], off offset:16
	;; [unrolled: 1-line block ×5, first 2 shown]
	v_lshl_add_u64 v[20:21], v[20:21], 0, s[18:19]
	v_cmp_ge_i64_e32 vcc, v[20:21], v[22:23]
	v_lshl_add_u64 v[0:1], v[0:1], 0, s[20:21]
	v_lshl_add_u64 v[24:25], v[24:25], 0, s[22:23]
	s_or_b64 s[8:9], vcc, s[8:9]
	s_waitcnt vmcnt(17)
	v_subrev_u32_e32 v17, s16, v17
	s_waitcnt vmcnt(16)
	v_subrev_u32_e32 v19, s16, v19
	;; [unrolled: 2-line block ×4, first 2 shown]
	v_lshlrev_b32_e32 v74, 2, v17
	v_lshlrev_b32_e32 v76, 2, v19
	;; [unrolled: 1-line block ×4, first 2 shown]
	v_ashrrev_i32_e32 v75, 31, v74
	v_ashrrev_i32_e32 v77, 31, v76
	;; [unrolled: 1-line block ×4, first 2 shown]
	s_waitcnt lgkmcnt(0)
	v_lshl_add_u64 v[98:99], v[74:75], 2, s[4:5]
	v_lshl_add_u64 v[100:101], v[76:77], 2, s[4:5]
	;; [unrolled: 1-line block ×4, first 2 shown]
	global_load_dwordx4 v[74:77], v[98:99], off
	global_load_dwordx4 v[78:81], v[100:101], off
	;; [unrolled: 1-line block ×4, first 2 shown]
	global_load_dwordx4 v[90:93], v[14:15], off offset:2080
	global_load_dwordx4 v[94:97], v[14:15], off offset:2096
	s_waitcnt vmcnt(5)
	v_pk_fma_f32 v[14:15], v[30:31], v[74:75], v[28:29] op_sel_hi:[1,0,1]
	v_pk_fma_f32 v[26:27], v[32:33], v[74:75], v[26:27] op_sel_hi:[1,0,1]
	v_pk_fma_f32 v[10:11], v[10:11], v[74:75], v[14:15] op_sel:[0,1,0]
	v_pk_fma_f32 v[12:13], v[12:13], v[74:75], v[26:27] op_sel:[0,1,0]
	v_mov_b32_e32 v28, v77
	v_pk_fma_f32 v[6:7], v[6:7], v[76:77], v[10:11] op_sel_hi:[1,0,1]
	v_pk_fma_f32 v[8:9], v[8:9], v[76:77], v[12:13] op_sel_hi:[1,0,1]
	v_pk_fma_f32 v[2:3], v[2:3], v[28:29], v[6:7] op_sel_hi:[1,0,1]
	v_pk_fma_f32 v[4:5], v[4:5], v[28:29], v[8:9] op_sel_hi:[1,0,1]
	s_waitcnt vmcnt(4)
	v_pk_fma_f32 v[2:3], v[46:47], v[78:79], v[2:3] op_sel_hi:[1,0,1]
	v_pk_fma_f32 v[4:5], v[48:49], v[78:79], v[4:5] op_sel_hi:[1,0,1]
	v_pk_fma_f32 v[2:3], v[42:43], v[78:79], v[2:3] op_sel:[0,1,0]
	v_pk_fma_f32 v[4:5], v[44:45], v[78:79], v[4:5] op_sel:[0,1,0]
	v_mov_b32_e32 v30, v81
	v_pk_fma_f32 v[2:3], v[38:39], v[80:81], v[2:3] op_sel_hi:[1,0,1]
	v_pk_fma_f32 v[4:5], v[40:41], v[80:81], v[4:5] op_sel_hi:[1,0,1]
	v_pk_fma_f32 v[2:3], v[34:35], v[30:31], v[2:3] op_sel_hi:[1,0,1]
	v_pk_fma_f32 v[4:5], v[36:37], v[30:31], v[4:5] op_sel_hi:[1,0,1]
	;; [unrolled: 10-line block ×3, first 2 shown]
	s_waitcnt vmcnt(2)
	v_pk_fma_f32 v[2:3], v[70:71], v[86:87], v[2:3] op_sel_hi:[1,0,1]
	v_pk_fma_f32 v[4:5], v[72:73], v[86:87], v[4:5] op_sel_hi:[1,0,1]
	v_pk_fma_f32 v[2:3], v[62:63], v[86:87], v[2:3] op_sel:[0,1,0]
	v_pk_fma_f32 v[4:5], v[64:65], v[86:87], v[4:5] op_sel:[0,1,0]
	v_mov_b32_e32 v98, v89
	s_waitcnt vmcnt(1)
	v_pk_fma_f32 v[2:3], v[90:91], v[88:89], v[2:3] op_sel_hi:[1,0,1]
	v_pk_fma_f32 v[4:5], v[92:93], v[88:89], v[4:5] op_sel_hi:[1,0,1]
	s_waitcnt vmcnt(0)
	v_pk_fma_f32 v[28:29], v[94:95], v[98:99], v[2:3] op_sel_hi:[1,0,1]
	v_pk_fma_f32 v[26:27], v[96:97], v[98:99], v[4:5] op_sel_hi:[1,0,1]
	s_andn2_b64 exec, exec, s[8:9]
	s_cbranch_execnz .LBB23_33
; %bb.34:
	s_or_b64 exec, exec, s[8:9]
.LBB23_35:
	s_or_b64 exec, exec, s[2:3]
.LBB23_36:
	s_or_b64 exec, exec, s[6:7]
.LBB23_37:
	v_mov_b32_dpp v0, v28 row_shr:1 row_mask:0xf bank_mask:0xf
	v_mov_b32_dpp v1, v29 row_shr:1 row_mask:0xf bank_mask:0xf
	v_mov_b32_dpp v4, v26 row_shr:1 row_mask:0xf bank_mask:0xf
	v_mov_b32_dpp v5, v27 row_shr:1 row_mask:0xf bank_mask:0xf
	v_pk_add_f32 v[0:1], v[28:29], v[0:1]
	v_pk_add_f32 v[4:5], v[26:27], v[4:5]
	v_cmp_eq_u32_e32 vcc, 31, v18
	v_mov_b32_dpp v2, v0 row_shr:2 row_mask:0xf bank_mask:0xf
	v_mov_b32_dpp v3, v1 row_shr:2 row_mask:0xf bank_mask:0xf
	v_mov_b32_dpp v6, v4 row_shr:2 row_mask:0xf bank_mask:0xf
	v_mov_b32_dpp v7, v5 row_shr:2 row_mask:0xf bank_mask:0xf
	v_pk_add_f32 v[0:1], v[0:1], v[2:3]
	v_pk_add_f32 v[4:5], v[4:5], v[6:7]
	s_nop 0
	v_mov_b32_dpp v2, v0 row_shr:4 row_mask:0xf bank_mask:0xe
	v_mov_b32_dpp v3, v1 row_shr:4 row_mask:0xf bank_mask:0xe
	v_mov_b32_dpp v6, v4 row_shr:4 row_mask:0xf bank_mask:0xe
	v_mov_b32_dpp v7, v5 row_shr:4 row_mask:0xf bank_mask:0xe
	v_pk_add_f32 v[0:1], v[0:1], v[2:3]
	v_pk_add_f32 v[4:5], v[4:5], v[6:7]
	s_nop 0
	;; [unrolled: 7-line block ×3, first 2 shown]
	v_mov_b32_dpp v2, v0 row_bcast:15 row_mask:0xa bank_mask:0xf
	v_mov_b32_dpp v3, v1 row_bcast:15 row_mask:0xa bank_mask:0xf
	;; [unrolled: 1-line block ×4, first 2 shown]
	s_and_b64 exec, exec, vcc
	s_cbranch_execz .LBB23_10
; %bb.38:
	s_load_dwordx2 s[0:1], s[0:1], 0x50
	v_cmp_eq_f32_e64 s[2:3], s14, 0
	v_pk_add_f32 v[2:3], v[0:1], v[2:3]
	v_pk_add_f32 v[0:1], v[4:5], v[6:7]
	s_and_b64 vcc, exec, s[2:3]
	v_lshlrev_b32_e32 v4, 2, v16
	s_cbranch_vccz .LBB23_40
; %bb.39:
	v_ashrrev_i32_e32 v5, 31, v4
	s_waitcnt lgkmcnt(0)
	v_lshl_add_u64 v[10:11], v[4:5], 2, s[0:1]
	v_pk_mul_f32 v[6:7], s[12:13], v[2:3] op_sel_hi:[0,1]
	v_pk_mul_f32 v[8:9], s[12:13], v[0:1] op_sel_hi:[0,1]
	global_store_dwordx4 v[10:11], v[6:9], off
	s_cbranch_execnz .LBB23_10
	s_branch .LBB23_41
.LBB23_40:
.LBB23_41:
	v_ashrrev_i32_e32 v5, 31, v4
	s_waitcnt lgkmcnt(0)
	v_lshl_add_u64 v[8:9], v[4:5], 2, s[0:1]
	global_load_dwordx4 v[4:7], v[8:9], off
	v_pk_mul_f32 v[2:3], s[12:13], v[2:3] op_sel_hi:[0,1]
	v_pk_mul_f32 v[10:11], s[12:13], v[0:1] op_sel_hi:[0,1]
	s_waitcnt vmcnt(0)
	v_pk_fma_f32 v[0:1], s[14:15], v[4:5], v[2:3] op_sel_hi:[0,1,1]
	v_pk_fma_f32 v[2:3], s[14:15], v[6:7], v[10:11] op_sel_hi:[0,1,1]
	global_store_dwordx4 v[8:9], v[0:3], off
	s_endpgm
	.section	.rodata,"a",@progbits
	.p2align	6, 0x0
	.amdhsa_kernel _ZN9rocsparseL18bsrxmvn_4x4_kernelILj128ELj32EflifffEEvT3_20rocsparse_direction_NS_24const_host_device_scalarIT1_EES1_PKS1_PKT2_SA_S7_PKT4_PKT5_S5_PT6_21rocsparse_index_base_b
		.amdhsa_group_segment_fixed_size 0
		.amdhsa_private_segment_fixed_size 0
		.amdhsa_kernarg_size 96
		.amdhsa_user_sgpr_count 2
		.amdhsa_user_sgpr_dispatch_ptr 0
		.amdhsa_user_sgpr_queue_ptr 0
		.amdhsa_user_sgpr_kernarg_segment_ptr 1
		.amdhsa_user_sgpr_dispatch_id 0
		.amdhsa_user_sgpr_kernarg_preload_length 0
		.amdhsa_user_sgpr_kernarg_preload_offset 0
		.amdhsa_user_sgpr_private_segment_size 0
		.amdhsa_uses_dynamic_stack 0
		.amdhsa_enable_private_segment 0
		.amdhsa_system_sgpr_workgroup_id_x 1
		.amdhsa_system_sgpr_workgroup_id_y 0
		.amdhsa_system_sgpr_workgroup_id_z 0
		.amdhsa_system_sgpr_workgroup_info 0
		.amdhsa_system_vgpr_workitem_id 0
		.amdhsa_next_free_vgpr 112
		.amdhsa_next_free_sgpr 28
		.amdhsa_accum_offset 112
		.amdhsa_reserve_vcc 1
		.amdhsa_float_round_mode_32 0
		.amdhsa_float_round_mode_16_64 0
		.amdhsa_float_denorm_mode_32 3
		.amdhsa_float_denorm_mode_16_64 3
		.amdhsa_dx10_clamp 1
		.amdhsa_ieee_mode 1
		.amdhsa_fp16_overflow 0
		.amdhsa_tg_split 0
		.amdhsa_exception_fp_ieee_invalid_op 0
		.amdhsa_exception_fp_denorm_src 0
		.amdhsa_exception_fp_ieee_div_zero 0
		.amdhsa_exception_fp_ieee_overflow 0
		.amdhsa_exception_fp_ieee_underflow 0
		.amdhsa_exception_fp_ieee_inexact 0
		.amdhsa_exception_int_div_zero 0
	.end_amdhsa_kernel
	.section	.text._ZN9rocsparseL18bsrxmvn_4x4_kernelILj128ELj32EflifffEEvT3_20rocsparse_direction_NS_24const_host_device_scalarIT1_EES1_PKS1_PKT2_SA_S7_PKT4_PKT5_S5_PT6_21rocsparse_index_base_b,"axG",@progbits,_ZN9rocsparseL18bsrxmvn_4x4_kernelILj128ELj32EflifffEEvT3_20rocsparse_direction_NS_24const_host_device_scalarIT1_EES1_PKS1_PKT2_SA_S7_PKT4_PKT5_S5_PT6_21rocsparse_index_base_b,comdat
.Lfunc_end23:
	.size	_ZN9rocsparseL18bsrxmvn_4x4_kernelILj128ELj32EflifffEEvT3_20rocsparse_direction_NS_24const_host_device_scalarIT1_EES1_PKS1_PKT2_SA_S7_PKT4_PKT5_S5_PT6_21rocsparse_index_base_b, .Lfunc_end23-_ZN9rocsparseL18bsrxmvn_4x4_kernelILj128ELj32EflifffEEvT3_20rocsparse_direction_NS_24const_host_device_scalarIT1_EES1_PKS1_PKT2_SA_S7_PKT4_PKT5_S5_PT6_21rocsparse_index_base_b
                                        ; -- End function
	.set _ZN9rocsparseL18bsrxmvn_4x4_kernelILj128ELj32EflifffEEvT3_20rocsparse_direction_NS_24const_host_device_scalarIT1_EES1_PKS1_PKT2_SA_S7_PKT4_PKT5_S5_PT6_21rocsparse_index_base_b.num_vgpr, 112
	.set _ZN9rocsparseL18bsrxmvn_4x4_kernelILj128ELj32EflifffEEvT3_20rocsparse_direction_NS_24const_host_device_scalarIT1_EES1_PKS1_PKT2_SA_S7_PKT4_PKT5_S5_PT6_21rocsparse_index_base_b.num_agpr, 0
	.set _ZN9rocsparseL18bsrxmvn_4x4_kernelILj128ELj32EflifffEEvT3_20rocsparse_direction_NS_24const_host_device_scalarIT1_EES1_PKS1_PKT2_SA_S7_PKT4_PKT5_S5_PT6_21rocsparse_index_base_b.numbered_sgpr, 28
	.set _ZN9rocsparseL18bsrxmvn_4x4_kernelILj128ELj32EflifffEEvT3_20rocsparse_direction_NS_24const_host_device_scalarIT1_EES1_PKS1_PKT2_SA_S7_PKT4_PKT5_S5_PT6_21rocsparse_index_base_b.num_named_barrier, 0
	.set _ZN9rocsparseL18bsrxmvn_4x4_kernelILj128ELj32EflifffEEvT3_20rocsparse_direction_NS_24const_host_device_scalarIT1_EES1_PKS1_PKT2_SA_S7_PKT4_PKT5_S5_PT6_21rocsparse_index_base_b.private_seg_size, 0
	.set _ZN9rocsparseL18bsrxmvn_4x4_kernelILj128ELj32EflifffEEvT3_20rocsparse_direction_NS_24const_host_device_scalarIT1_EES1_PKS1_PKT2_SA_S7_PKT4_PKT5_S5_PT6_21rocsparse_index_base_b.uses_vcc, 1
	.set _ZN9rocsparseL18bsrxmvn_4x4_kernelILj128ELj32EflifffEEvT3_20rocsparse_direction_NS_24const_host_device_scalarIT1_EES1_PKS1_PKT2_SA_S7_PKT4_PKT5_S5_PT6_21rocsparse_index_base_b.uses_flat_scratch, 0
	.set _ZN9rocsparseL18bsrxmvn_4x4_kernelILj128ELj32EflifffEEvT3_20rocsparse_direction_NS_24const_host_device_scalarIT1_EES1_PKS1_PKT2_SA_S7_PKT4_PKT5_S5_PT6_21rocsparse_index_base_b.has_dyn_sized_stack, 0
	.set _ZN9rocsparseL18bsrxmvn_4x4_kernelILj128ELj32EflifffEEvT3_20rocsparse_direction_NS_24const_host_device_scalarIT1_EES1_PKS1_PKT2_SA_S7_PKT4_PKT5_S5_PT6_21rocsparse_index_base_b.has_recursion, 0
	.set _ZN9rocsparseL18bsrxmvn_4x4_kernelILj128ELj32EflifffEEvT3_20rocsparse_direction_NS_24const_host_device_scalarIT1_EES1_PKS1_PKT2_SA_S7_PKT4_PKT5_S5_PT6_21rocsparse_index_base_b.has_indirect_call, 0
	.section	.AMDGPU.csdata,"",@progbits
; Kernel info:
; codeLenInByte = 3476
; TotalNumSgprs: 34
; NumVgprs: 112
; NumAgprs: 0
; TotalNumVgprs: 112
; ScratchSize: 0
; MemoryBound: 1
; FloatMode: 240
; IeeeMode: 1
; LDSByteSize: 0 bytes/workgroup (compile time only)
; SGPRBlocks: 4
; VGPRBlocks: 13
; NumSGPRsForWavesPerEU: 34
; NumVGPRsForWavesPerEU: 112
; AccumOffset: 112
; Occupancy: 4
; WaveLimiterHint : 1
; COMPUTE_PGM_RSRC2:SCRATCH_EN: 0
; COMPUTE_PGM_RSRC2:USER_SGPR: 2
; COMPUTE_PGM_RSRC2:TRAP_HANDLER: 0
; COMPUTE_PGM_RSRC2:TGID_X_EN: 1
; COMPUTE_PGM_RSRC2:TGID_Y_EN: 0
; COMPUTE_PGM_RSRC2:TGID_Z_EN: 0
; COMPUTE_PGM_RSRC2:TIDIG_COMP_CNT: 0
; COMPUTE_PGM_RSRC3_GFX90A:ACCUM_OFFSET: 27
; COMPUTE_PGM_RSRC3_GFX90A:TG_SPLIT: 0
	.section	.text._ZN9rocsparseL18bsrxmvn_4x4_kernelILj128ELj64EflifffEEvT3_20rocsparse_direction_NS_24const_host_device_scalarIT1_EES1_PKS1_PKT2_SA_S7_PKT4_PKT5_S5_PT6_21rocsparse_index_base_b,"axG",@progbits,_ZN9rocsparseL18bsrxmvn_4x4_kernelILj128ELj64EflifffEEvT3_20rocsparse_direction_NS_24const_host_device_scalarIT1_EES1_PKS1_PKT2_SA_S7_PKT4_PKT5_S5_PT6_21rocsparse_index_base_b,comdat
	.globl	_ZN9rocsparseL18bsrxmvn_4x4_kernelILj128ELj64EflifffEEvT3_20rocsparse_direction_NS_24const_host_device_scalarIT1_EES1_PKS1_PKT2_SA_S7_PKT4_PKT5_S5_PT6_21rocsparse_index_base_b ; -- Begin function _ZN9rocsparseL18bsrxmvn_4x4_kernelILj128ELj64EflifffEEvT3_20rocsparse_direction_NS_24const_host_device_scalarIT1_EES1_PKS1_PKT2_SA_S7_PKT4_PKT5_S5_PT6_21rocsparse_index_base_b
	.p2align	8
	.type	_ZN9rocsparseL18bsrxmvn_4x4_kernelILj128ELj64EflifffEEvT3_20rocsparse_direction_NS_24const_host_device_scalarIT1_EES1_PKS1_PKT2_SA_S7_PKT4_PKT5_S5_PT6_21rocsparse_index_base_b,@function
_ZN9rocsparseL18bsrxmvn_4x4_kernelILj128ELj64EflifffEEvT3_20rocsparse_direction_NS_24const_host_device_scalarIT1_EES1_PKS1_PKT2_SA_S7_PKT4_PKT5_S5_PT6_21rocsparse_index_base_b: ; @_ZN9rocsparseL18bsrxmvn_4x4_kernelILj128ELj64EflifffEEvT3_20rocsparse_direction_NS_24const_host_device_scalarIT1_EES1_PKS1_PKT2_SA_S7_PKT4_PKT5_S5_PT6_21rocsparse_index_base_b
; %bb.0:
	s_load_dwordx2 s[16:17], s[0:1], 0x58
	s_load_dwordx2 s[12:13], s[0:1], 0x8
	;; [unrolled: 1-line block ×3, first 2 shown]
	s_waitcnt lgkmcnt(0)
	s_bitcmp1_b32 s17, 0
	s_cselect_b64 s[6:7], -1, 0
	s_xor_b64 s[4:5], s[6:7], -1
	s_and_b64 vcc, exec, s[6:7]
	s_cbranch_vccnz .LBB24_2
; %bb.1:
	s_load_dword s12, s[12:13], 0x0
.LBB24_2:
	s_andn2_b64 vcc, exec, s[4:5]
	s_cbranch_vccnz .LBB24_4
; %bb.3:
	s_load_dword s14, s[14:15], 0x0
.LBB24_4:
	s_waitcnt lgkmcnt(0)
	v_cmp_neq_f32_e64 s[4:5], s12, 0
	v_cmp_neq_f32_e64 s[6:7], s14, 1.0
	s_or_b64 s[4:5], s[4:5], s[6:7]
	s_andn2_b64 vcc, exec, s[4:5]
	s_cbranch_vccnz .LBB24_10
; %bb.5:
	s_load_dwordx2 s[4:5], s[0:1], 0x18
	s_load_dwordx2 s[18:19], s[0:1], 0x0
	v_lshrrev_b32_e32 v1, 6, v0
	v_lshl_or_b32 v8, s2, 1, v1
	s_mov_b64 s[2:3], 0
	s_waitcnt lgkmcnt(0)
	s_cmp_lg_u64 s[4:5], 0
	s_cbranch_scc0 .LBB24_11
; %bb.6:
	s_load_dword s6, s[0:1], 0x10
                                        ; implicit-def: $vgpr1
	s_waitcnt lgkmcnt(0)
	v_cmp_gt_i32_e32 vcc, s6, v8
	s_and_saveexec_b64 s[6:7], vcc
	s_xor_b64 s[6:7], exec, s[6:7]
	s_cbranch_execz .LBB24_8
; %bb.7:
	v_ashrrev_i32_e32 v9, 31, v8
	v_lshl_add_u64 v[2:3], v[8:9], 2, s[4:5]
	global_load_dword v1, v[2:3], off
	s_mov_b64 s[2:3], exec
	s_waitcnt vmcnt(0)
	v_subrev_u32_e32 v1, s16, v1
.LBB24_8:
	s_or_b64 exec, exec, s[6:7]
	s_branch .LBB24_12
.LBB24_9:
	v_cmp_gt_i32_e32 vcc, s18, v8
	s_andn2_b64 s[2:3], s[2:3], exec
	s_and_b64 s[4:5], vcc, exec
	s_or_b64 s[2:3], s[2:3], s[4:5]
	s_and_saveexec_b64 s[4:5], s[2:3]
	s_cbranch_execnz .LBB24_13
.LBB24_10:
	s_endpgm
.LBB24_11:
                                        ; implicit-def: $vgpr1
	s_cbranch_execnz .LBB24_9
.LBB24_12:
	v_mov_b32_e32 v8, v1
	s_and_saveexec_b64 s[4:5], s[2:3]
	s_cbranch_execz .LBB24_10
.LBB24_13:
	s_load_dwordx8 s[4:11], s[0:1], 0x20
	v_ashrrev_i32_e32 v9, 31, v8
	v_lshlrev_b64 v[2:3], 3, v[8:9]
	v_and_b32_e32 v10, 63, v0
	v_mov_b32_e32 v11, 0
	s_waitcnt lgkmcnt(0)
	v_lshl_add_u64 v[4:5], s[4:5], 0, v[2:3]
	s_cmp_eq_u64 s[6:7], 0
	v_lshl_add_u64 v[2:3], s[6:7], 0, v[2:3]
	global_load_dwordx2 v[22:23], v[4:5], off
	v_lshl_add_u64 v[4:5], v[4:5], 0, 8
	s_cselect_b64 vcc, -1, 0
	v_cndmask_b32_e32 v3, v3, v5, vcc
	v_cndmask_b32_e32 v2, v2, v4, vcc
	global_load_dwordx2 v[2:3], v[2:3], off
	s_load_dwordx2 s[6:7], s[0:1], 0x40
	s_cmp_eq_u32 s19, 1
	s_waitcnt vmcnt(1)
	v_subrev_co_u32_e32 v0, vcc, s16, v22
	s_nop 1
	v_subbrev_co_u32_e32 v1, vcc, 0, v23, vcc
	v_lshl_add_u64 v[12:13], v[0:1], 0, v[10:11]
	s_waitcnt vmcnt(0)
	v_subrev_co_u32_e32 v14, vcc, s16, v2
	v_lshlrev_b64 v[0:1], 6, v[12:13]
	s_nop 0
	v_subbrev_co_u32_e32 v15, vcc, 0, v3, vcc
	v_lshl_add_u64 v[16:17], s[10:11], 0, v[0:1]
	v_cmp_lt_i64_e64 s[2:3], v[12:13], v[14:15]
	s_cbranch_scc1 .LBB24_25
; %bb.14:
	v_mov_b32_e32 v18, v11
	v_mov_b32_e32 v21, v11
	;; [unrolled: 1-line block ×3, first 2 shown]
	s_and_saveexec_b64 s[10:11], s[2:3]
	s_cbranch_execz .LBB24_24
; %bb.15:
	v_or_b32_e32 v0, 64, v10
	v_subrev_co_u32_e32 v0, vcc, s16, v0
	v_not_b32_e32 v3, v23
	s_nop 0
	v_subb_co_u32_e64 v1, s[4:5], 0, 0, vcc
	v_lshl_add_u64 v[0:1], v[0:1], 0, v[22:23]
	v_cmp_gt_i64_e32 vcc, v[0:1], v[14:15]
	v_not_b32_e32 v2, v22
	v_mov_b32_e32 v18, 0
	v_cndmask_b32_e32 v1, v15, v1, vcc
	v_cndmask_b32_e32 v0, v14, v0, vcc
	v_sub_co_u32_e32 v4, vcc, s16, v10
	v_mov_b32_e32 v19, v18
	s_nop 0
	v_subb_co_u32_e64 v5, s[4:5], 0, 0, vcc
	v_lshl_add_u64 v[2:3], v[4:5], 0, v[2:3]
	v_lshl_add_u64 v[0:1], v[2:3], 0, v[0:1]
	v_and_b32_e32 v2, 0xc0, v0
	v_mov_b32_e32 v3, v18
	s_mov_b64 s[4:5], 0xc0
	v_cmp_ne_u64_e32 vcc, s[4:5], v[2:3]
	v_mov_b64_e32 v[20:21], v[18:19]
	v_mov_b64_e32 v[24:25], v[12:13]
	;; [unrolled: 1-line block ×3, first 2 shown]
	s_and_saveexec_b64 s[4:5], vcc
	s_cbranch_execz .LBB24_19
; %bb.16:
	v_lshrrev_b32_e32 v2, 6, v0
	v_add_u32_e32 v2, 1, v2
	v_and_b32_e32 v2, 3, v2
	v_sub_co_u32_e32 v2, vcc, 0, v2
	s_mov_b64 s[18:19], 0
	s_nop 0
	v_subb_co_u32_e64 v3, s[20:21], 0, 0, vcc
	v_lshl_add_u64 v[4:5], v[12:13], 2, s[8:9]
	s_mov_b64 s[20:21], 0x1000
	s_mov_b64 s[22:23], 0x100
	v_mov_b64_e32 v[26:27], v[16:17]
	v_mov_b64_e32 v[24:25], v[12:13]
	v_mov_b32_e32 v19, v18
	v_mov_b32_e32 v20, v18
	;; [unrolled: 1-line block ×3, first 2 shown]
.LBB24_17:                              ; =>This Inner Loop Header: Depth=1
	global_load_dword v6, v[4:5], off
	global_load_dwordx4 v[40:43], v[26:27], off
	global_load_dwordx4 v[28:31], v[26:27], off offset:16
	global_load_dwordx4 v[44:47], v[26:27], off offset:32
	;; [unrolled: 1-line block ×3, first 2 shown]
	v_lshl_add_u64 v[2:3], v[2:3], 0, 1
	v_cmp_eq_u64_e32 vcc, 0, v[2:3]
	v_lshl_add_u64 v[26:27], v[26:27], 0, s[20:21]
	v_lshl_add_u64 v[24:25], v[24:25], 0, 64
	;; [unrolled: 1-line block ×3, first 2 shown]
	s_or_b64 s[18:19], vcc, s[18:19]
	s_waitcnt vmcnt(4)
	v_subrev_u32_e32 v6, s16, v6
	v_lshlrev_b32_e32 v6, 2, v6
	v_ashrrev_i32_e32 v7, 31, v6
	s_waitcnt lgkmcnt(0)
	v_lshl_add_u64 v[6:7], v[6:7], 2, s[6:7]
	global_load_dwordx4 v[36:39], v[6:7], off
	s_waitcnt vmcnt(4)
	v_mov_b32_e32 v6, v40
	s_waitcnt vmcnt(3)
	v_mov_b32_e32 v7, v28
	v_mov_b32_e32 v28, v41
	;; [unrolled: 1-line block ×5, first 2 shown]
	s_waitcnt vmcnt(2)
	v_mov_b32_e32 v42, v44
	s_waitcnt vmcnt(1)
	v_mov_b32_e32 v43, v32
	v_mov_b32_e32 v32, v45
	;; [unrolled: 1-line block ×5, first 2 shown]
	s_waitcnt vmcnt(0)
	v_pk_fma_f32 v[6:7], v[6:7], v[36:37], v[20:21] op_sel_hi:[1,0,1]
	v_pk_fma_f32 v[18:19], v[42:43], v[36:37], v[18:19] op_sel_hi:[1,0,1]
	v_pk_fma_f32 v[6:7], v[28:29], v[36:37], v[6:7] op_sel:[0,1,0]
	v_pk_fma_f32 v[18:19], v[32:33], v[36:37], v[18:19] op_sel:[0,1,0]
	v_mov_b32_e32 v46, v39
	v_pk_fma_f32 v[6:7], v[40:41], v[38:39], v[6:7] op_sel_hi:[1,0,1]
	v_pk_fma_f32 v[18:19], v[44:45], v[38:39], v[18:19] op_sel_hi:[1,0,1]
	;; [unrolled: 1-line block ×4, first 2 shown]
	s_andn2_b64 exec, exec, s[18:19]
	s_cbranch_execnz .LBB24_17
; %bb.18:
	s_or_b64 exec, exec, s[18:19]
.LBB24_19:
	s_or_b64 exec, exec, s[4:5]
	s_mov_b64 s[4:5], 0xbf
	v_cmp_lt_u64_e32 vcc, s[4:5], v[0:1]
	s_and_saveexec_b64 s[18:19], vcc
	s_cbranch_execz .LBB24_23
; %bb.20:
	v_lshl_add_u64 v[0:1], v[24:25], 2, s[8:9]
	s_mov_b64 s[4:5], 0x200
	v_lshl_add_u64 v[28:29], v[0:1], 0, s[4:5]
	s_mov_b64 s[20:21], 0
	s_mov_b64 s[22:23], 0x1000
	;; [unrolled: 1-line block ×4, first 2 shown]
	s_movk_i32 s13, 0x2000
	s_movk_i32 s15, 0x3000
	s_mov_b64 s[28:29], 0x4000
	s_mov_b64 s[30:31], 0x100
	;; [unrolled: 1-line block ×3, first 2 shown]
.LBB24_21:                              ; =>This Inner Loop Header: Depth=1
	global_load_dword v9, v[28:29], off offset:-512
	global_load_dwordx4 v[80:83], v[26:27], off
	global_load_dword v11, v[28:29], off offset:-256
	global_load_dword v64, v[28:29], off
	global_load_dword v65, v[28:29], off offset:256
	global_load_dwordx4 v[4:7], v[26:27], off offset:16
	global_load_dwordx4 v[84:87], v[26:27], off offset:32
	;; [unrolled: 1-line block ×3, first 2 shown]
	v_lshl_add_u64 v[54:55], v[26:27], 0, s[22:23]
	v_lshl_add_u64 v[56:57], v[26:27], 0, s[24:25]
	v_add_co_u32_e64 v60, s[4:5], s13, v26
	v_lshl_add_u64 v[58:59], v[26:27], 0, s[26:27]
	v_add_co_u32_e32 v62, vcc, s15, v26
	v_addc_co_u32_e64 v61, s[4:5], 0, v27, s[4:5]
	global_load_dwordx4 v[30:33], v[54:55], off offset:48
	global_load_dwordx4 v[92:95], v[54:55], off offset:32
	;; [unrolled: 1-line block ×9, first 2 shown]
	v_addc_co_u32_e32 v63, vcc, 0, v27, vcc
	global_load_dwordx4 v[104:107], v[60:61], off
	global_load_dwordx4 v[108:111], v[60:61], off offset:-4096
	global_load_dwordx4 v[112:115], v[62:63], off
	v_lshl_add_u64 v[24:25], v[24:25], 0, s[30:31]
	v_cmp_ge_i64_e32 vcc, v[24:25], v[14:15]
	v_lshl_add_u64 v[28:29], v[28:29], 0, s[34:35]
	v_lshl_add_u64 v[26:27], v[26:27], 0, s[28:29]
	s_or_b64 s[20:21], vcc, s[20:21]
	s_waitcnt vmcnt(19)
	v_subrev_u32_e32 v9, s16, v9
	v_lshlrev_b32_e32 v54, 2, v9
	s_waitcnt vmcnt(17)
	v_subrev_u32_e32 v11, s16, v11
	s_waitcnt vmcnt(16)
	v_subrev_u32_e32 v55, s16, v64
	;; [unrolled: 2-line block ×3, first 2 shown]
	v_lshlrev_b32_e32 v56, 2, v11
	v_lshlrev_b32_e32 v58, 2, v55
	;; [unrolled: 1-line block ×3, first 2 shown]
	v_ashrrev_i32_e32 v55, 31, v54
	v_ashrrev_i32_e32 v57, 31, v56
	;; [unrolled: 1-line block ×4, first 2 shown]
	s_waitcnt lgkmcnt(0)
	v_lshl_add_u64 v[72:73], v[54:55], 2, s[6:7]
	v_lshl_add_u64 v[74:75], v[56:57], 2, s[6:7]
	;; [unrolled: 1-line block ×4, first 2 shown]
	global_load_dwordx4 v[54:57], v[72:73], off
	global_load_dwordx4 v[58:61], v[74:75], off
	;; [unrolled: 1-line block ×4, first 2 shown]
	v_mov_b32_e32 v70, v80
	s_waitcnt vmcnt(18)
	v_mov_b32_e32 v71, v4
	s_waitcnt vmcnt(17)
	v_mov_b32_e32 v74, v84
	s_waitcnt vmcnt(16)
	v_mov_b32_e32 v75, v0
	v_mov_b32_e32 v4, v81
	;; [unrolled: 1-line block ×9, first 2 shown]
	s_waitcnt vmcnt(13)
	v_mov_b32_e32 v79, v34
	v_mov_b32_e32 v90, v92
	;; [unrolled: 1-line block ×3, first 2 shown]
	s_waitcnt vmcnt(5)
	v_mov_b32_e32 v78, v108
	v_mov_b32_e32 v30, v93
	;; [unrolled: 1-line block ×16, first 2 shown]
	s_waitcnt vmcnt(4)
	v_mov_b32_e32 v86, v112
	v_mov_b32_e32 v50, v113
	;; [unrolled: 1-line block ×5, first 2 shown]
	s_waitcnt vmcnt(3)
	v_pk_fma_f32 v[20:21], v[70:71], v[54:55], v[20:21] op_sel_hi:[1,0,1]
	v_pk_fma_f32 v[18:19], v[74:75], v[54:55], v[18:19] op_sel_hi:[1,0,1]
	v_pk_fma_f32 v[4:5], v[4:5], v[54:55], v[20:21] op_sel:[0,1,0]
	v_pk_fma_f32 v[0:1], v[0:1], v[54:55], v[18:19] op_sel:[0,1,0]
	v_pk_fma_f32 v[4:5], v[72:73], v[56:57], v[4:5] op_sel_hi:[1,0,1]
	v_pk_fma_f32 v[0:1], v[76:77], v[56:57], v[0:1] op_sel_hi:[1,0,1]
	v_mov_b32_e32 v54, v57
	v_pk_fma_f32 v[4:5], v[6:7], v[54:55], v[4:5] op_sel_hi:[1,0,1]
	v_pk_fma_f32 v[0:1], v[2:3], v[54:55], v[0:1] op_sel_hi:[1,0,1]
	s_waitcnt vmcnt(2)
	v_pk_fma_f32 v[2:3], v[78:79], v[58:59], v[4:5] op_sel_hi:[1,0,1]
	v_pk_fma_f32 v[0:1], v[90:91], v[58:59], v[0:1] op_sel_hi:[1,0,1]
	v_pk_fma_f32 v[2:3], v[34:35], v[58:59], v[2:3] op_sel:[0,1,0]
	v_pk_fma_f32 v[0:1], v[30:31], v[58:59], v[0:1] op_sel:[0,1,0]
	v_mov_b32_e32 v56, v61
	v_pk_fma_f32 v[2:3], v[80:81], v[60:61], v[2:3] op_sel_hi:[1,0,1]
	v_pk_fma_f32 v[0:1], v[92:93], v[60:61], v[0:1] op_sel_hi:[1,0,1]
	v_mov_b32_e32 v70, v96
	v_mov_b32_e32 v71, v38
	v_pk_fma_f32 v[2:3], v[36:37], v[56:57], v[2:3] op_sel_hi:[1,0,1]
	v_pk_fma_f32 v[0:1], v[32:33], v[56:57], v[0:1] op_sel_hi:[1,0,1]
	v_mov_b32_e32 v38, v97
	s_waitcnt vmcnt(1)
	v_pk_fma_f32 v[2:3], v[82:83], v[62:63], v[2:3] op_sel_hi:[1,0,1]
	v_pk_fma_f32 v[0:1], v[70:71], v[62:63], v[0:1] op_sel_hi:[1,0,1]
	v_mov_b32_e32 v74, v98
	v_mov_b32_e32 v75, v40
	v_pk_fma_f32 v[2:3], v[42:43], v[62:63], v[2:3] op_sel:[0,1,0]
	v_pk_fma_f32 v[0:1], v[38:39], v[62:63], v[0:1] op_sel:[0,1,0]
	v_mov_b32_e32 v40, v99
	v_mov_b32_e32 v6, v65
	v_pk_fma_f32 v[2:3], v[84:85], v[64:65], v[2:3] op_sel_hi:[1,0,1]
	v_pk_fma_f32 v[0:1], v[74:75], v[64:65], v[0:1] op_sel_hi:[1,0,1]
	v_mov_b32_e32 v20, v100
	v_mov_b32_e32 v21, v46
	v_pk_fma_f32 v[2:3], v[44:45], v[6:7], v[2:3] op_sel_hi:[1,0,1]
	v_pk_fma_f32 v[0:1], v[40:41], v[6:7], v[0:1] op_sel_hi:[1,0,1]
	v_mov_b32_e32 v46, v101
	s_waitcnt vmcnt(0)
	v_pk_fma_f32 v[2:3], v[86:87], v[66:67], v[2:3] op_sel_hi:[1,0,1]
	v_pk_fma_f32 v[0:1], v[20:21], v[66:67], v[0:1] op_sel_hi:[1,0,1]
	v_mov_b32_e32 v18, v102
	v_mov_b32_e32 v19, v48
	v_pk_fma_f32 v[2:3], v[50:51], v[66:67], v[2:3] op_sel:[0,1,0]
	v_pk_fma_f32 v[0:1], v[46:47], v[66:67], v[0:1] op_sel:[0,1,0]
	v_mov_b32_e32 v48, v103
	v_mov_b32_e32 v72, v69
	v_pk_fma_f32 v[2:3], v[88:89], v[68:69], v[2:3] op_sel_hi:[1,0,1]
	v_pk_fma_f32 v[0:1], v[18:19], v[68:69], v[0:1] op_sel_hi:[1,0,1]
	;; [unrolled: 1-line block ×4, first 2 shown]
	s_andn2_b64 exec, exec, s[20:21]
	s_cbranch_execnz .LBB24_21
; %bb.22:
	s_or_b64 exec, exec, s[20:21]
.LBB24_23:
	s_or_b64 exec, exec, s[18:19]
	v_mov_b32_e32 v11, v19
.LBB24_24:
	s_or_b64 exec, exec, s[10:11]
	v_mov_b32_e32 v19, v11
	s_cbranch_execz .LBB24_26
	s_branch .LBB24_37
.LBB24_25:
                                        ; implicit-def: $vgpr19
                                        ; implicit-def: $vgpr21
.LBB24_26:
	v_mov_b32_e32 v19, 0
	v_mov_b32_e32 v18, 0
	;; [unrolled: 1-line block ×4, first 2 shown]
	s_and_saveexec_b64 s[4:5], s[2:3]
	s_cbranch_execz .LBB24_36
; %bb.27:
	v_or_b32_e32 v0, 64, v10
	v_subrev_co_u32_e32 v0, vcc, s16, v0
	v_not_b32_e32 v3, v23
	s_nop 0
	v_subb_co_u32_e64 v1, s[2:3], 0, 0, vcc
	v_lshl_add_u64 v[0:1], v[0:1], 0, v[22:23]
	v_cmp_gt_i64_e32 vcc, v[0:1], v[14:15]
	v_not_b32_e32 v2, v22
	v_mov_b32_e32 v18, 0
	v_cndmask_b32_e32 v1, v15, v1, vcc
	v_cndmask_b32_e32 v0, v14, v0, vcc
	v_sub_co_u32_e32 v4, vcc, s16, v10
	v_mov_b32_e32 v19, v18
	s_nop 0
	v_subb_co_u32_e64 v5, s[2:3], 0, 0, vcc
	v_lshl_add_u64 v[2:3], v[4:5], 0, v[2:3]
	v_lshl_add_u64 v[0:1], v[2:3], 0, v[0:1]
	v_and_b32_e32 v2, 0xc0, v0
	v_mov_b32_e32 v3, v18
	s_mov_b64 s[2:3], 0xc0
	v_cmp_ne_u64_e32 vcc, s[2:3], v[2:3]
	v_mov_b64_e32 v[20:21], v[18:19]
	s_and_saveexec_b64 s[2:3], vcc
	s_cbranch_execz .LBB24_31
; %bb.28:
	v_lshrrev_b32_e32 v2, 6, v0
	v_add_u32_e32 v2, 1, v2
	v_and_b32_e32 v4, 3, v2
	v_sub_co_u32_e32 v4, vcc, 0, v4
	v_lshl_add_u64 v[2:3], v[12:13], 2, s[8:9]
	s_nop 0
	v_subb_co_u32_e64 v5, s[18:19], 0, 0, vcc
	s_mov_b64 s[10:11], 0
	s_mov_b64 s[18:19], 0x1000
	;; [unrolled: 1-line block ×3, first 2 shown]
	v_mov_b32_e32 v19, v18
	v_mov_b32_e32 v20, v18
	;; [unrolled: 1-line block ×3, first 2 shown]
.LBB24_29:                              ; =>This Inner Loop Header: Depth=1
	global_load_dword v6, v[2:3], off
	global_load_dwordx4 v[22:25], v[16:17], off offset:16
	global_load_dwordx4 v[26:29], v[16:17], off
	v_lshl_add_u64 v[4:5], v[4:5], 0, 1
	v_cmp_eq_u64_e32 vcc, 0, v[4:5]
	v_lshl_add_u64 v[12:13], v[12:13], 0, 64
	v_lshl_add_u64 v[2:3], v[2:3], 0, s[20:21]
	s_or_b64 s[10:11], vcc, s[10:11]
	s_waitcnt vmcnt(2)
	v_subrev_u32_e32 v6, s16, v6
	v_lshlrev_b32_e32 v6, 2, v6
	v_ashrrev_i32_e32 v7, 31, v6
	s_waitcnt lgkmcnt(0)
	v_lshl_add_u64 v[6:7], v[6:7], 2, s[6:7]
	global_load_dwordx4 v[30:33], v[6:7], off
	global_load_dwordx4 v[34:37], v[16:17], off offset:32
	global_load_dwordx4 v[38:41], v[16:17], off offset:48
	v_lshl_add_u64 v[16:17], v[16:17], 0, s[18:19]
	s_waitcnt vmcnt(2)
	v_pk_fma_f32 v[6:7], v[26:27], v[30:31], v[20:21] op_sel_hi:[1,0,1]
	v_pk_fma_f32 v[18:19], v[28:29], v[30:31], v[18:19] op_sel_hi:[1,0,1]
	v_pk_fma_f32 v[6:7], v[22:23], v[30:31], v[6:7] op_sel:[0,1,0]
	v_pk_fma_f32 v[18:19], v[24:25], v[30:31], v[18:19] op_sel:[0,1,0]
	v_mov_b32_e32 v26, v33
	s_waitcnt vmcnt(1)
	v_pk_fma_f32 v[6:7], v[34:35], v[32:33], v[6:7] op_sel_hi:[1,0,1]
	v_pk_fma_f32 v[18:19], v[36:37], v[32:33], v[18:19] op_sel_hi:[1,0,1]
	s_waitcnt vmcnt(0)
	v_pk_fma_f32 v[20:21], v[38:39], v[26:27], v[6:7] op_sel_hi:[1,0,1]
	v_pk_fma_f32 v[18:19], v[40:41], v[26:27], v[18:19] op_sel_hi:[1,0,1]
	s_andn2_b64 exec, exec, s[10:11]
	s_cbranch_execnz .LBB24_29
; %bb.30:
	s_or_b64 exec, exec, s[10:11]
.LBB24_31:
	s_or_b64 exec, exec, s[2:3]
	s_mov_b64 s[2:3], 0xbf
	v_cmp_lt_u64_e32 vcc, s[2:3], v[0:1]
	s_and_saveexec_b64 s[2:3], vcc
	s_cbranch_execz .LBB24_35
; %bb.32:
	v_lshl_add_u64 v[0:1], v[12:13], 2, s[8:9]
	s_mov_b64 s[8:9], 0x200
	v_lshl_add_u64 v[0:1], v[0:1], 0, s[8:9]
	s_mov_b64 s[8:9], 0
	s_mov_b64 s[10:11], 0x1000
	;; [unrolled: 1-line block ×3, first 2 shown]
	s_movk_i32 s13, 0x2000
	s_mov_b64 s[20:21], 0x3000
	s_movk_i32 s15, 0x3000
	s_mov_b64 s[22:23], 0x100
	s_mov_b64 s[24:25], 0x400
	s_mov_b64 s[26:27], 0x4000
.LBB24_33:                              ; =>This Inner Loop Header: Depth=1
	global_load_dword v9, v[0:1], off offset:-512
	global_load_dword v11, v[0:1], off offset:-256
	global_load_dword v80, v[0:1], off
	global_load_dword v81, v[0:1], off offset:256
	global_load_dwordx4 v[2:5], v[16:17], off offset:48
	global_load_dwordx4 v[22:25], v[16:17], off offset:32
	;; [unrolled: 1-line block ×3, first 2 shown]
	global_load_dwordx4 v[30:33], v[16:17], off
	v_add_co_u32_e32 v74, vcc, s13, v16
	v_lshl_add_u64 v[6:7], v[16:17], 0, s[10:11]
	s_nop 0
	v_addc_co_u32_e32 v75, vcc, 0, v17, vcc
	v_add_co_u32_e32 v78, vcc, s15, v16
	v_lshl_add_u64 v[76:77], v[16:17], 0, s[18:19]
	v_lshl_add_u64 v[98:99], v[16:17], 0, s[20:21]
	v_addc_co_u32_e32 v79, vcc, 0, v17, vcc
	global_load_dwordx4 v[34:37], v[6:7], off offset:32
	global_load_dwordx4 v[38:41], v[6:7], off offset:16
	global_load_dwordx4 v[42:45], v[74:75], off offset:-4096
	global_load_dwordx4 v[46:49], v[74:75], off
	global_load_dwordx4 v[50:53], v[76:77], off offset:48
	global_load_dwordx4 v[54:57], v[76:77], off offset:32
	;; [unrolled: 1-line block ×4, first 2 shown]
	global_load_dwordx4 v[66:69], v[78:79], off
	global_load_dwordx4 v[70:73], v[98:99], off offset:16
	v_lshl_add_u64 v[12:13], v[12:13], 0, s[22:23]
	v_cmp_ge_i64_e32 vcc, v[12:13], v[14:15]
	v_lshl_add_u64 v[0:1], v[0:1], 0, s[24:25]
	v_lshl_add_u64 v[16:17], v[16:17], 0, s[26:27]
	s_or_b64 s[8:9], vcc, s[8:9]
	s_waitcnt vmcnt(17)
	v_subrev_u32_e32 v6, s16, v9
	s_waitcnt vmcnt(16)
	v_subrev_u32_e32 v7, s16, v11
	;; [unrolled: 2-line block ×4, first 2 shown]
	v_lshlrev_b32_e32 v6, 2, v6
	v_lshlrev_b32_e32 v74, 2, v7
	;; [unrolled: 1-line block ×4, first 2 shown]
	v_ashrrev_i32_e32 v7, 31, v6
	v_ashrrev_i32_e32 v75, 31, v74
	;; [unrolled: 1-line block ×4, first 2 shown]
	s_waitcnt lgkmcnt(0)
	v_lshl_add_u64 v[6:7], v[6:7], 2, s[6:7]
	v_lshl_add_u64 v[100:101], v[74:75], 2, s[6:7]
	;; [unrolled: 1-line block ×4, first 2 shown]
	global_load_dwordx4 v[74:77], v[6:7], off
	global_load_dwordx4 v[78:81], v[100:101], off
	;; [unrolled: 1-line block ×4, first 2 shown]
	global_load_dwordx4 v[90:93], v[98:99], off offset:32
	global_load_dwordx4 v[94:97], v[98:99], off offset:48
	s_waitcnt vmcnt(5)
	v_pk_fma_f32 v[6:7], v[30:31], v[74:75], v[20:21] op_sel_hi:[1,0,1]
	v_pk_fma_f32 v[18:19], v[32:33], v[74:75], v[18:19] op_sel_hi:[1,0,1]
	v_pk_fma_f32 v[6:7], v[26:27], v[74:75], v[6:7] op_sel:[0,1,0]
	v_pk_fma_f32 v[18:19], v[28:29], v[74:75], v[18:19] op_sel:[0,1,0]
	v_mov_b32_e32 v20, v77
	v_pk_fma_f32 v[6:7], v[22:23], v[76:77], v[6:7] op_sel_hi:[1,0,1]
	v_pk_fma_f32 v[18:19], v[24:25], v[76:77], v[18:19] op_sel_hi:[1,0,1]
	v_pk_fma_f32 v[2:3], v[2:3], v[20:21], v[6:7] op_sel_hi:[1,0,1]
	v_pk_fma_f32 v[4:5], v[4:5], v[20:21], v[18:19] op_sel_hi:[1,0,1]
	s_waitcnt vmcnt(4)
	v_pk_fma_f32 v[2:3], v[42:43], v[78:79], v[2:3] op_sel_hi:[1,0,1]
	v_pk_fma_f32 v[4:5], v[44:45], v[78:79], v[4:5] op_sel_hi:[1,0,1]
	v_pk_fma_f32 v[2:3], v[38:39], v[78:79], v[2:3] op_sel:[0,1,0]
	v_pk_fma_f32 v[4:5], v[40:41], v[78:79], v[4:5] op_sel:[0,1,0]
	v_mov_b32_e32 v30, v81
	v_pk_fma_f32 v[2:3], v[34:35], v[80:81], v[2:3] op_sel_hi:[1,0,1]
	v_pk_fma_f32 v[4:5], v[36:37], v[80:81], v[4:5] op_sel_hi:[1,0,1]
	v_pk_fma_f32 v[2:3], v[58:59], v[30:31], v[2:3] op_sel_hi:[1,0,1]
	v_pk_fma_f32 v[4:5], v[60:61], v[30:31], v[4:5] op_sel_hi:[1,0,1]
	;; [unrolled: 10-line block ×3, first 2 shown]
	s_waitcnt vmcnt(2)
	v_pk_fma_f32 v[2:3], v[66:67], v[86:87], v[2:3] op_sel_hi:[1,0,1]
	v_pk_fma_f32 v[4:5], v[68:69], v[86:87], v[4:5] op_sel_hi:[1,0,1]
	v_pk_fma_f32 v[2:3], v[70:71], v[86:87], v[2:3] op_sel:[0,1,0]
	v_pk_fma_f32 v[4:5], v[72:73], v[86:87], v[4:5] op_sel:[0,1,0]
	v_mov_b32_e32 v98, v89
	s_waitcnt vmcnt(1)
	v_pk_fma_f32 v[2:3], v[90:91], v[88:89], v[2:3] op_sel_hi:[1,0,1]
	v_pk_fma_f32 v[4:5], v[92:93], v[88:89], v[4:5] op_sel_hi:[1,0,1]
	s_waitcnt vmcnt(0)
	v_pk_fma_f32 v[20:21], v[94:95], v[98:99], v[2:3] op_sel_hi:[1,0,1]
	v_pk_fma_f32 v[18:19], v[96:97], v[98:99], v[4:5] op_sel_hi:[1,0,1]
	s_andn2_b64 exec, exec, s[8:9]
	s_cbranch_execnz .LBB24_33
; %bb.34:
	s_or_b64 exec, exec, s[8:9]
.LBB24_35:
	s_or_b64 exec, exec, s[2:3]
.LBB24_36:
	s_or_b64 exec, exec, s[4:5]
.LBB24_37:
	v_mov_b32_dpp v0, v20 row_shr:1 row_mask:0xf bank_mask:0xf
	v_mov_b32_dpp v1, v21 row_shr:1 row_mask:0xf bank_mask:0xf
	;; [unrolled: 1-line block ×4, first 2 shown]
	v_pk_add_f32 v[0:1], v[20:21], v[0:1]
	v_pk_add_f32 v[4:5], v[18:19], v[4:5]
	v_cmp_eq_u32_e32 vcc, 63, v10
	v_mov_b32_dpp v2, v0 row_shr:2 row_mask:0xf bank_mask:0xf
	v_mov_b32_dpp v3, v1 row_shr:2 row_mask:0xf bank_mask:0xf
	v_mov_b32_dpp v6, v4 row_shr:2 row_mask:0xf bank_mask:0xf
	v_mov_b32_dpp v7, v5 row_shr:2 row_mask:0xf bank_mask:0xf
	v_pk_add_f32 v[0:1], v[0:1], v[2:3]
	v_pk_add_f32 v[4:5], v[4:5], v[6:7]
	s_nop 0
	v_mov_b32_dpp v2, v0 row_shr:4 row_mask:0xf bank_mask:0xe
	v_mov_b32_dpp v3, v1 row_shr:4 row_mask:0xf bank_mask:0xe
	v_mov_b32_dpp v6, v4 row_shr:4 row_mask:0xf bank_mask:0xe
	v_mov_b32_dpp v7, v5 row_shr:4 row_mask:0xf bank_mask:0xe
	v_pk_add_f32 v[0:1], v[0:1], v[2:3]
	v_pk_add_f32 v[4:5], v[4:5], v[6:7]
	s_nop 0
	;; [unrolled: 7-line block ×3, first 2 shown]
	v_mov_b32_dpp v2, v0 row_bcast:15 row_mask:0xa bank_mask:0xf
	v_mov_b32_dpp v3, v1 row_bcast:15 row_mask:0xa bank_mask:0xf
	;; [unrolled: 1-line block ×4, first 2 shown]
	v_pk_add_f32 v[0:1], v[0:1], v[2:3]
	v_pk_add_f32 v[4:5], v[4:5], v[6:7]
	s_nop 0
	v_mov_b32_dpp v2, v0 row_bcast:31 row_mask:0xc bank_mask:0xf
	v_mov_b32_dpp v3, v1 row_bcast:31 row_mask:0xc bank_mask:0xf
	;; [unrolled: 1-line block ×4, first 2 shown]
	s_and_b64 exec, exec, vcc
	s_cbranch_execz .LBB24_10
; %bb.38:
	s_load_dwordx2 s[0:1], s[0:1], 0x50
	v_cmp_eq_f32_e64 s[2:3], s14, 0
	v_pk_add_f32 v[2:3], v[0:1], v[2:3]
	v_pk_add_f32 v[0:1], v[4:5], v[6:7]
	s_and_b64 vcc, exec, s[2:3]
	v_lshlrev_b32_e32 v4, 2, v8
	s_cbranch_vccz .LBB24_40
; %bb.39:
	v_ashrrev_i32_e32 v5, 31, v4
	s_waitcnt lgkmcnt(0)
	v_lshl_add_u64 v[10:11], v[4:5], 2, s[0:1]
	v_pk_mul_f32 v[6:7], s[12:13], v[2:3] op_sel_hi:[0,1]
	v_pk_mul_f32 v[8:9], s[12:13], v[0:1] op_sel_hi:[0,1]
	global_store_dwordx4 v[10:11], v[6:9], off
	s_cbranch_execnz .LBB24_10
	s_branch .LBB24_41
.LBB24_40:
.LBB24_41:
	v_ashrrev_i32_e32 v5, 31, v4
	s_waitcnt lgkmcnt(0)
	v_lshl_add_u64 v[8:9], v[4:5], 2, s[0:1]
	global_load_dwordx4 v[4:7], v[8:9], off
	v_pk_mul_f32 v[2:3], s[12:13], v[2:3] op_sel_hi:[0,1]
	v_pk_mul_f32 v[10:11], s[12:13], v[0:1] op_sel_hi:[0,1]
	s_waitcnt vmcnt(0)
	v_pk_fma_f32 v[0:1], s[14:15], v[4:5], v[2:3] op_sel_hi:[0,1,1]
	v_pk_fma_f32 v[2:3], s[14:15], v[6:7], v[10:11] op_sel_hi:[0,1,1]
	global_store_dwordx4 v[8:9], v[0:3], off
	s_endpgm
	.section	.rodata,"a",@progbits
	.p2align	6, 0x0
	.amdhsa_kernel _ZN9rocsparseL18bsrxmvn_4x4_kernelILj128ELj64EflifffEEvT3_20rocsparse_direction_NS_24const_host_device_scalarIT1_EES1_PKS1_PKT2_SA_S7_PKT4_PKT5_S5_PT6_21rocsparse_index_base_b
		.amdhsa_group_segment_fixed_size 0
		.amdhsa_private_segment_fixed_size 0
		.amdhsa_kernarg_size 96
		.amdhsa_user_sgpr_count 2
		.amdhsa_user_sgpr_dispatch_ptr 0
		.amdhsa_user_sgpr_queue_ptr 0
		.amdhsa_user_sgpr_kernarg_segment_ptr 1
		.amdhsa_user_sgpr_dispatch_id 0
		.amdhsa_user_sgpr_kernarg_preload_length 0
		.amdhsa_user_sgpr_kernarg_preload_offset 0
		.amdhsa_user_sgpr_private_segment_size 0
		.amdhsa_uses_dynamic_stack 0
		.amdhsa_enable_private_segment 0
		.amdhsa_system_sgpr_workgroup_id_x 1
		.amdhsa_system_sgpr_workgroup_id_y 0
		.amdhsa_system_sgpr_workgroup_id_z 0
		.amdhsa_system_sgpr_workgroup_info 0
		.amdhsa_system_vgpr_workitem_id 0
		.amdhsa_next_free_vgpr 116
		.amdhsa_next_free_sgpr 36
		.amdhsa_accum_offset 116
		.amdhsa_reserve_vcc 1
		.amdhsa_float_round_mode_32 0
		.amdhsa_float_round_mode_16_64 0
		.amdhsa_float_denorm_mode_32 3
		.amdhsa_float_denorm_mode_16_64 3
		.amdhsa_dx10_clamp 1
		.amdhsa_ieee_mode 1
		.amdhsa_fp16_overflow 0
		.amdhsa_tg_split 0
		.amdhsa_exception_fp_ieee_invalid_op 0
		.amdhsa_exception_fp_denorm_src 0
		.amdhsa_exception_fp_ieee_div_zero 0
		.amdhsa_exception_fp_ieee_overflow 0
		.amdhsa_exception_fp_ieee_underflow 0
		.amdhsa_exception_fp_ieee_inexact 0
		.amdhsa_exception_int_div_zero 0
	.end_amdhsa_kernel
	.section	.text._ZN9rocsparseL18bsrxmvn_4x4_kernelILj128ELj64EflifffEEvT3_20rocsparse_direction_NS_24const_host_device_scalarIT1_EES1_PKS1_PKT2_SA_S7_PKT4_PKT5_S5_PT6_21rocsparse_index_base_b,"axG",@progbits,_ZN9rocsparseL18bsrxmvn_4x4_kernelILj128ELj64EflifffEEvT3_20rocsparse_direction_NS_24const_host_device_scalarIT1_EES1_PKS1_PKT2_SA_S7_PKT4_PKT5_S5_PT6_21rocsparse_index_base_b,comdat
.Lfunc_end24:
	.size	_ZN9rocsparseL18bsrxmvn_4x4_kernelILj128ELj64EflifffEEvT3_20rocsparse_direction_NS_24const_host_device_scalarIT1_EES1_PKS1_PKT2_SA_S7_PKT4_PKT5_S5_PT6_21rocsparse_index_base_b, .Lfunc_end24-_ZN9rocsparseL18bsrxmvn_4x4_kernelILj128ELj64EflifffEEvT3_20rocsparse_direction_NS_24const_host_device_scalarIT1_EES1_PKS1_PKT2_SA_S7_PKT4_PKT5_S5_PT6_21rocsparse_index_base_b
                                        ; -- End function
	.set _ZN9rocsparseL18bsrxmvn_4x4_kernelILj128ELj64EflifffEEvT3_20rocsparse_direction_NS_24const_host_device_scalarIT1_EES1_PKS1_PKT2_SA_S7_PKT4_PKT5_S5_PT6_21rocsparse_index_base_b.num_vgpr, 116
	.set _ZN9rocsparseL18bsrxmvn_4x4_kernelILj128ELj64EflifffEEvT3_20rocsparse_direction_NS_24const_host_device_scalarIT1_EES1_PKS1_PKT2_SA_S7_PKT4_PKT5_S5_PT6_21rocsparse_index_base_b.num_agpr, 0
	.set _ZN9rocsparseL18bsrxmvn_4x4_kernelILj128ELj64EflifffEEvT3_20rocsparse_direction_NS_24const_host_device_scalarIT1_EES1_PKS1_PKT2_SA_S7_PKT4_PKT5_S5_PT6_21rocsparse_index_base_b.numbered_sgpr, 36
	.set _ZN9rocsparseL18bsrxmvn_4x4_kernelILj128ELj64EflifffEEvT3_20rocsparse_direction_NS_24const_host_device_scalarIT1_EES1_PKS1_PKT2_SA_S7_PKT4_PKT5_S5_PT6_21rocsparse_index_base_b.num_named_barrier, 0
	.set _ZN9rocsparseL18bsrxmvn_4x4_kernelILj128ELj64EflifffEEvT3_20rocsparse_direction_NS_24const_host_device_scalarIT1_EES1_PKS1_PKT2_SA_S7_PKT4_PKT5_S5_PT6_21rocsparse_index_base_b.private_seg_size, 0
	.set _ZN9rocsparseL18bsrxmvn_4x4_kernelILj128ELj64EflifffEEvT3_20rocsparse_direction_NS_24const_host_device_scalarIT1_EES1_PKS1_PKT2_SA_S7_PKT4_PKT5_S5_PT6_21rocsparse_index_base_b.uses_vcc, 1
	.set _ZN9rocsparseL18bsrxmvn_4x4_kernelILj128ELj64EflifffEEvT3_20rocsparse_direction_NS_24const_host_device_scalarIT1_EES1_PKS1_PKT2_SA_S7_PKT4_PKT5_S5_PT6_21rocsparse_index_base_b.uses_flat_scratch, 0
	.set _ZN9rocsparseL18bsrxmvn_4x4_kernelILj128ELj64EflifffEEvT3_20rocsparse_direction_NS_24const_host_device_scalarIT1_EES1_PKS1_PKT2_SA_S7_PKT4_PKT5_S5_PT6_21rocsparse_index_base_b.has_dyn_sized_stack, 0
	.set _ZN9rocsparseL18bsrxmvn_4x4_kernelILj128ELj64EflifffEEvT3_20rocsparse_direction_NS_24const_host_device_scalarIT1_EES1_PKS1_PKT2_SA_S7_PKT4_PKT5_S5_PT6_21rocsparse_index_base_b.has_recursion, 0
	.set _ZN9rocsparseL18bsrxmvn_4x4_kernelILj128ELj64EflifffEEvT3_20rocsparse_direction_NS_24const_host_device_scalarIT1_EES1_PKS1_PKT2_SA_S7_PKT4_PKT5_S5_PT6_21rocsparse_index_base_b.has_indirect_call, 0
	.section	.AMDGPU.csdata,"",@progbits
; Kernel info:
; codeLenInByte = 3620
; TotalNumSgprs: 42
; NumVgprs: 116
; NumAgprs: 0
; TotalNumVgprs: 116
; ScratchSize: 0
; MemoryBound: 1
; FloatMode: 240
; IeeeMode: 1
; LDSByteSize: 0 bytes/workgroup (compile time only)
; SGPRBlocks: 5
; VGPRBlocks: 14
; NumSGPRsForWavesPerEU: 42
; NumVGPRsForWavesPerEU: 116
; AccumOffset: 116
; Occupancy: 4
; WaveLimiterHint : 1
; COMPUTE_PGM_RSRC2:SCRATCH_EN: 0
; COMPUTE_PGM_RSRC2:USER_SGPR: 2
; COMPUTE_PGM_RSRC2:TRAP_HANDLER: 0
; COMPUTE_PGM_RSRC2:TGID_X_EN: 1
; COMPUTE_PGM_RSRC2:TGID_Y_EN: 0
; COMPUTE_PGM_RSRC2:TGID_Z_EN: 0
; COMPUTE_PGM_RSRC2:TIDIG_COMP_CNT: 0
; COMPUTE_PGM_RSRC3_GFX90A:ACCUM_OFFSET: 28
; COMPUTE_PGM_RSRC3_GFX90A:TG_SPLIT: 0
	.section	.text._ZN9rocsparseL18bsrxmvn_4x4_kernelILj128ELj4EdlidddEEvT3_20rocsparse_direction_NS_24const_host_device_scalarIT1_EES1_PKS1_PKT2_SA_S7_PKT4_PKT5_S5_PT6_21rocsparse_index_base_b,"axG",@progbits,_ZN9rocsparseL18bsrxmvn_4x4_kernelILj128ELj4EdlidddEEvT3_20rocsparse_direction_NS_24const_host_device_scalarIT1_EES1_PKS1_PKT2_SA_S7_PKT4_PKT5_S5_PT6_21rocsparse_index_base_b,comdat
	.globl	_ZN9rocsparseL18bsrxmvn_4x4_kernelILj128ELj4EdlidddEEvT3_20rocsparse_direction_NS_24const_host_device_scalarIT1_EES1_PKS1_PKT2_SA_S7_PKT4_PKT5_S5_PT6_21rocsparse_index_base_b ; -- Begin function _ZN9rocsparseL18bsrxmvn_4x4_kernelILj128ELj4EdlidddEEvT3_20rocsparse_direction_NS_24const_host_device_scalarIT1_EES1_PKS1_PKT2_SA_S7_PKT4_PKT5_S5_PT6_21rocsparse_index_base_b
	.p2align	8
	.type	_ZN9rocsparseL18bsrxmvn_4x4_kernelILj128ELj4EdlidddEEvT3_20rocsparse_direction_NS_24const_host_device_scalarIT1_EES1_PKS1_PKT2_SA_S7_PKT4_PKT5_S5_PT6_21rocsparse_index_base_b,@function
_ZN9rocsparseL18bsrxmvn_4x4_kernelILj128ELj4EdlidddEEvT3_20rocsparse_direction_NS_24const_host_device_scalarIT1_EES1_PKS1_PKT2_SA_S7_PKT4_PKT5_S5_PT6_21rocsparse_index_base_b: ; @_ZN9rocsparseL18bsrxmvn_4x4_kernelILj128ELj4EdlidddEEvT3_20rocsparse_direction_NS_24const_host_device_scalarIT1_EES1_PKS1_PKT2_SA_S7_PKT4_PKT5_S5_PT6_21rocsparse_index_base_b
; %bb.0:
	s_load_dwordx2 s[12:13], s[0:1], 0x58
	s_load_dwordx2 s[8:9], s[0:1], 0x8
	;; [unrolled: 1-line block ×3, first 2 shown]
	s_waitcnt lgkmcnt(0)
	s_bitcmp1_b32 s13, 0
	s_cselect_b64 s[10:11], -1, 0
	s_xor_b64 s[6:7], s[10:11], -1
	s_and_b64 vcc, exec, s[10:11]
	v_mov_b64_e32 v[46:47], s[8:9]
	s_cbranch_vccnz .LBB25_2
; %bb.1:
	v_mov_b64_e32 v[2:3], s[8:9]
	flat_load_dwordx2 v[46:47], v[2:3]
.LBB25_2:
	s_andn2_b64 vcc, exec, s[6:7]
	v_mov_b64_e32 v[44:45], s[4:5]
	s_cbranch_vccnz .LBB25_4
; %bb.3:
	v_mov_b64_e32 v[2:3], s[4:5]
	flat_load_dwordx2 v[44:45], v[2:3]
.LBB25_4:
	s_waitcnt vmcnt(0) lgkmcnt(0)
	v_cmp_neq_f64_e32 vcc, 0, v[46:47]
	v_cmp_neq_f64_e64 s[4:5], 1.0, v[44:45]
	s_mov_b64 s[6:7], 0
	s_or_b64 s[4:5], vcc, s[4:5]
	s_and_saveexec_b64 s[8:9], s[4:5]
	s_cbranch_execz .LBB25_10
; %bb.5:
	s_load_dwordx2 s[4:5], s[0:1], 0x18
	s_load_dwordx2 s[14:15], s[0:1], 0x0
	v_lshrrev_b32_e32 v1, 2, v0
	v_lshl_or_b32 v48, s2, 5, v1
	s_mov_b64 s[2:3], 0
	s_waitcnt lgkmcnt(0)
	s_cmp_lg_u64 s[4:5], 0
	s_cbranch_scc0 .LBB25_11
; %bb.6:
	s_load_dword s6, s[0:1], 0x10
                                        ; implicit-def: $vgpr1
	s_waitcnt lgkmcnt(0)
	v_cmp_gt_i32_e32 vcc, s6, v48
	s_and_saveexec_b64 s[6:7], vcc
	s_xor_b64 s[6:7], exec, s[6:7]
	s_cbranch_execz .LBB25_8
; %bb.7:
	v_ashrrev_i32_e32 v49, 31, v48
	v_lshl_add_u64 v[2:3], v[48:49], 2, s[4:5]
	global_load_dword v1, v[2:3], off
	s_mov_b64 s[2:3], exec
	s_waitcnt vmcnt(0)
	v_subrev_u32_e32 v1, s12, v1
.LBB25_8:
	s_or_b64 exec, exec, s[6:7]
	s_mov_b64 s[6:7], s[2:3]
	s_branch .LBB25_12
.LBB25_9:
	v_cmp_gt_i32_e32 vcc, s14, v48
	s_andn2_b64 s[2:3], s[6:7], exec
	s_and_b64 s[4:5], vcc, exec
	s_or_b64 s[6:7], s[2:3], s[4:5]
	s_and_b64 exec, exec, s[6:7]
	s_cbranch_execnz .LBB25_13
.LBB25_10:
	s_endpgm
.LBB25_11:
                                        ; implicit-def: $vgpr1
	s_cbranch_execnz .LBB25_9
.LBB25_12:
	v_mov_b32_e32 v48, v1
	s_and_b64 exec, exec, s[6:7]
	s_cbranch_execz .LBB25_10
.LBB25_13:
	s_load_dwordx8 s[4:11], s[0:1], 0x20
	v_ashrrev_i32_e32 v49, 31, v48
	v_lshlrev_b64 v[2:3], 3, v[48:49]
	v_and_b32_e32 v50, 3, v0
	v_mov_b32_e32 v51, 0
	s_waitcnt lgkmcnt(0)
	v_lshl_add_u64 v[4:5], s[4:5], 0, v[2:3]
	s_cmp_eq_u64 s[6:7], 0
	v_lshl_add_u64 v[2:3], s[6:7], 0, v[2:3]
	global_load_dwordx2 v[66:67], v[4:5], off
	v_lshl_add_u64 v[4:5], v[4:5], 0, 8
	s_cselect_b64 vcc, -1, 0
	v_cndmask_b32_e32 v3, v3, v5, vcc
	v_cndmask_b32_e32 v2, v2, v4, vcc
	global_load_dwordx2 v[2:3], v[2:3], off
	s_load_dwordx2 s[4:5], s[0:1], 0x40
	s_cmp_eq_u32 s15, 1
	s_waitcnt vmcnt(1)
	v_subrev_co_u32_e32 v0, vcc, s12, v66
	s_nop 1
	v_subbrev_co_u32_e32 v1, vcc, 0, v67, vcc
	v_lshl_add_u64 v[52:53], v[0:1], 0, v[50:51]
	s_waitcnt vmcnt(0)
	v_subrev_co_u32_e32 v54, vcc, s12, v2
	v_lshlrev_b64 v[0:1], 7, v[52:53]
	s_nop 0
	v_subbrev_co_u32_e32 v55, vcc, 0, v3, vcc
	v_lshl_add_u64 v[56:57], s[10:11], 0, v[0:1]
	v_cmp_lt_i64_e64 s[2:3], v[52:53], v[54:55]
	s_cbranch_scc1 .LBB25_25
; %bb.14:
	v_mov_b64_e32 v[58:59], 0
	v_mov_b64_e32 v[60:61], 0
	v_mov_b64_e32 v[62:63], 0
	v_mov_b64_e32 v[64:65], 0
	s_and_saveexec_b64 s[6:7], s[2:3]
	s_cbranch_execz .LBB25_24
; %bb.15:
	v_or_b32_e32 v0, 4, v50
	v_subrev_co_u32_e32 v0, vcc, s12, v0
	v_not_b32_e32 v3, v67
	s_nop 0
	v_subb_co_u32_e64 v1, s[10:11], 0, 0, vcc
	v_lshl_add_u64 v[0:1], v[0:1], 0, v[66:67]
	v_cmp_gt_i64_e32 vcc, v[0:1], v[54:55]
	v_not_b32_e32 v2, v66
	v_mov_b64_e32 v[64:65], 0
	v_cndmask_b32_e32 v1, v55, v1, vcc
	v_cndmask_b32_e32 v0, v54, v0, vcc
	v_sub_co_u32_e32 v4, vcc, s12, v50
	v_mov_b64_e32 v[62:63], 0
	s_nop 0
	v_subb_co_u32_e64 v5, s[10:11], 0, 0, vcc
	v_lshl_add_u64 v[2:3], v[4:5], 0, v[2:3]
	v_lshl_add_u64 v[0:1], v[2:3], 0, v[0:1]
	v_and_b32_e32 v2, 12, v0
	v_mov_b32_e32 v3, 0
	v_cmp_ne_u64_e32 vcc, 12, v[2:3]
	v_mov_b64_e32 v[60:61], 0
	v_mov_b64_e32 v[58:59], 0
	v_mov_b64_e32 v[68:69], v[52:53]
	v_mov_b64_e32 v[70:71], v[56:57]
	s_and_saveexec_b64 s[10:11], vcc
	s_cbranch_execz .LBB25_19
; %bb.16:
	v_lshrrev_b32_e32 v2, 2, v0
	v_add_u32_e32 v2, 1, v2
	v_and_b32_e32 v4, 3, v2
	v_sub_co_u32_e32 v4, vcc, 0, v4
	v_lshl_add_u64 v[2:3], v[52:53], 2, s[8:9]
	s_nop 0
	v_subb_co_u32_e64 v5, s[16:17], 0, 0, vcc
	s_mov_b64 s[14:15], 0
	v_mov_b64_e32 v[58:59], 0
	s_mov_b64 s[16:17], 0x200
	v_mov_b64_e32 v[70:71], v[56:57]
	v_mov_b64_e32 v[68:69], v[52:53]
	;; [unrolled: 1-line block ×5, first 2 shown]
.LBB25_17:                              ; =>This Inner Loop Header: Depth=1
	global_load_dword v38, v[2:3], off
	global_load_dwordx4 v[6:9], v[70:71], off offset:48
	global_load_dwordx4 v[10:13], v[70:71], off offset:32
	;; [unrolled: 1-line block ×3, first 2 shown]
	global_load_dwordx4 v[18:21], v[70:71], off
	global_load_dwordx4 v[22:25], v[70:71], off offset:112
	global_load_dwordx4 v[26:29], v[70:71], off offset:96
	;; [unrolled: 1-line block ×4, first 2 shown]
	v_lshl_add_u64 v[4:5], v[4:5], 0, 1
	v_cmp_eq_u64_e32 vcc, 0, v[4:5]
	v_lshl_add_u64 v[70:71], v[70:71], 0, s[16:17]
	v_lshl_add_u64 v[68:69], v[68:69], 0, 4
	;; [unrolled: 1-line block ×3, first 2 shown]
	s_or_b64 s[14:15], vcc, s[14:15]
	s_waitcnt vmcnt(8)
	v_subrev_u32_e32 v38, s12, v38
	v_lshlrev_b32_e32 v38, 2, v38
	v_ashrrev_i32_e32 v39, 31, v38
	s_waitcnt lgkmcnt(0)
	v_lshl_add_u64 v[42:43], v[38:39], 3, s[4:5]
	global_load_dwordx4 v[38:41], v[42:43], off
	global_load_dwordx4 v[72:75], v[42:43], off offset:16
	s_waitcnt vmcnt(1)
	v_fmac_f64_e32 v[64:65], v[18:19], v[38:39]
	v_fmac_f64_e32 v[62:63], v[10:11], v[38:39]
	;; [unrolled: 1-line block ×8, first 2 shown]
	s_waitcnt vmcnt(0)
	v_fmac_f64_e32 v[64:65], v[14:15], v[72:73]
	v_fmac_f64_e32 v[62:63], v[6:7], v[72:73]
	v_fmac_f64_e32 v[60:61], v[30:31], v[72:73]
	v_fmac_f64_e32 v[58:59], v[22:23], v[72:73]
	v_fmac_f64_e32 v[64:65], v[16:17], v[74:75]
	v_fmac_f64_e32 v[62:63], v[8:9], v[74:75]
	v_fmac_f64_e32 v[60:61], v[32:33], v[74:75]
	v_fmac_f64_e32 v[58:59], v[24:25], v[74:75]
	s_andn2_b64 exec, exec, s[14:15]
	s_cbranch_execnz .LBB25_17
; %bb.18:
	s_or_b64 exec, exec, s[14:15]
.LBB25_19:
	s_or_b64 exec, exec, s[10:11]
	v_cmp_lt_u64_e32 vcc, 11, v[0:1]
	s_and_saveexec_b64 s[10:11], vcc
	s_cbranch_execz .LBB25_23
; %bb.20:
	v_lshl_add_u64 v[0:1], v[68:69], 2, s[8:9]
	v_lshl_add_u64 v[72:73], v[0:1], 0, 32
	s_mov_b64 s[14:15], 0
	s_mov_b64 s[16:17], 0x800
.LBB25_21:                              ; =>This Inner Loop Header: Depth=1
	global_load_dword v49, v[72:73], off offset:-32
	global_load_dwordx4 v[4:7], v[70:71], off offset:48
	global_load_dwordx4 v[20:23], v[70:71], off offset:32
	;; [unrolled: 1-line block ×3, first 2 shown]
	global_load_dwordx4 v[28:31], v[70:71], off
	global_load_dwordx4 v[32:35], v[70:71], off offset:112
	global_load_dwordx4 v[74:77], v[70:71], off offset:96
	;; [unrolled: 1-line block ×11, first 2 shown]
	v_lshl_add_u64 v[68:69], v[68:69], 0, 16
	v_cmp_ge_i64_e32 vcc, v[68:69], v[54:55]
	s_or_b64 s[14:15], vcc, s[14:15]
	s_waitcnt vmcnt(15)
	v_subrev_u32_e32 v49, s12, v49
	v_lshlrev_b32_e32 v90, 2, v49
	v_ashrrev_i32_e32 v91, 31, v90
	s_waitcnt lgkmcnt(0)
	v_lshl_add_u64 v[98:99], v[90:91], 3, s[4:5]
	global_load_dwordx4 v[90:93], v[98:99], off
	global_load_dwordx4 v[94:97], v[70:71], off offset:576
	global_load_dword v49, v[72:73], off offset:-16
	global_load_dword v51, v[72:73], off
	global_load_dword v100, v[72:73], off offset:16
	v_lshl_add_u64 v[72:73], v[72:73], 0, 64
	s_waitcnt vmcnt(4)
	v_fmac_f64_e32 v[64:65], v[28:29], v[90:91]
	v_fmac_f64_e32 v[62:63], v[20:21], v[90:91]
	;; [unrolled: 1-line block ×6, first 2 shown]
	global_load_dwordx4 v[20:23], v[70:71], off offset:1072
	v_fmac_f64_e32 v[60:61], v[80:81], v[92:93]
	global_load_dwordx4 v[78:81], v[70:71], off offset:1056
	v_fmac_f64_e32 v[58:59], v[76:77], v[92:93]
	global_load_dwordx4 v[28:31], v[70:71], off offset:1040
	global_load_dwordx4 v[74:77], v[98:99], off offset:16
	;; [unrolled: 1-line block ×3, first 2 shown]
	s_waitcnt vmcnt(1)
	v_fmac_f64_e32 v[58:59], v[32:33], v[74:75]
	v_subrev_u32_e32 v32, s12, v49
	v_lshlrev_b32_e32 v32, 2, v32
	v_ashrrev_i32_e32 v33, 31, v32
	v_lshl_add_u64 v[98:99], v[32:33], 3, s[4:5]
	v_fmac_f64_e32 v[58:59], v[34:35], v[76:77]
	global_load_dwordx4 v[32:35], v[98:99], off
	v_fmac_f64_e32 v[64:65], v[12:13], v[74:75]
	v_fmac_f64_e32 v[62:63], v[4:5], v[74:75]
	;; [unrolled: 1-line block ×6, first 2 shown]
	global_load_dwordx4 v[4:7], v[70:71], off offset:1136
	global_load_dwordx4 v[36:39], v[70:71], off offset:1120
	;; [unrolled: 1-line block ×4, first 2 shown]
	v_subrev_u32_e32 v49, s12, v51
	s_waitcnt vmcnt(4)
	v_fmac_f64_e32 v[64:65], v[82:83], v[32:33]
	v_fmac_f64_e32 v[62:63], v[40:41], v[32:33]
	;; [unrolled: 1-line block ×6, first 2 shown]
	global_load_dwordx4 v[40:43], v[70:71], off offset:1584
	v_fmac_f64_e32 v[60:61], v[96:97], v[34:35]
	global_load_dwordx4 v[82:85], v[70:71], off offset:1568
	v_fmac_f64_e32 v[58:59], v[88:89], v[34:35]
	global_load_dwordx4 v[32:35], v[70:71], off offset:1552
	global_load_dwordx4 v[86:89], v[98:99], off offset:16
	s_waitcnt vmcnt(0)
	v_fmac_f64_e32 v[64:65], v[24:25], v[86:87]
	v_fmac_f64_e32 v[62:63], v[0:1], v[86:87]
	;; [unrolled: 1-line block ×4, first 2 shown]
	v_lshlrev_b32_e32 v86, 2, v49
	v_ashrrev_i32_e32 v87, 31, v86
	v_lshl_add_u64 v[94:95], v[86:87], 3, s[4:5]
	v_fmac_f64_e32 v[64:65], v[26:27], v[88:89]
	v_fmac_f64_e32 v[62:63], v[2:3], v[88:89]
	;; [unrolled: 1-line block ×4, first 2 shown]
	global_load_dwordx4 v[86:89], v[94:95], off
	v_subrev_u32_e32 v49, s12, v100
	v_lshlrev_b32_e32 v96, 2, v49
	v_ashrrev_i32_e32 v97, 31, v96
	global_load_dwordx4 v[24:27], v[70:71], off offset:1536
	global_load_dwordx4 v[16:19], v[70:71], off offset:1632
	;; [unrolled: 1-line block ×3, first 2 shown]
	v_lshl_add_u64 v[98:99], v[96:97], 3, s[4:5]
	global_load_dwordx4 v[0:3], v[70:71], off offset:1648
	s_waitcnt vmcnt(4)
	v_fmac_f64_e32 v[62:63], v[78:79], v[86:87]
	v_fmac_f64_e32 v[62:63], v[80:81], v[88:89]
	global_load_dwordx4 v[78:81], v[94:95], off offset:16
	v_fmac_f64_e32 v[64:65], v[90:91], v[86:87]
	v_fmac_f64_e32 v[64:65], v[92:93], v[88:89]
	global_load_dwordx4 v[90:93], v[70:71], off offset:1600
	v_fmac_f64_e32 v[60:61], v[74:75], v[86:87]
	v_fmac_f64_e32 v[60:61], v[76:77], v[88:89]
	global_load_dwordx4 v[74:77], v[98:99], off
	global_load_dwordx4 v[94:97], v[98:99], off offset:16
	v_fmac_f64_e32 v[58:59], v[36:37], v[86:87]
	v_fmac_f64_e32 v[58:59], v[38:39], v[88:89]
	v_lshl_add_u64 v[70:71], v[70:71], 0, s[16:17]
	s_waitcnt vmcnt(3)
	v_fmac_f64_e32 v[64:65], v[28:29], v[78:79]
	v_fmac_f64_e32 v[62:63], v[20:21], v[78:79]
	v_fmac_f64_e32 v[60:61], v[12:13], v[78:79]
	v_fmac_f64_e32 v[58:59], v[4:5], v[78:79]
	v_fmac_f64_e32 v[64:65], v[30:31], v[80:81]
	v_fmac_f64_e32 v[62:63], v[22:23], v[80:81]
	v_fmac_f64_e32 v[60:61], v[14:15], v[80:81]
	v_fmac_f64_e32 v[58:59], v[6:7], v[80:81]
	s_waitcnt vmcnt(1)
	v_fmac_f64_e32 v[64:65], v[24:25], v[74:75]
	v_fmac_f64_e32 v[62:63], v[82:83], v[74:75]
	v_fmac_f64_e32 v[60:61], v[90:91], v[74:75]
	v_fmac_f64_e32 v[58:59], v[16:17], v[74:75]
	v_fmac_f64_e32 v[64:65], v[26:27], v[76:77]
	v_fmac_f64_e32 v[62:63], v[84:85], v[76:77]
	v_fmac_f64_e32 v[60:61], v[92:93], v[76:77]
	v_fmac_f64_e32 v[58:59], v[18:19], v[76:77]
	;; [unrolled: 9-line block ×3, first 2 shown]
	s_andn2_b64 exec, exec, s[14:15]
	s_cbranch_execnz .LBB25_21
; %bb.22:
	s_or_b64 exec, exec, s[14:15]
.LBB25_23:
	s_or_b64 exec, exec, s[10:11]
.LBB25_24:
	s_or_b64 exec, exec, s[6:7]
	s_cbranch_execz .LBB25_26
	s_branch .LBB25_37
.LBB25_25:
                                        ; implicit-def: $vgpr58_vgpr59
                                        ; implicit-def: $vgpr60_vgpr61
                                        ; implicit-def: $vgpr62_vgpr63
                                        ; implicit-def: $vgpr64_vgpr65
.LBB25_26:
	v_mov_b64_e32 v[58:59], 0
	v_mov_b64_e32 v[60:61], 0
	;; [unrolled: 1-line block ×4, first 2 shown]
	s_and_saveexec_b64 s[6:7], s[2:3]
	s_cbranch_execz .LBB25_36
; %bb.27:
	v_or_b32_e32 v0, 4, v50
	v_subrev_co_u32_e32 v0, vcc, s12, v0
	v_not_b32_e32 v3, v67
	s_nop 0
	v_subb_co_u32_e64 v1, s[2:3], 0, 0, vcc
	v_lshl_add_u64 v[0:1], v[0:1], 0, v[66:67]
	v_cmp_gt_i64_e32 vcc, v[0:1], v[54:55]
	v_not_b32_e32 v2, v66
	v_mov_b64_e32 v[64:65], 0
	v_cndmask_b32_e32 v1, v55, v1, vcc
	v_cndmask_b32_e32 v0, v54, v0, vcc
	v_sub_co_u32_e32 v4, vcc, s12, v50
	v_mov_b64_e32 v[62:63], 0
	s_nop 0
	v_subb_co_u32_e64 v5, s[2:3], 0, 0, vcc
	v_lshl_add_u64 v[2:3], v[4:5], 0, v[2:3]
	v_lshl_add_u64 v[0:1], v[2:3], 0, v[0:1]
	v_and_b32_e32 v2, 12, v0
	v_mov_b32_e32 v3, 0
	v_cmp_ne_u64_e32 vcc, 12, v[2:3]
	v_mov_b64_e32 v[60:61], 0
	v_mov_b64_e32 v[58:59], 0
	s_and_saveexec_b64 s[2:3], vcc
	s_cbranch_execz .LBB25_31
; %bb.28:
	v_lshrrev_b32_e32 v2, 2, v0
	v_add_u32_e32 v2, 1, v2
	v_and_b32_e32 v4, 3, v2
	v_sub_co_u32_e32 v4, vcc, 0, v4
	v_lshl_add_u64 v[2:3], v[52:53], 2, s[8:9]
	s_nop 0
	v_subb_co_u32_e64 v5, s[14:15], 0, 0, vcc
	s_mov_b64 s[10:11], 0
	v_mov_b64_e32 v[58:59], 0
	s_mov_b64 s[14:15], 0x200
	v_mov_b64_e32 v[60:61], 0
	v_mov_b64_e32 v[62:63], 0
	;; [unrolled: 1-line block ×3, first 2 shown]
.LBB25_29:                              ; =>This Inner Loop Header: Depth=1
	global_load_dword v30, v[2:3], off
	global_load_dwordx4 v[6:9], v[56:57], off offset:48
	global_load_dwordx4 v[10:13], v[56:57], off offset:32
	global_load_dwordx4 v[14:17], v[56:57], off offset:16
	global_load_dwordx4 v[18:21], v[56:57], off
	global_load_dwordx4 v[22:25], v[56:57], off offset:80
	global_load_dwordx4 v[26:29], v[56:57], off offset:64
	v_lshl_add_u64 v[4:5], v[4:5], 0, 1
	v_cmp_eq_u64_e32 vcc, 0, v[4:5]
	v_lshl_add_u64 v[52:53], v[52:53], 0, 4
	v_lshl_add_u64 v[2:3], v[2:3], 0, 16
	s_or_b64 s[10:11], vcc, s[10:11]
	s_waitcnt vmcnt(6)
	v_subrev_u32_e32 v30, s12, v30
	v_lshlrev_b32_e32 v30, 2, v30
	v_ashrrev_i32_e32 v31, 31, v30
	s_waitcnt lgkmcnt(0)
	v_lshl_add_u64 v[42:43], v[30:31], 3, s[4:5]
	global_load_dwordx4 v[30:33], v[42:43], off
	global_load_dwordx4 v[34:37], v[42:43], off offset:16
	global_load_dwordx4 v[38:41], v[56:57], off offset:96
	;; [unrolled: 1-line block ×3, first 2 shown]
	v_lshl_add_u64 v[56:57], v[56:57], 0, s[14:15]
	s_waitcnt vmcnt(3)
	v_fmac_f64_e32 v[64:65], v[18:19], v[30:31]
	v_fmac_f64_e32 v[62:63], v[20:21], v[30:31]
	;; [unrolled: 1-line block ×8, first 2 shown]
	s_waitcnt vmcnt(2)
	v_fmac_f64_e32 v[64:65], v[26:27], v[34:35]
	v_fmac_f64_e32 v[62:63], v[28:29], v[34:35]
	;; [unrolled: 1-line block ×4, first 2 shown]
	s_waitcnt vmcnt(1)
	v_fmac_f64_e32 v[64:65], v[38:39], v[36:37]
	v_fmac_f64_e32 v[62:63], v[40:41], v[36:37]
	s_waitcnt vmcnt(0)
	v_fmac_f64_e32 v[60:61], v[66:67], v[36:37]
	v_fmac_f64_e32 v[58:59], v[68:69], v[36:37]
	s_andn2_b64 exec, exec, s[10:11]
	s_cbranch_execnz .LBB25_29
; %bb.30:
	s_or_b64 exec, exec, s[10:11]
.LBB25_31:
	s_or_b64 exec, exec, s[2:3]
	v_cmp_lt_u64_e32 vcc, 11, v[0:1]
	s_and_saveexec_b64 s[2:3], vcc
	s_cbranch_execz .LBB25_35
; %bb.32:
	v_lshl_add_u64 v[0:1], v[52:53], 2, s[8:9]
	v_lshl_add_u64 v[28:29], v[0:1], 0, 32
	s_mov_b64 s[8:9], 0
	s_mov_b64 s[10:11], 0x800
.LBB25_33:                              ; =>This Inner Loop Header: Depth=1
	global_load_dword v42, v[28:29], off offset:-32
	global_load_dwordx4 v[0:3], v[56:57], off offset:48
	global_load_dwordx4 v[4:7], v[56:57], off offset:32
	global_load_dwordx4 v[8:11], v[56:57], off offset:16
	global_load_dwordx4 v[12:15], v[56:57], off
	global_load_dwordx4 v[16:19], v[56:57], off offset:112
	global_load_dwordx4 v[20:23], v[56:57], off offset:96
	;; [unrolled: 1-line block ×8, first 2 shown]
	global_load_dword v49, v[28:29], off offset:-16
	global_load_dword v51, v[28:29], off
	global_load_dword v82, v[28:29], off offset:16
	v_lshl_add_u64 v[52:53], v[52:53], 0, 16
	v_cmp_ge_i64_e32 vcc, v[52:53], v[54:55]
	v_lshl_add_u64 v[28:29], v[28:29], 0, 64
	s_or_b64 s[8:9], vcc, s[8:9]
	s_waitcnt vmcnt(15)
	v_subrev_u32_e32 v42, s12, v42
	v_lshlrev_b32_e32 v42, 2, v42
	v_ashrrev_i32_e32 v43, 31, v42
	s_waitcnt lgkmcnt(0)
	v_lshl_add_u64 v[42:43], v[42:43], 3, s[4:5]
	global_load_dwordx4 v[74:77], v[42:43], off
	s_waitcnt vmcnt(0)
	v_fmac_f64_e32 v[64:65], v[12:13], v[74:75]
	v_fmac_f64_e32 v[62:63], v[14:15], v[74:75]
	;; [unrolled: 1-line block ×4, first 2 shown]
	global_load_dwordx4 v[12:15], v[56:57], off offset:624
	global_load_dwordx4 v[8:11], v[56:57], off offset:608
	v_fmac_f64_e32 v[64:65], v[4:5], v[76:77]
	v_fmac_f64_e32 v[62:63], v[6:7], v[76:77]
	global_load_dwordx4 v[4:7], v[56:57], off offset:592
	v_fmac_f64_e32 v[60:61], v[0:1], v[76:77]
	v_fmac_f64_e32 v[58:59], v[2:3], v[76:77]
	global_load_dwordx4 v[74:77], v[56:57], off offset:576
	global_load_dwordx4 v[78:81], v[56:57], off offset:1072
	;; [unrolled: 1-line block ×3, first 2 shown]
	s_waitcnt vmcnt(0)
	v_fmac_f64_e32 v[60:61], v[30:31], v[0:1]
	v_fmac_f64_e32 v[60:61], v[16:17], v[2:3]
	v_subrev_u32_e32 v16, s12, v49
	v_lshlrev_b32_e32 v16, 2, v16
	v_ashrrev_i32_e32 v17, 31, v16
	v_fmac_f64_e32 v[58:59], v[32:33], v[0:1]
	v_lshl_add_u64 v[42:43], v[16:17], 3, s[4:5]
	v_fmac_f64_e32 v[58:59], v[18:19], v[2:3]
	global_load_dwordx4 v[16:19], v[42:43], off
	v_fmac_f64_e32 v[64:65], v[34:35], v[0:1]
	v_fmac_f64_e32 v[62:63], v[36:37], v[0:1]
	;; [unrolled: 1-line block ×4, first 2 shown]
	global_load_dwordx4 v[34:37], v[56:57], off offset:1056
	global_load_dwordx4 v[30:33], v[56:57], off offset:1040
	;; [unrolled: 1-line block ×4, first 2 shown]
	v_subrev_u32_e32 v49, s12, v82
	v_lshlrev_b32_e32 v82, 2, v49
	v_ashrrev_i32_e32 v83, 31, v82
	v_lshl_add_u64 v[86:87], v[82:83], 3, s[4:5]
	s_waitcnt vmcnt(4)
	v_fmac_f64_e32 v[64:65], v[70:71], v[16:17]
	v_fmac_f64_e32 v[62:63], v[72:73], v[16:17]
	;; [unrolled: 1-line block ×4, first 2 shown]
	global_load_dwordx4 v[70:73], v[56:57], off offset:1120
	global_load_dwordx4 v[66:69], v[56:57], off offset:1104
	v_fmac_f64_e32 v[64:65], v[38:39], v[18:19]
	v_fmac_f64_e32 v[62:63], v[40:41], v[18:19]
	global_load_dwordx4 v[38:41], v[56:57], off offset:1088
	v_fmac_f64_e32 v[60:61], v[24:25], v[18:19]
	v_fmac_f64_e32 v[58:59], v[26:27], v[18:19]
	global_load_dwordx4 v[16:19], v[56:57], off offset:1584
	global_load_dwordx4 v[24:27], v[42:43], off offset:16
	s_waitcnt vmcnt(0)
	v_fmac_f64_e32 v[64:65], v[74:75], v[24:25]
	v_fmac_f64_e32 v[62:63], v[76:77], v[24:25]
	v_fmac_f64_e32 v[60:61], v[4:5], v[24:25]
	v_fmac_f64_e32 v[58:59], v[6:7], v[24:25]
	v_subrev_u32_e32 v24, s12, v51
	v_lshlrev_b32_e32 v24, 2, v24
	v_ashrrev_i32_e32 v25, 31, v24
	v_lshl_add_u64 v[42:43], v[24:25], 3, s[4:5]
	v_fmac_f64_e32 v[64:65], v[8:9], v[26:27]
	v_fmac_f64_e32 v[62:63], v[10:11], v[26:27]
	v_fmac_f64_e32 v[60:61], v[12:13], v[26:27]
	v_fmac_f64_e32 v[58:59], v[14:15], v[26:27]
	global_load_dwordx4 v[24:27], v[42:43], off
	global_load_dwordx4 v[4:7], v[56:57], off offset:1552
	global_load_dwordx4 v[8:11], v[56:57], off offset:1536
	;; [unrolled: 1-line block ×4, first 2 shown]
	s_waitcnt vmcnt(4)
	v_fmac_f64_e32 v[60:61], v[30:31], v[24:25]
	v_fmac_f64_e32 v[58:59], v[32:33], v[24:25]
	global_load_dwordx4 v[30:33], v[42:43], off offset:16
	v_fmac_f64_e32 v[64:65], v[20:21], v[24:25]
	v_fmac_f64_e32 v[62:63], v[22:23], v[24:25]
	global_load_dwordx4 v[20:23], v[56:57], off offset:1600
	v_fmac_f64_e32 v[64:65], v[34:35], v[26:27]
	v_fmac_f64_e32 v[62:63], v[36:37], v[26:27]
	global_load_dwordx4 v[34:37], v[86:87], off
	global_load_dwordx4 v[82:85], v[86:87], off offset:16
	v_fmac_f64_e32 v[60:61], v[78:79], v[26:27]
	v_fmac_f64_e32 v[58:59], v[80:81], v[26:27]
	global_load_dwordx4 v[24:27], v[56:57], off offset:1632
	global_load_dwordx4 v[78:81], v[56:57], off offset:1648
	v_lshl_add_u64 v[56:57], v[56:57], 0, s[10:11]
	s_waitcnt vmcnt(5)
	v_fmac_f64_e32 v[64:65], v[38:39], v[30:31]
	v_fmac_f64_e32 v[62:63], v[40:41], v[30:31]
	;; [unrolled: 1-line block ×8, first 2 shown]
	s_waitcnt vmcnt(3)
	v_fmac_f64_e32 v[64:65], v[8:9], v[34:35]
	v_fmac_f64_e32 v[62:63], v[10:11], v[34:35]
	;; [unrolled: 1-line block ×8, first 2 shown]
	s_waitcnt vmcnt(2)
	v_fmac_f64_e32 v[64:65], v[20:21], v[82:83]
	v_fmac_f64_e32 v[62:63], v[22:23], v[82:83]
	;; [unrolled: 1-line block ×4, first 2 shown]
	s_waitcnt vmcnt(1)
	v_fmac_f64_e32 v[64:65], v[24:25], v[84:85]
	v_fmac_f64_e32 v[62:63], v[26:27], v[84:85]
	s_waitcnt vmcnt(0)
	v_fmac_f64_e32 v[60:61], v[78:79], v[84:85]
	v_fmac_f64_e32 v[58:59], v[80:81], v[84:85]
	s_andn2_b64 exec, exec, s[8:9]
	s_cbranch_execnz .LBB25_33
; %bb.34:
	s_or_b64 exec, exec, s[8:9]
.LBB25_35:
	s_or_b64 exec, exec, s[2:3]
.LBB25_36:
	s_or_b64 exec, exec, s[6:7]
.LBB25_37:
	v_mov_b32_dpp v0, v64 row_shr:1 row_mask:0xf bank_mask:0xf
	v_mov_b32_dpp v1, v65 row_shr:1 row_mask:0xf bank_mask:0xf
	;; [unrolled: 1-line block ×8, first 2 shown]
	v_add_f64 v[0:1], v[64:65], v[0:1]
	v_add_f64 v[4:5], v[62:63], v[4:5]
	;; [unrolled: 1-line block ×4, first 2 shown]
	v_mov_b32_dpp v2, v0 row_shr:2 row_mask:0xf bank_mask:0xf
	v_mov_b32_dpp v3, v1 row_shr:2 row_mask:0xf bank_mask:0xf
	;; [unrolled: 1-line block ×8, first 2 shown]
	v_cmp_eq_u32_e32 vcc, 3, v50
	s_and_b64 exec, exec, vcc
	s_cbranch_execz .LBB25_10
; %bb.38:
	s_load_dwordx2 s[0:1], s[0:1], 0x50
	v_add_f64 v[0:1], v[0:1], v[2:3]
	v_add_f64 v[2:3], v[4:5], v[6:7]
	;; [unrolled: 1-line block ×4, first 2 shown]
	v_cmp_eq_f64_e32 vcc, 0, v[44:45]
	v_mul_f64 v[4:5], v[46:47], v[0:1]
	v_mul_f64 v[6:7], v[46:47], v[2:3]
	;; [unrolled: 1-line block ×4, first 2 shown]
	v_lshlrev_b32_e32 v8, 2, v48
	s_and_saveexec_b64 s[2:3], vcc
	s_xor_b64 s[2:3], exec, s[2:3]
	s_cbranch_execz .LBB25_40
; %bb.39:
	v_ashrrev_i32_e32 v9, 31, v8
	s_waitcnt lgkmcnt(0)
	v_lshl_add_u64 v[8:9], v[8:9], 3, s[0:1]
	global_store_dwordx4 v[8:9], v[4:7], off
	global_store_dwordx4 v[8:9], v[0:3], off offset:16
                                        ; implicit-def: $vgpr8
                                        ; implicit-def: $vgpr44_vgpr45
                                        ; implicit-def: $vgpr4_vgpr5
                                        ; implicit-def: $vgpr0_vgpr1
.LBB25_40:
	s_andn2_saveexec_b64 s[2:3], s[2:3]
	s_cbranch_execz .LBB25_10
; %bb.41:
	v_ashrrev_i32_e32 v9, 31, v8
	s_waitcnt lgkmcnt(0)
	v_lshl_add_u64 v[16:17], v[8:9], 3, s[0:1]
	global_load_dwordx4 v[8:11], v[16:17], off
	global_load_dwordx4 v[12:15], v[16:17], off offset:16
	s_waitcnt vmcnt(1)
	v_fmac_f64_e32 v[4:5], v[44:45], v[8:9]
	v_fmac_f64_e32 v[6:7], v[44:45], v[10:11]
	s_waitcnt vmcnt(0)
	v_fmac_f64_e32 v[0:1], v[44:45], v[12:13]
	v_fmac_f64_e32 v[2:3], v[44:45], v[14:15]
	global_store_dwordx4 v[16:17], v[4:7], off
	global_store_dwordx4 v[16:17], v[0:3], off offset:16
	s_endpgm
	.section	.rodata,"a",@progbits
	.p2align	6, 0x0
	.amdhsa_kernel _ZN9rocsparseL18bsrxmvn_4x4_kernelILj128ELj4EdlidddEEvT3_20rocsparse_direction_NS_24const_host_device_scalarIT1_EES1_PKS1_PKT2_SA_S7_PKT4_PKT5_S5_PT6_21rocsparse_index_base_b
		.amdhsa_group_segment_fixed_size 0
		.amdhsa_private_segment_fixed_size 0
		.amdhsa_kernarg_size 96
		.amdhsa_user_sgpr_count 2
		.amdhsa_user_sgpr_dispatch_ptr 0
		.amdhsa_user_sgpr_queue_ptr 0
		.amdhsa_user_sgpr_kernarg_segment_ptr 1
		.amdhsa_user_sgpr_dispatch_id 0
		.amdhsa_user_sgpr_kernarg_preload_length 0
		.amdhsa_user_sgpr_kernarg_preload_offset 0
		.amdhsa_user_sgpr_private_segment_size 0
		.amdhsa_uses_dynamic_stack 0
		.amdhsa_enable_private_segment 0
		.amdhsa_system_sgpr_workgroup_id_x 1
		.amdhsa_system_sgpr_workgroup_id_y 0
		.amdhsa_system_sgpr_workgroup_id_z 0
		.amdhsa_system_sgpr_workgroup_info 0
		.amdhsa_system_vgpr_workitem_id 0
		.amdhsa_next_free_vgpr 101
		.amdhsa_next_free_sgpr 18
		.amdhsa_accum_offset 104
		.amdhsa_reserve_vcc 1
		.amdhsa_float_round_mode_32 0
		.amdhsa_float_round_mode_16_64 0
		.amdhsa_float_denorm_mode_32 3
		.amdhsa_float_denorm_mode_16_64 3
		.amdhsa_dx10_clamp 1
		.amdhsa_ieee_mode 1
		.amdhsa_fp16_overflow 0
		.amdhsa_tg_split 0
		.amdhsa_exception_fp_ieee_invalid_op 0
		.amdhsa_exception_fp_denorm_src 0
		.amdhsa_exception_fp_ieee_div_zero 0
		.amdhsa_exception_fp_ieee_overflow 0
		.amdhsa_exception_fp_ieee_underflow 0
		.amdhsa_exception_fp_ieee_inexact 0
		.amdhsa_exception_int_div_zero 0
	.end_amdhsa_kernel
	.section	.text._ZN9rocsparseL18bsrxmvn_4x4_kernelILj128ELj4EdlidddEEvT3_20rocsparse_direction_NS_24const_host_device_scalarIT1_EES1_PKS1_PKT2_SA_S7_PKT4_PKT5_S5_PT6_21rocsparse_index_base_b,"axG",@progbits,_ZN9rocsparseL18bsrxmvn_4x4_kernelILj128ELj4EdlidddEEvT3_20rocsparse_direction_NS_24const_host_device_scalarIT1_EES1_PKS1_PKT2_SA_S7_PKT4_PKT5_S5_PT6_21rocsparse_index_base_b,comdat
.Lfunc_end25:
	.size	_ZN9rocsparseL18bsrxmvn_4x4_kernelILj128ELj4EdlidddEEvT3_20rocsparse_direction_NS_24const_host_device_scalarIT1_EES1_PKS1_PKT2_SA_S7_PKT4_PKT5_S5_PT6_21rocsparse_index_base_b, .Lfunc_end25-_ZN9rocsparseL18bsrxmvn_4x4_kernelILj128ELj4EdlidddEEvT3_20rocsparse_direction_NS_24const_host_device_scalarIT1_EES1_PKS1_PKT2_SA_S7_PKT4_PKT5_S5_PT6_21rocsparse_index_base_b
                                        ; -- End function
	.set _ZN9rocsparseL18bsrxmvn_4x4_kernelILj128ELj4EdlidddEEvT3_20rocsparse_direction_NS_24const_host_device_scalarIT1_EES1_PKS1_PKT2_SA_S7_PKT4_PKT5_S5_PT6_21rocsparse_index_base_b.num_vgpr, 101
	.set _ZN9rocsparseL18bsrxmvn_4x4_kernelILj128ELj4EdlidddEEvT3_20rocsparse_direction_NS_24const_host_device_scalarIT1_EES1_PKS1_PKT2_SA_S7_PKT4_PKT5_S5_PT6_21rocsparse_index_base_b.num_agpr, 0
	.set _ZN9rocsparseL18bsrxmvn_4x4_kernelILj128ELj4EdlidddEEvT3_20rocsparse_direction_NS_24const_host_device_scalarIT1_EES1_PKS1_PKT2_SA_S7_PKT4_PKT5_S5_PT6_21rocsparse_index_base_b.numbered_sgpr, 18
	.set _ZN9rocsparseL18bsrxmvn_4x4_kernelILj128ELj4EdlidddEEvT3_20rocsparse_direction_NS_24const_host_device_scalarIT1_EES1_PKS1_PKT2_SA_S7_PKT4_PKT5_S5_PT6_21rocsparse_index_base_b.num_named_barrier, 0
	.set _ZN9rocsparseL18bsrxmvn_4x4_kernelILj128ELj4EdlidddEEvT3_20rocsparse_direction_NS_24const_host_device_scalarIT1_EES1_PKS1_PKT2_SA_S7_PKT4_PKT5_S5_PT6_21rocsparse_index_base_b.private_seg_size, 0
	.set _ZN9rocsparseL18bsrxmvn_4x4_kernelILj128ELj4EdlidddEEvT3_20rocsparse_direction_NS_24const_host_device_scalarIT1_EES1_PKS1_PKT2_SA_S7_PKT4_PKT5_S5_PT6_21rocsparse_index_base_b.uses_vcc, 1
	.set _ZN9rocsparseL18bsrxmvn_4x4_kernelILj128ELj4EdlidddEEvT3_20rocsparse_direction_NS_24const_host_device_scalarIT1_EES1_PKS1_PKT2_SA_S7_PKT4_PKT5_S5_PT6_21rocsparse_index_base_b.uses_flat_scratch, 0
	.set _ZN9rocsparseL18bsrxmvn_4x4_kernelILj128ELj4EdlidddEEvT3_20rocsparse_direction_NS_24const_host_device_scalarIT1_EES1_PKS1_PKT2_SA_S7_PKT4_PKT5_S5_PT6_21rocsparse_index_base_b.has_dyn_sized_stack, 0
	.set _ZN9rocsparseL18bsrxmvn_4x4_kernelILj128ELj4EdlidddEEvT3_20rocsparse_direction_NS_24const_host_device_scalarIT1_EES1_PKS1_PKT2_SA_S7_PKT4_PKT5_S5_PT6_21rocsparse_index_base_b.has_recursion, 0
	.set _ZN9rocsparseL18bsrxmvn_4x4_kernelILj128ELj4EdlidddEEvT3_20rocsparse_direction_NS_24const_host_device_scalarIT1_EES1_PKS1_PKT2_SA_S7_PKT4_PKT5_S5_PT6_21rocsparse_index_base_b.has_indirect_call, 0
	.section	.AMDGPU.csdata,"",@progbits
; Kernel info:
; codeLenInByte = 3404
; TotalNumSgprs: 24
; NumVgprs: 101
; NumAgprs: 0
; TotalNumVgprs: 101
; ScratchSize: 0
; MemoryBound: 1
; FloatMode: 240
; IeeeMode: 1
; LDSByteSize: 0 bytes/workgroup (compile time only)
; SGPRBlocks: 2
; VGPRBlocks: 12
; NumSGPRsForWavesPerEU: 24
; NumVGPRsForWavesPerEU: 101
; AccumOffset: 104
; Occupancy: 4
; WaveLimiterHint : 1
; COMPUTE_PGM_RSRC2:SCRATCH_EN: 0
; COMPUTE_PGM_RSRC2:USER_SGPR: 2
; COMPUTE_PGM_RSRC2:TRAP_HANDLER: 0
; COMPUTE_PGM_RSRC2:TGID_X_EN: 1
; COMPUTE_PGM_RSRC2:TGID_Y_EN: 0
; COMPUTE_PGM_RSRC2:TGID_Z_EN: 0
; COMPUTE_PGM_RSRC2:TIDIG_COMP_CNT: 0
; COMPUTE_PGM_RSRC3_GFX90A:ACCUM_OFFSET: 25
; COMPUTE_PGM_RSRC3_GFX90A:TG_SPLIT: 0
	.section	.text._ZN9rocsparseL18bsrxmvn_4x4_kernelILj128ELj8EdlidddEEvT3_20rocsparse_direction_NS_24const_host_device_scalarIT1_EES1_PKS1_PKT2_SA_S7_PKT4_PKT5_S5_PT6_21rocsparse_index_base_b,"axG",@progbits,_ZN9rocsparseL18bsrxmvn_4x4_kernelILj128ELj8EdlidddEEvT3_20rocsparse_direction_NS_24const_host_device_scalarIT1_EES1_PKS1_PKT2_SA_S7_PKT4_PKT5_S5_PT6_21rocsparse_index_base_b,comdat
	.globl	_ZN9rocsparseL18bsrxmvn_4x4_kernelILj128ELj8EdlidddEEvT3_20rocsparse_direction_NS_24const_host_device_scalarIT1_EES1_PKS1_PKT2_SA_S7_PKT4_PKT5_S5_PT6_21rocsparse_index_base_b ; -- Begin function _ZN9rocsparseL18bsrxmvn_4x4_kernelILj128ELj8EdlidddEEvT3_20rocsparse_direction_NS_24const_host_device_scalarIT1_EES1_PKS1_PKT2_SA_S7_PKT4_PKT5_S5_PT6_21rocsparse_index_base_b
	.p2align	8
	.type	_ZN9rocsparseL18bsrxmvn_4x4_kernelILj128ELj8EdlidddEEvT3_20rocsparse_direction_NS_24const_host_device_scalarIT1_EES1_PKS1_PKT2_SA_S7_PKT4_PKT5_S5_PT6_21rocsparse_index_base_b,@function
_ZN9rocsparseL18bsrxmvn_4x4_kernelILj128ELj8EdlidddEEvT3_20rocsparse_direction_NS_24const_host_device_scalarIT1_EES1_PKS1_PKT2_SA_S7_PKT4_PKT5_S5_PT6_21rocsparse_index_base_b: ; @_ZN9rocsparseL18bsrxmvn_4x4_kernelILj128ELj8EdlidddEEvT3_20rocsparse_direction_NS_24const_host_device_scalarIT1_EES1_PKS1_PKT2_SA_S7_PKT4_PKT5_S5_PT6_21rocsparse_index_base_b
; %bb.0:
	s_load_dwordx2 s[12:13], s[0:1], 0x58
	s_load_dwordx2 s[8:9], s[0:1], 0x8
	;; [unrolled: 1-line block ×3, first 2 shown]
	s_waitcnt lgkmcnt(0)
	s_bitcmp1_b32 s13, 0
	s_cselect_b64 s[10:11], -1, 0
	s_xor_b64 s[6:7], s[10:11], -1
	s_and_b64 vcc, exec, s[10:11]
	v_mov_b64_e32 v[46:47], s[8:9]
	s_cbranch_vccnz .LBB26_2
; %bb.1:
	v_mov_b64_e32 v[2:3], s[8:9]
	flat_load_dwordx2 v[46:47], v[2:3]
.LBB26_2:
	s_andn2_b64 vcc, exec, s[6:7]
	v_mov_b64_e32 v[44:45], s[4:5]
	s_cbranch_vccnz .LBB26_4
; %bb.3:
	v_mov_b64_e32 v[2:3], s[4:5]
	flat_load_dwordx2 v[44:45], v[2:3]
.LBB26_4:
	s_waitcnt vmcnt(0) lgkmcnt(0)
	v_cmp_neq_f64_e32 vcc, 0, v[46:47]
	v_cmp_neq_f64_e64 s[4:5], 1.0, v[44:45]
	s_mov_b64 s[6:7], 0
	s_or_b64 s[4:5], vcc, s[4:5]
	s_and_saveexec_b64 s[8:9], s[4:5]
	s_cbranch_execz .LBB26_10
; %bb.5:
	s_load_dwordx2 s[4:5], s[0:1], 0x18
	s_load_dwordx2 s[14:15], s[0:1], 0x0
	v_lshrrev_b32_e32 v1, 3, v0
	v_lshl_or_b32 v48, s2, 4, v1
	s_mov_b64 s[2:3], 0
	s_waitcnt lgkmcnt(0)
	s_cmp_lg_u64 s[4:5], 0
	s_cbranch_scc0 .LBB26_11
; %bb.6:
	s_load_dword s6, s[0:1], 0x10
                                        ; implicit-def: $vgpr1
	s_waitcnt lgkmcnt(0)
	v_cmp_gt_i32_e32 vcc, s6, v48
	s_and_saveexec_b64 s[6:7], vcc
	s_xor_b64 s[6:7], exec, s[6:7]
	s_cbranch_execz .LBB26_8
; %bb.7:
	v_ashrrev_i32_e32 v49, 31, v48
	v_lshl_add_u64 v[2:3], v[48:49], 2, s[4:5]
	global_load_dword v1, v[2:3], off
	s_mov_b64 s[2:3], exec
	s_waitcnt vmcnt(0)
	v_subrev_u32_e32 v1, s12, v1
.LBB26_8:
	s_or_b64 exec, exec, s[6:7]
	s_mov_b64 s[6:7], s[2:3]
	s_branch .LBB26_12
.LBB26_9:
	v_cmp_gt_i32_e32 vcc, s14, v48
	s_andn2_b64 s[2:3], s[6:7], exec
	s_and_b64 s[4:5], vcc, exec
	s_or_b64 s[6:7], s[2:3], s[4:5]
	s_and_b64 exec, exec, s[6:7]
	s_cbranch_execnz .LBB26_13
.LBB26_10:
	s_endpgm
.LBB26_11:
                                        ; implicit-def: $vgpr1
	s_cbranch_execnz .LBB26_9
.LBB26_12:
	v_mov_b32_e32 v48, v1
	s_and_b64 exec, exec, s[6:7]
	s_cbranch_execz .LBB26_10
.LBB26_13:
	s_load_dwordx8 s[4:11], s[0:1], 0x20
	v_ashrrev_i32_e32 v49, 31, v48
	v_lshlrev_b64 v[2:3], 3, v[48:49]
	v_and_b32_e32 v50, 7, v0
	v_mov_b32_e32 v51, 0
	s_waitcnt lgkmcnt(0)
	v_lshl_add_u64 v[4:5], s[4:5], 0, v[2:3]
	s_cmp_eq_u64 s[6:7], 0
	v_lshl_add_u64 v[2:3], s[6:7], 0, v[2:3]
	global_load_dwordx2 v[66:67], v[4:5], off
	v_lshl_add_u64 v[4:5], v[4:5], 0, 8
	s_cselect_b64 vcc, -1, 0
	v_cndmask_b32_e32 v3, v3, v5, vcc
	v_cndmask_b32_e32 v2, v2, v4, vcc
	global_load_dwordx2 v[2:3], v[2:3], off
	s_load_dwordx2 s[4:5], s[0:1], 0x40
	s_cmp_eq_u32 s15, 1
	s_waitcnt vmcnt(1)
	v_subrev_co_u32_e32 v0, vcc, s12, v66
	s_nop 1
	v_subbrev_co_u32_e32 v1, vcc, 0, v67, vcc
	v_lshl_add_u64 v[52:53], v[0:1], 0, v[50:51]
	s_waitcnt vmcnt(0)
	v_subrev_co_u32_e32 v54, vcc, s12, v2
	v_lshlrev_b64 v[0:1], 7, v[52:53]
	s_nop 0
	v_subbrev_co_u32_e32 v55, vcc, 0, v3, vcc
	v_lshl_add_u64 v[56:57], s[10:11], 0, v[0:1]
	v_cmp_lt_i64_e64 s[2:3], v[52:53], v[54:55]
	s_cbranch_scc1 .LBB26_25
; %bb.14:
	v_mov_b64_e32 v[58:59], 0
	v_mov_b64_e32 v[60:61], 0
	;; [unrolled: 1-line block ×4, first 2 shown]
	s_and_saveexec_b64 s[6:7], s[2:3]
	s_cbranch_execz .LBB26_24
; %bb.15:
	v_or_b32_e32 v0, 8, v50
	v_subrev_co_u32_e32 v0, vcc, s12, v0
	v_not_b32_e32 v3, v67
	s_nop 0
	v_subb_co_u32_e64 v1, s[10:11], 0, 0, vcc
	v_lshl_add_u64 v[0:1], v[0:1], 0, v[66:67]
	v_cmp_gt_i64_e32 vcc, v[0:1], v[54:55]
	v_not_b32_e32 v2, v66
	v_mov_b64_e32 v[64:65], 0
	v_cndmask_b32_e32 v1, v55, v1, vcc
	v_cndmask_b32_e32 v0, v54, v0, vcc
	v_sub_co_u32_e32 v4, vcc, s12, v50
	v_mov_b64_e32 v[62:63], 0
	s_nop 0
	v_subb_co_u32_e64 v5, s[10:11], 0, 0, vcc
	v_lshl_add_u64 v[2:3], v[4:5], 0, v[2:3]
	v_lshl_add_u64 v[0:1], v[2:3], 0, v[0:1]
	v_and_b32_e32 v2, 24, v0
	v_mov_b32_e32 v3, 0
	v_cmp_ne_u64_e32 vcc, 24, v[2:3]
	v_mov_b64_e32 v[60:61], 0
	v_mov_b64_e32 v[58:59], 0
	;; [unrolled: 1-line block ×4, first 2 shown]
	s_and_saveexec_b64 s[10:11], vcc
	s_cbranch_execz .LBB26_19
; %bb.16:
	v_lshrrev_b32_e32 v2, 3, v0
	v_add_u32_e32 v2, 1, v2
	v_and_b32_e32 v4, 3, v2
	v_sub_co_u32_e32 v4, vcc, 0, v4
	v_lshl_add_u64 v[2:3], v[52:53], 2, s[8:9]
	s_nop 0
	v_subb_co_u32_e64 v5, s[16:17], 0, 0, vcc
	s_mov_b64 s[14:15], 0
	v_mov_b64_e32 v[58:59], 0
	s_mov_b64 s[16:17], 0x400
	v_mov_b64_e32 v[70:71], v[56:57]
	v_mov_b64_e32 v[68:69], v[52:53]
	;; [unrolled: 1-line block ×5, first 2 shown]
.LBB26_17:                              ; =>This Inner Loop Header: Depth=1
	global_load_dword v38, v[2:3], off
	global_load_dwordx4 v[6:9], v[70:71], off offset:48
	global_load_dwordx4 v[10:13], v[70:71], off offset:32
	global_load_dwordx4 v[14:17], v[70:71], off offset:16
	global_load_dwordx4 v[18:21], v[70:71], off
	global_load_dwordx4 v[22:25], v[70:71], off offset:112
	global_load_dwordx4 v[26:29], v[70:71], off offset:96
	;; [unrolled: 1-line block ×4, first 2 shown]
	v_lshl_add_u64 v[4:5], v[4:5], 0, 1
	v_cmp_eq_u64_e32 vcc, 0, v[4:5]
	v_lshl_add_u64 v[70:71], v[70:71], 0, s[16:17]
	v_lshl_add_u64 v[68:69], v[68:69], 0, 8
	;; [unrolled: 1-line block ×3, first 2 shown]
	s_or_b64 s[14:15], vcc, s[14:15]
	s_waitcnt vmcnt(8)
	v_subrev_u32_e32 v38, s12, v38
	v_lshlrev_b32_e32 v38, 2, v38
	v_ashrrev_i32_e32 v39, 31, v38
	s_waitcnt lgkmcnt(0)
	v_lshl_add_u64 v[42:43], v[38:39], 3, s[4:5]
	global_load_dwordx4 v[38:41], v[42:43], off
	global_load_dwordx4 v[72:75], v[42:43], off offset:16
	s_waitcnt vmcnt(1)
	v_fmac_f64_e32 v[64:65], v[18:19], v[38:39]
	v_fmac_f64_e32 v[62:63], v[10:11], v[38:39]
	;; [unrolled: 1-line block ×8, first 2 shown]
	s_waitcnt vmcnt(0)
	v_fmac_f64_e32 v[64:65], v[14:15], v[72:73]
	v_fmac_f64_e32 v[62:63], v[6:7], v[72:73]
	;; [unrolled: 1-line block ×8, first 2 shown]
	s_andn2_b64 exec, exec, s[14:15]
	s_cbranch_execnz .LBB26_17
; %bb.18:
	s_or_b64 exec, exec, s[14:15]
.LBB26_19:
	s_or_b64 exec, exec, s[10:11]
	v_cmp_lt_u64_e32 vcc, 23, v[0:1]
	s_and_saveexec_b64 s[10:11], vcc
	s_cbranch_execz .LBB26_23
; %bb.20:
	v_lshl_add_u64 v[0:1], v[68:69], 2, s[8:9]
	v_lshl_add_u64 v[72:73], v[0:1], 0, 64
	s_mov_b64 s[14:15], 0
	s_mov_b64 s[16:17], 0x1000
	;; [unrolled: 1-line block ×3, first 2 shown]
.LBB26_21:                              ; =>This Inner Loop Header: Depth=1
	global_load_dword v49, v[72:73], off offset:-64
	global_load_dwordx4 v[4:7], v[70:71], off offset:48
	global_load_dwordx4 v[20:23], v[70:71], off offset:32
	;; [unrolled: 1-line block ×3, first 2 shown]
	global_load_dwordx4 v[28:31], v[70:71], off
	global_load_dwordx4 v[32:35], v[70:71], off offset:112
	global_load_dwordx4 v[74:77], v[70:71], off offset:96
	;; [unrolled: 1-line block ×11, first 2 shown]
	v_lshl_add_u64 v[68:69], v[68:69], 0, 32
	v_cmp_ge_i64_e32 vcc, v[68:69], v[54:55]
	s_or_b64 s[14:15], vcc, s[14:15]
	s_waitcnt vmcnt(15)
	v_subrev_u32_e32 v49, s12, v49
	v_lshlrev_b32_e32 v90, 2, v49
	v_ashrrev_i32_e32 v91, 31, v90
	s_waitcnt lgkmcnt(0)
	v_lshl_add_u64 v[98:99], v[90:91], 3, s[4:5]
	global_load_dwordx4 v[90:93], v[98:99], off
	global_load_dwordx4 v[94:97], v[70:71], off offset:1088
	global_load_dword v49, v[72:73], off offset:-32
	global_load_dword v51, v[72:73], off
	global_load_dword v100, v[72:73], off offset:32
	v_lshl_add_u64 v[72:73], v[72:73], 0, s[18:19]
	s_waitcnt vmcnt(4)
	v_fmac_f64_e32 v[64:65], v[28:29], v[90:91]
	v_fmac_f64_e32 v[62:63], v[20:21], v[90:91]
	;; [unrolled: 1-line block ×6, first 2 shown]
	global_load_dwordx4 v[20:23], v[70:71], off offset:2096
	v_fmac_f64_e32 v[60:61], v[80:81], v[92:93]
	global_load_dwordx4 v[78:81], v[70:71], off offset:2080
	v_fmac_f64_e32 v[58:59], v[76:77], v[92:93]
	global_load_dwordx4 v[28:31], v[70:71], off offset:2064
	global_load_dwordx4 v[74:77], v[98:99], off offset:16
	;; [unrolled: 1-line block ×3, first 2 shown]
	s_waitcnt vmcnt(1)
	v_fmac_f64_e32 v[58:59], v[32:33], v[74:75]
	v_subrev_u32_e32 v32, s12, v49
	v_lshlrev_b32_e32 v32, 2, v32
	v_ashrrev_i32_e32 v33, 31, v32
	v_lshl_add_u64 v[98:99], v[32:33], 3, s[4:5]
	v_fmac_f64_e32 v[58:59], v[34:35], v[76:77]
	global_load_dwordx4 v[32:35], v[98:99], off
	v_fmac_f64_e32 v[64:65], v[12:13], v[74:75]
	v_fmac_f64_e32 v[62:63], v[4:5], v[74:75]
	;; [unrolled: 1-line block ×6, first 2 shown]
	global_load_dwordx4 v[4:7], v[70:71], off offset:2160
	global_load_dwordx4 v[36:39], v[70:71], off offset:2144
	;; [unrolled: 1-line block ×4, first 2 shown]
	v_subrev_u32_e32 v49, s12, v51
	s_waitcnt vmcnt(4)
	v_fmac_f64_e32 v[64:65], v[82:83], v[32:33]
	v_fmac_f64_e32 v[62:63], v[40:41], v[32:33]
	;; [unrolled: 1-line block ×6, first 2 shown]
	global_load_dwordx4 v[40:43], v[70:71], off offset:3120
	v_fmac_f64_e32 v[60:61], v[96:97], v[34:35]
	global_load_dwordx4 v[82:85], v[70:71], off offset:3104
	v_fmac_f64_e32 v[58:59], v[88:89], v[34:35]
	global_load_dwordx4 v[32:35], v[70:71], off offset:3088
	global_load_dwordx4 v[86:89], v[98:99], off offset:16
	s_waitcnt vmcnt(0)
	v_fmac_f64_e32 v[64:65], v[24:25], v[86:87]
	v_fmac_f64_e32 v[62:63], v[0:1], v[86:87]
	;; [unrolled: 1-line block ×4, first 2 shown]
	v_lshlrev_b32_e32 v86, 2, v49
	v_ashrrev_i32_e32 v87, 31, v86
	v_lshl_add_u64 v[94:95], v[86:87], 3, s[4:5]
	v_fmac_f64_e32 v[64:65], v[26:27], v[88:89]
	v_fmac_f64_e32 v[62:63], v[2:3], v[88:89]
	;; [unrolled: 1-line block ×4, first 2 shown]
	global_load_dwordx4 v[86:89], v[94:95], off
	v_subrev_u32_e32 v49, s12, v100
	v_lshlrev_b32_e32 v96, 2, v49
	v_ashrrev_i32_e32 v97, 31, v96
	global_load_dwordx4 v[24:27], v[70:71], off offset:3072
	global_load_dwordx4 v[16:19], v[70:71], off offset:3168
	;; [unrolled: 1-line block ×3, first 2 shown]
	v_lshl_add_u64 v[98:99], v[96:97], 3, s[4:5]
	global_load_dwordx4 v[0:3], v[70:71], off offset:3184
	s_waitcnt vmcnt(4)
	v_fmac_f64_e32 v[62:63], v[78:79], v[86:87]
	v_fmac_f64_e32 v[62:63], v[80:81], v[88:89]
	global_load_dwordx4 v[78:81], v[94:95], off offset:16
	v_fmac_f64_e32 v[64:65], v[90:91], v[86:87]
	v_fmac_f64_e32 v[64:65], v[92:93], v[88:89]
	global_load_dwordx4 v[90:93], v[70:71], off offset:3136
	v_fmac_f64_e32 v[60:61], v[74:75], v[86:87]
	v_fmac_f64_e32 v[60:61], v[76:77], v[88:89]
	global_load_dwordx4 v[74:77], v[98:99], off
	global_load_dwordx4 v[94:97], v[98:99], off offset:16
	v_fmac_f64_e32 v[58:59], v[36:37], v[86:87]
	v_fmac_f64_e32 v[58:59], v[38:39], v[88:89]
	v_lshl_add_u64 v[70:71], v[70:71], 0, s[16:17]
	s_waitcnt vmcnt(3)
	v_fmac_f64_e32 v[64:65], v[28:29], v[78:79]
	v_fmac_f64_e32 v[62:63], v[20:21], v[78:79]
	v_fmac_f64_e32 v[60:61], v[12:13], v[78:79]
	v_fmac_f64_e32 v[58:59], v[4:5], v[78:79]
	v_fmac_f64_e32 v[64:65], v[30:31], v[80:81]
	v_fmac_f64_e32 v[62:63], v[22:23], v[80:81]
	v_fmac_f64_e32 v[60:61], v[14:15], v[80:81]
	v_fmac_f64_e32 v[58:59], v[6:7], v[80:81]
	s_waitcnt vmcnt(1)
	v_fmac_f64_e32 v[64:65], v[24:25], v[74:75]
	v_fmac_f64_e32 v[62:63], v[82:83], v[74:75]
	v_fmac_f64_e32 v[60:61], v[90:91], v[74:75]
	v_fmac_f64_e32 v[58:59], v[16:17], v[74:75]
	v_fmac_f64_e32 v[64:65], v[26:27], v[76:77]
	v_fmac_f64_e32 v[62:63], v[84:85], v[76:77]
	v_fmac_f64_e32 v[60:61], v[92:93], v[76:77]
	v_fmac_f64_e32 v[58:59], v[18:19], v[76:77]
	;; [unrolled: 9-line block ×3, first 2 shown]
	s_andn2_b64 exec, exec, s[14:15]
	s_cbranch_execnz .LBB26_21
; %bb.22:
	s_or_b64 exec, exec, s[14:15]
.LBB26_23:
	s_or_b64 exec, exec, s[10:11]
.LBB26_24:
	s_or_b64 exec, exec, s[6:7]
	s_cbranch_execz .LBB26_26
	s_branch .LBB26_37
.LBB26_25:
                                        ; implicit-def: $vgpr58_vgpr59
                                        ; implicit-def: $vgpr60_vgpr61
                                        ; implicit-def: $vgpr62_vgpr63
                                        ; implicit-def: $vgpr64_vgpr65
.LBB26_26:
	v_mov_b64_e32 v[58:59], 0
	v_mov_b64_e32 v[60:61], 0
	;; [unrolled: 1-line block ×4, first 2 shown]
	s_and_saveexec_b64 s[6:7], s[2:3]
	s_cbranch_execz .LBB26_36
; %bb.27:
	v_or_b32_e32 v0, 8, v50
	v_subrev_co_u32_e32 v0, vcc, s12, v0
	v_not_b32_e32 v3, v67
	s_nop 0
	v_subb_co_u32_e64 v1, s[2:3], 0, 0, vcc
	v_lshl_add_u64 v[0:1], v[0:1], 0, v[66:67]
	v_cmp_gt_i64_e32 vcc, v[0:1], v[54:55]
	v_not_b32_e32 v2, v66
	v_mov_b64_e32 v[64:65], 0
	v_cndmask_b32_e32 v1, v55, v1, vcc
	v_cndmask_b32_e32 v0, v54, v0, vcc
	v_sub_co_u32_e32 v4, vcc, s12, v50
	v_mov_b64_e32 v[62:63], 0
	s_nop 0
	v_subb_co_u32_e64 v5, s[2:3], 0, 0, vcc
	v_lshl_add_u64 v[2:3], v[4:5], 0, v[2:3]
	v_lshl_add_u64 v[0:1], v[2:3], 0, v[0:1]
	v_and_b32_e32 v2, 24, v0
	v_mov_b32_e32 v3, 0
	v_cmp_ne_u64_e32 vcc, 24, v[2:3]
	v_mov_b64_e32 v[60:61], 0
	v_mov_b64_e32 v[58:59], 0
	s_and_saveexec_b64 s[2:3], vcc
	s_cbranch_execz .LBB26_31
; %bb.28:
	v_lshrrev_b32_e32 v2, 3, v0
	v_add_u32_e32 v2, 1, v2
	v_and_b32_e32 v4, 3, v2
	v_sub_co_u32_e32 v4, vcc, 0, v4
	v_lshl_add_u64 v[2:3], v[52:53], 2, s[8:9]
	s_nop 0
	v_subb_co_u32_e64 v5, s[14:15], 0, 0, vcc
	s_mov_b64 s[10:11], 0
	v_mov_b64_e32 v[58:59], 0
	s_mov_b64 s[14:15], 0x400
	v_mov_b64_e32 v[60:61], 0
	v_mov_b64_e32 v[62:63], 0
	;; [unrolled: 1-line block ×3, first 2 shown]
.LBB26_29:                              ; =>This Inner Loop Header: Depth=1
	global_load_dword v30, v[2:3], off
	global_load_dwordx4 v[6:9], v[56:57], off offset:48
	global_load_dwordx4 v[10:13], v[56:57], off offset:32
	;; [unrolled: 1-line block ×3, first 2 shown]
	global_load_dwordx4 v[18:21], v[56:57], off
	global_load_dwordx4 v[22:25], v[56:57], off offset:80
	global_load_dwordx4 v[26:29], v[56:57], off offset:64
	v_lshl_add_u64 v[4:5], v[4:5], 0, 1
	v_cmp_eq_u64_e32 vcc, 0, v[4:5]
	v_lshl_add_u64 v[52:53], v[52:53], 0, 8
	v_lshl_add_u64 v[2:3], v[2:3], 0, 32
	s_or_b64 s[10:11], vcc, s[10:11]
	s_waitcnt vmcnt(6)
	v_subrev_u32_e32 v30, s12, v30
	v_lshlrev_b32_e32 v30, 2, v30
	v_ashrrev_i32_e32 v31, 31, v30
	s_waitcnt lgkmcnt(0)
	v_lshl_add_u64 v[42:43], v[30:31], 3, s[4:5]
	global_load_dwordx4 v[30:33], v[42:43], off
	global_load_dwordx4 v[34:37], v[42:43], off offset:16
	global_load_dwordx4 v[38:41], v[56:57], off offset:96
	;; [unrolled: 1-line block ×3, first 2 shown]
	v_lshl_add_u64 v[56:57], v[56:57], 0, s[14:15]
	s_waitcnt vmcnt(3)
	v_fmac_f64_e32 v[64:65], v[18:19], v[30:31]
	v_fmac_f64_e32 v[62:63], v[20:21], v[30:31]
	;; [unrolled: 1-line block ×8, first 2 shown]
	s_waitcnt vmcnt(2)
	v_fmac_f64_e32 v[64:65], v[26:27], v[34:35]
	v_fmac_f64_e32 v[62:63], v[28:29], v[34:35]
	v_fmac_f64_e32 v[60:61], v[22:23], v[34:35]
	v_fmac_f64_e32 v[58:59], v[24:25], v[34:35]
	s_waitcnt vmcnt(1)
	v_fmac_f64_e32 v[64:65], v[38:39], v[36:37]
	v_fmac_f64_e32 v[62:63], v[40:41], v[36:37]
	s_waitcnt vmcnt(0)
	v_fmac_f64_e32 v[60:61], v[66:67], v[36:37]
	v_fmac_f64_e32 v[58:59], v[68:69], v[36:37]
	s_andn2_b64 exec, exec, s[10:11]
	s_cbranch_execnz .LBB26_29
; %bb.30:
	s_or_b64 exec, exec, s[10:11]
.LBB26_31:
	s_or_b64 exec, exec, s[2:3]
	v_cmp_lt_u64_e32 vcc, 23, v[0:1]
	s_and_saveexec_b64 s[2:3], vcc
	s_cbranch_execz .LBB26_35
; %bb.32:
	v_lshl_add_u64 v[0:1], v[52:53], 2, s[8:9]
	v_lshl_add_u64 v[28:29], v[0:1], 0, 64
	s_mov_b64 s[8:9], 0
	s_mov_b64 s[10:11], 0x1000
	;; [unrolled: 1-line block ×3, first 2 shown]
.LBB26_33:                              ; =>This Inner Loop Header: Depth=1
	global_load_dword v42, v[28:29], off offset:-64
	global_load_dwordx4 v[0:3], v[56:57], off offset:48
	global_load_dwordx4 v[4:7], v[56:57], off offset:32
	;; [unrolled: 1-line block ×3, first 2 shown]
	global_load_dwordx4 v[12:15], v[56:57], off
	global_load_dwordx4 v[16:19], v[56:57], off offset:112
	global_load_dwordx4 v[20:23], v[56:57], off offset:96
	;; [unrolled: 1-line block ×8, first 2 shown]
	global_load_dword v49, v[28:29], off offset:-32
	global_load_dword v51, v[28:29], off
	global_load_dword v82, v[28:29], off offset:32
	v_lshl_add_u64 v[52:53], v[52:53], 0, 32
	v_cmp_ge_i64_e32 vcc, v[52:53], v[54:55]
	v_lshl_add_u64 v[28:29], v[28:29], 0, s[14:15]
	s_or_b64 s[8:9], vcc, s[8:9]
	s_waitcnt vmcnt(15)
	v_subrev_u32_e32 v42, s12, v42
	v_lshlrev_b32_e32 v42, 2, v42
	v_ashrrev_i32_e32 v43, 31, v42
	s_waitcnt lgkmcnt(0)
	v_lshl_add_u64 v[42:43], v[42:43], 3, s[4:5]
	global_load_dwordx4 v[74:77], v[42:43], off
	s_waitcnt vmcnt(0)
	v_fmac_f64_e32 v[64:65], v[12:13], v[74:75]
	v_fmac_f64_e32 v[62:63], v[14:15], v[74:75]
	;; [unrolled: 1-line block ×4, first 2 shown]
	global_load_dwordx4 v[12:15], v[56:57], off offset:1136
	global_load_dwordx4 v[8:11], v[56:57], off offset:1120
	v_fmac_f64_e32 v[64:65], v[4:5], v[76:77]
	v_fmac_f64_e32 v[62:63], v[6:7], v[76:77]
	global_load_dwordx4 v[4:7], v[56:57], off offset:1104
	v_fmac_f64_e32 v[60:61], v[0:1], v[76:77]
	v_fmac_f64_e32 v[58:59], v[2:3], v[76:77]
	global_load_dwordx4 v[74:77], v[56:57], off offset:1088
	global_load_dwordx4 v[78:81], v[56:57], off offset:2096
	;; [unrolled: 1-line block ×3, first 2 shown]
	s_waitcnt vmcnt(0)
	v_fmac_f64_e32 v[60:61], v[30:31], v[0:1]
	v_fmac_f64_e32 v[60:61], v[16:17], v[2:3]
	v_subrev_u32_e32 v16, s12, v49
	v_lshlrev_b32_e32 v16, 2, v16
	v_ashrrev_i32_e32 v17, 31, v16
	v_fmac_f64_e32 v[58:59], v[32:33], v[0:1]
	v_lshl_add_u64 v[42:43], v[16:17], 3, s[4:5]
	v_fmac_f64_e32 v[58:59], v[18:19], v[2:3]
	global_load_dwordx4 v[16:19], v[42:43], off
	v_fmac_f64_e32 v[64:65], v[34:35], v[0:1]
	v_fmac_f64_e32 v[62:63], v[36:37], v[0:1]
	;; [unrolled: 1-line block ×4, first 2 shown]
	global_load_dwordx4 v[34:37], v[56:57], off offset:2080
	global_load_dwordx4 v[30:33], v[56:57], off offset:2064
	;; [unrolled: 1-line block ×4, first 2 shown]
	v_subrev_u32_e32 v49, s12, v82
	v_lshlrev_b32_e32 v82, 2, v49
	v_ashrrev_i32_e32 v83, 31, v82
	v_lshl_add_u64 v[86:87], v[82:83], 3, s[4:5]
	s_waitcnt vmcnt(4)
	v_fmac_f64_e32 v[64:65], v[70:71], v[16:17]
	v_fmac_f64_e32 v[62:63], v[72:73], v[16:17]
	;; [unrolled: 1-line block ×4, first 2 shown]
	global_load_dwordx4 v[70:73], v[56:57], off offset:2144
	global_load_dwordx4 v[66:69], v[56:57], off offset:2128
	v_fmac_f64_e32 v[64:65], v[38:39], v[18:19]
	v_fmac_f64_e32 v[62:63], v[40:41], v[18:19]
	global_load_dwordx4 v[38:41], v[56:57], off offset:2112
	v_fmac_f64_e32 v[60:61], v[24:25], v[18:19]
	v_fmac_f64_e32 v[58:59], v[26:27], v[18:19]
	global_load_dwordx4 v[16:19], v[56:57], off offset:3120
	global_load_dwordx4 v[24:27], v[42:43], off offset:16
	s_waitcnt vmcnt(0)
	v_fmac_f64_e32 v[64:65], v[74:75], v[24:25]
	v_fmac_f64_e32 v[62:63], v[76:77], v[24:25]
	;; [unrolled: 1-line block ×4, first 2 shown]
	v_subrev_u32_e32 v24, s12, v51
	v_lshlrev_b32_e32 v24, 2, v24
	v_ashrrev_i32_e32 v25, 31, v24
	v_lshl_add_u64 v[42:43], v[24:25], 3, s[4:5]
	v_fmac_f64_e32 v[64:65], v[8:9], v[26:27]
	v_fmac_f64_e32 v[62:63], v[10:11], v[26:27]
	v_fmac_f64_e32 v[60:61], v[12:13], v[26:27]
	v_fmac_f64_e32 v[58:59], v[14:15], v[26:27]
	global_load_dwordx4 v[24:27], v[42:43], off
	global_load_dwordx4 v[4:7], v[56:57], off offset:3088
	global_load_dwordx4 v[8:11], v[56:57], off offset:3072
	global_load_dwordx4 v[74:77], v[56:57], off offset:3104
	global_load_dwordx4 v[12:15], v[56:57], off offset:3152
	s_waitcnt vmcnt(4)
	v_fmac_f64_e32 v[60:61], v[30:31], v[24:25]
	v_fmac_f64_e32 v[58:59], v[32:33], v[24:25]
	global_load_dwordx4 v[30:33], v[42:43], off offset:16
	v_fmac_f64_e32 v[64:65], v[20:21], v[24:25]
	v_fmac_f64_e32 v[62:63], v[22:23], v[24:25]
	global_load_dwordx4 v[20:23], v[56:57], off offset:3136
	v_fmac_f64_e32 v[64:65], v[34:35], v[26:27]
	v_fmac_f64_e32 v[62:63], v[36:37], v[26:27]
	global_load_dwordx4 v[34:37], v[86:87], off
	global_load_dwordx4 v[82:85], v[86:87], off offset:16
	v_fmac_f64_e32 v[60:61], v[78:79], v[26:27]
	v_fmac_f64_e32 v[58:59], v[80:81], v[26:27]
	global_load_dwordx4 v[24:27], v[56:57], off offset:3168
	global_load_dwordx4 v[78:81], v[56:57], off offset:3184
	v_lshl_add_u64 v[56:57], v[56:57], 0, s[10:11]
	s_waitcnt vmcnt(5)
	v_fmac_f64_e32 v[64:65], v[38:39], v[30:31]
	v_fmac_f64_e32 v[62:63], v[40:41], v[30:31]
	;; [unrolled: 1-line block ×8, first 2 shown]
	s_waitcnt vmcnt(3)
	v_fmac_f64_e32 v[64:65], v[8:9], v[34:35]
	v_fmac_f64_e32 v[62:63], v[10:11], v[34:35]
	v_fmac_f64_e32 v[60:61], v[4:5], v[34:35]
	v_fmac_f64_e32 v[58:59], v[6:7], v[34:35]
	v_fmac_f64_e32 v[64:65], v[74:75], v[36:37]
	v_fmac_f64_e32 v[62:63], v[76:77], v[36:37]
	v_fmac_f64_e32 v[60:61], v[16:17], v[36:37]
	v_fmac_f64_e32 v[58:59], v[18:19], v[36:37]
	s_waitcnt vmcnt(2)
	v_fmac_f64_e32 v[64:65], v[20:21], v[82:83]
	v_fmac_f64_e32 v[62:63], v[22:23], v[82:83]
	;; [unrolled: 1-line block ×4, first 2 shown]
	s_waitcnt vmcnt(1)
	v_fmac_f64_e32 v[64:65], v[24:25], v[84:85]
	v_fmac_f64_e32 v[62:63], v[26:27], v[84:85]
	s_waitcnt vmcnt(0)
	v_fmac_f64_e32 v[60:61], v[78:79], v[84:85]
	v_fmac_f64_e32 v[58:59], v[80:81], v[84:85]
	s_andn2_b64 exec, exec, s[8:9]
	s_cbranch_execnz .LBB26_33
; %bb.34:
	s_or_b64 exec, exec, s[8:9]
.LBB26_35:
	s_or_b64 exec, exec, s[2:3]
.LBB26_36:
	s_or_b64 exec, exec, s[6:7]
.LBB26_37:
	v_mov_b32_dpp v0, v64 row_shr:1 row_mask:0xf bank_mask:0xf
	v_mov_b32_dpp v1, v65 row_shr:1 row_mask:0xf bank_mask:0xf
	;; [unrolled: 1-line block ×8, first 2 shown]
	v_add_f64 v[0:1], v[64:65], v[0:1]
	v_add_f64 v[4:5], v[62:63], v[4:5]
	;; [unrolled: 1-line block ×4, first 2 shown]
	v_mov_b32_dpp v2, v0 row_shr:2 row_mask:0xf bank_mask:0xf
	v_mov_b32_dpp v3, v1 row_shr:2 row_mask:0xf bank_mask:0xf
	;; [unrolled: 1-line block ×8, first 2 shown]
	v_add_f64 v[0:1], v[0:1], v[2:3]
	v_add_f64 v[4:5], v[4:5], v[6:7]
	;; [unrolled: 1-line block ×4, first 2 shown]
	v_mov_b32_dpp v2, v0 row_shr:4 row_mask:0xf bank_mask:0xe
	v_mov_b32_dpp v3, v1 row_shr:4 row_mask:0xf bank_mask:0xe
	;; [unrolled: 1-line block ×8, first 2 shown]
	v_cmp_eq_u32_e32 vcc, 7, v50
	s_and_b64 exec, exec, vcc
	s_cbranch_execz .LBB26_10
; %bb.38:
	s_load_dwordx2 s[0:1], s[0:1], 0x50
	v_add_f64 v[0:1], v[0:1], v[2:3]
	v_add_f64 v[2:3], v[4:5], v[6:7]
	;; [unrolled: 1-line block ×4, first 2 shown]
	v_cmp_eq_f64_e32 vcc, 0, v[44:45]
	v_mul_f64 v[4:5], v[46:47], v[0:1]
	v_mul_f64 v[6:7], v[46:47], v[2:3]
	v_mul_f64 v[0:1], v[46:47], v[8:9]
	v_mul_f64 v[2:3], v[46:47], v[10:11]
	v_lshlrev_b32_e32 v8, 2, v48
	s_and_saveexec_b64 s[2:3], vcc
	s_xor_b64 s[2:3], exec, s[2:3]
	s_cbranch_execz .LBB26_40
; %bb.39:
	v_ashrrev_i32_e32 v9, 31, v8
	s_waitcnt lgkmcnt(0)
	v_lshl_add_u64 v[8:9], v[8:9], 3, s[0:1]
	global_store_dwordx4 v[8:9], v[4:7], off
	global_store_dwordx4 v[8:9], v[0:3], off offset:16
                                        ; implicit-def: $vgpr8
                                        ; implicit-def: $vgpr44_vgpr45
                                        ; implicit-def: $vgpr4_vgpr5
                                        ; implicit-def: $vgpr0_vgpr1
.LBB26_40:
	s_andn2_saveexec_b64 s[2:3], s[2:3]
	s_cbranch_execz .LBB26_10
; %bb.41:
	v_ashrrev_i32_e32 v9, 31, v8
	s_waitcnt lgkmcnt(0)
	v_lshl_add_u64 v[16:17], v[8:9], 3, s[0:1]
	global_load_dwordx4 v[8:11], v[16:17], off
	global_load_dwordx4 v[12:15], v[16:17], off offset:16
	s_waitcnt vmcnt(1)
	v_fmac_f64_e32 v[4:5], v[44:45], v[8:9]
	v_fmac_f64_e32 v[6:7], v[44:45], v[10:11]
	s_waitcnt vmcnt(0)
	v_fmac_f64_e32 v[0:1], v[44:45], v[12:13]
	v_fmac_f64_e32 v[2:3], v[44:45], v[14:15]
	global_store_dwordx4 v[16:17], v[4:7], off
	global_store_dwordx4 v[16:17], v[0:3], off offset:16
	s_endpgm
	.section	.rodata,"a",@progbits
	.p2align	6, 0x0
	.amdhsa_kernel _ZN9rocsparseL18bsrxmvn_4x4_kernelILj128ELj8EdlidddEEvT3_20rocsparse_direction_NS_24const_host_device_scalarIT1_EES1_PKS1_PKT2_SA_S7_PKT4_PKT5_S5_PT6_21rocsparse_index_base_b
		.amdhsa_group_segment_fixed_size 0
		.amdhsa_private_segment_fixed_size 0
		.amdhsa_kernarg_size 96
		.amdhsa_user_sgpr_count 2
		.amdhsa_user_sgpr_dispatch_ptr 0
		.amdhsa_user_sgpr_queue_ptr 0
		.amdhsa_user_sgpr_kernarg_segment_ptr 1
		.amdhsa_user_sgpr_dispatch_id 0
		.amdhsa_user_sgpr_kernarg_preload_length 0
		.amdhsa_user_sgpr_kernarg_preload_offset 0
		.amdhsa_user_sgpr_private_segment_size 0
		.amdhsa_uses_dynamic_stack 0
		.amdhsa_enable_private_segment 0
		.amdhsa_system_sgpr_workgroup_id_x 1
		.amdhsa_system_sgpr_workgroup_id_y 0
		.amdhsa_system_sgpr_workgroup_id_z 0
		.amdhsa_system_sgpr_workgroup_info 0
		.amdhsa_system_vgpr_workitem_id 0
		.amdhsa_next_free_vgpr 101
		.amdhsa_next_free_sgpr 20
		.amdhsa_accum_offset 104
		.amdhsa_reserve_vcc 1
		.amdhsa_float_round_mode_32 0
		.amdhsa_float_round_mode_16_64 0
		.amdhsa_float_denorm_mode_32 3
		.amdhsa_float_denorm_mode_16_64 3
		.amdhsa_dx10_clamp 1
		.amdhsa_ieee_mode 1
		.amdhsa_fp16_overflow 0
		.amdhsa_tg_split 0
		.amdhsa_exception_fp_ieee_invalid_op 0
		.amdhsa_exception_fp_denorm_src 0
		.amdhsa_exception_fp_ieee_div_zero 0
		.amdhsa_exception_fp_ieee_overflow 0
		.amdhsa_exception_fp_ieee_underflow 0
		.amdhsa_exception_fp_ieee_inexact 0
		.amdhsa_exception_int_div_zero 0
	.end_amdhsa_kernel
	.section	.text._ZN9rocsparseL18bsrxmvn_4x4_kernelILj128ELj8EdlidddEEvT3_20rocsparse_direction_NS_24const_host_device_scalarIT1_EES1_PKS1_PKT2_SA_S7_PKT4_PKT5_S5_PT6_21rocsparse_index_base_b,"axG",@progbits,_ZN9rocsparseL18bsrxmvn_4x4_kernelILj128ELj8EdlidddEEvT3_20rocsparse_direction_NS_24const_host_device_scalarIT1_EES1_PKS1_PKT2_SA_S7_PKT4_PKT5_S5_PT6_21rocsparse_index_base_b,comdat
.Lfunc_end26:
	.size	_ZN9rocsparseL18bsrxmvn_4x4_kernelILj128ELj8EdlidddEEvT3_20rocsparse_direction_NS_24const_host_device_scalarIT1_EES1_PKS1_PKT2_SA_S7_PKT4_PKT5_S5_PT6_21rocsparse_index_base_b, .Lfunc_end26-_ZN9rocsparseL18bsrxmvn_4x4_kernelILj128ELj8EdlidddEEvT3_20rocsparse_direction_NS_24const_host_device_scalarIT1_EES1_PKS1_PKT2_SA_S7_PKT4_PKT5_S5_PT6_21rocsparse_index_base_b
                                        ; -- End function
	.set _ZN9rocsparseL18bsrxmvn_4x4_kernelILj128ELj8EdlidddEEvT3_20rocsparse_direction_NS_24const_host_device_scalarIT1_EES1_PKS1_PKT2_SA_S7_PKT4_PKT5_S5_PT6_21rocsparse_index_base_b.num_vgpr, 101
	.set _ZN9rocsparseL18bsrxmvn_4x4_kernelILj128ELj8EdlidddEEvT3_20rocsparse_direction_NS_24const_host_device_scalarIT1_EES1_PKS1_PKT2_SA_S7_PKT4_PKT5_S5_PT6_21rocsparse_index_base_b.num_agpr, 0
	.set _ZN9rocsparseL18bsrxmvn_4x4_kernelILj128ELj8EdlidddEEvT3_20rocsparse_direction_NS_24const_host_device_scalarIT1_EES1_PKS1_PKT2_SA_S7_PKT4_PKT5_S5_PT6_21rocsparse_index_base_b.numbered_sgpr, 20
	.set _ZN9rocsparseL18bsrxmvn_4x4_kernelILj128ELj8EdlidddEEvT3_20rocsparse_direction_NS_24const_host_device_scalarIT1_EES1_PKS1_PKT2_SA_S7_PKT4_PKT5_S5_PT6_21rocsparse_index_base_b.num_named_barrier, 0
	.set _ZN9rocsparseL18bsrxmvn_4x4_kernelILj128ELj8EdlidddEEvT3_20rocsparse_direction_NS_24const_host_device_scalarIT1_EES1_PKS1_PKT2_SA_S7_PKT4_PKT5_S5_PT6_21rocsparse_index_base_b.private_seg_size, 0
	.set _ZN9rocsparseL18bsrxmvn_4x4_kernelILj128ELj8EdlidddEEvT3_20rocsparse_direction_NS_24const_host_device_scalarIT1_EES1_PKS1_PKT2_SA_S7_PKT4_PKT5_S5_PT6_21rocsparse_index_base_b.uses_vcc, 1
	.set _ZN9rocsparseL18bsrxmvn_4x4_kernelILj128ELj8EdlidddEEvT3_20rocsparse_direction_NS_24const_host_device_scalarIT1_EES1_PKS1_PKT2_SA_S7_PKT4_PKT5_S5_PT6_21rocsparse_index_base_b.uses_flat_scratch, 0
	.set _ZN9rocsparseL18bsrxmvn_4x4_kernelILj128ELj8EdlidddEEvT3_20rocsparse_direction_NS_24const_host_device_scalarIT1_EES1_PKS1_PKT2_SA_S7_PKT4_PKT5_S5_PT6_21rocsparse_index_base_b.has_dyn_sized_stack, 0
	.set _ZN9rocsparseL18bsrxmvn_4x4_kernelILj128ELj8EdlidddEEvT3_20rocsparse_direction_NS_24const_host_device_scalarIT1_EES1_PKS1_PKT2_SA_S7_PKT4_PKT5_S5_PT6_21rocsparse_index_base_b.has_recursion, 0
	.set _ZN9rocsparseL18bsrxmvn_4x4_kernelILj128ELj8EdlidddEEvT3_20rocsparse_direction_NS_24const_host_device_scalarIT1_EES1_PKS1_PKT2_SA_S7_PKT4_PKT5_S5_PT6_21rocsparse_index_base_b.has_indirect_call, 0
	.section	.AMDGPU.csdata,"",@progbits
; Kernel info:
; codeLenInByte = 3516
; TotalNumSgprs: 26
; NumVgprs: 101
; NumAgprs: 0
; TotalNumVgprs: 101
; ScratchSize: 0
; MemoryBound: 1
; FloatMode: 240
; IeeeMode: 1
; LDSByteSize: 0 bytes/workgroup (compile time only)
; SGPRBlocks: 3
; VGPRBlocks: 12
; NumSGPRsForWavesPerEU: 26
; NumVGPRsForWavesPerEU: 101
; AccumOffset: 104
; Occupancy: 4
; WaveLimiterHint : 1
; COMPUTE_PGM_RSRC2:SCRATCH_EN: 0
; COMPUTE_PGM_RSRC2:USER_SGPR: 2
; COMPUTE_PGM_RSRC2:TRAP_HANDLER: 0
; COMPUTE_PGM_RSRC2:TGID_X_EN: 1
; COMPUTE_PGM_RSRC2:TGID_Y_EN: 0
; COMPUTE_PGM_RSRC2:TGID_Z_EN: 0
; COMPUTE_PGM_RSRC2:TIDIG_COMP_CNT: 0
; COMPUTE_PGM_RSRC3_GFX90A:ACCUM_OFFSET: 25
; COMPUTE_PGM_RSRC3_GFX90A:TG_SPLIT: 0
	.section	.text._ZN9rocsparseL18bsrxmvn_4x4_kernelILj128ELj16EdlidddEEvT3_20rocsparse_direction_NS_24const_host_device_scalarIT1_EES1_PKS1_PKT2_SA_S7_PKT4_PKT5_S5_PT6_21rocsparse_index_base_b,"axG",@progbits,_ZN9rocsparseL18bsrxmvn_4x4_kernelILj128ELj16EdlidddEEvT3_20rocsparse_direction_NS_24const_host_device_scalarIT1_EES1_PKS1_PKT2_SA_S7_PKT4_PKT5_S5_PT6_21rocsparse_index_base_b,comdat
	.globl	_ZN9rocsparseL18bsrxmvn_4x4_kernelILj128ELj16EdlidddEEvT3_20rocsparse_direction_NS_24const_host_device_scalarIT1_EES1_PKS1_PKT2_SA_S7_PKT4_PKT5_S5_PT6_21rocsparse_index_base_b ; -- Begin function _ZN9rocsparseL18bsrxmvn_4x4_kernelILj128ELj16EdlidddEEvT3_20rocsparse_direction_NS_24const_host_device_scalarIT1_EES1_PKS1_PKT2_SA_S7_PKT4_PKT5_S5_PT6_21rocsparse_index_base_b
	.p2align	8
	.type	_ZN9rocsparseL18bsrxmvn_4x4_kernelILj128ELj16EdlidddEEvT3_20rocsparse_direction_NS_24const_host_device_scalarIT1_EES1_PKS1_PKT2_SA_S7_PKT4_PKT5_S5_PT6_21rocsparse_index_base_b,@function
_ZN9rocsparseL18bsrxmvn_4x4_kernelILj128ELj16EdlidddEEvT3_20rocsparse_direction_NS_24const_host_device_scalarIT1_EES1_PKS1_PKT2_SA_S7_PKT4_PKT5_S5_PT6_21rocsparse_index_base_b: ; @_ZN9rocsparseL18bsrxmvn_4x4_kernelILj128ELj16EdlidddEEvT3_20rocsparse_direction_NS_24const_host_device_scalarIT1_EES1_PKS1_PKT2_SA_S7_PKT4_PKT5_S5_PT6_21rocsparse_index_base_b
; %bb.0:
	s_load_dwordx2 s[12:13], s[0:1], 0x58
	s_load_dwordx2 s[8:9], s[0:1], 0x8
	;; [unrolled: 1-line block ×3, first 2 shown]
	s_waitcnt lgkmcnt(0)
	s_bitcmp1_b32 s13, 0
	s_cselect_b64 s[10:11], -1, 0
	s_xor_b64 s[6:7], s[10:11], -1
	s_and_b64 vcc, exec, s[10:11]
	v_mov_b64_e32 v[42:43], s[8:9]
	s_cbranch_vccnz .LBB27_2
; %bb.1:
	v_mov_b64_e32 v[2:3], s[8:9]
	flat_load_dwordx2 v[42:43], v[2:3]
.LBB27_2:
	s_andn2_b64 vcc, exec, s[6:7]
	v_mov_b64_e32 v[40:41], s[4:5]
	s_cbranch_vccnz .LBB27_4
; %bb.3:
	v_mov_b64_e32 v[2:3], s[4:5]
	flat_load_dwordx2 v[40:41], v[2:3]
.LBB27_4:
	s_waitcnt vmcnt(0) lgkmcnt(0)
	v_cmp_neq_f64_e32 vcc, 0, v[42:43]
	v_cmp_neq_f64_e64 s[4:5], 1.0, v[40:41]
	s_mov_b64 s[6:7], 0
	s_or_b64 s[4:5], vcc, s[4:5]
	s_and_saveexec_b64 s[8:9], s[4:5]
	s_cbranch_execz .LBB27_10
; %bb.5:
	s_load_dwordx2 s[4:5], s[0:1], 0x18
	s_load_dwordx2 s[14:15], s[0:1], 0x0
	v_lshrrev_b32_e32 v1, 4, v0
	v_lshl_or_b32 v44, s2, 3, v1
	s_mov_b64 s[2:3], 0
	s_waitcnt lgkmcnt(0)
	s_cmp_lg_u64 s[4:5], 0
	s_cbranch_scc0 .LBB27_11
; %bb.6:
	s_load_dword s6, s[0:1], 0x10
                                        ; implicit-def: $vgpr1
	s_waitcnt lgkmcnt(0)
	v_cmp_gt_i32_e32 vcc, s6, v44
	s_and_saveexec_b64 s[6:7], vcc
	s_xor_b64 s[6:7], exec, s[6:7]
	s_cbranch_execz .LBB27_8
; %bb.7:
	v_ashrrev_i32_e32 v45, 31, v44
	v_lshl_add_u64 v[2:3], v[44:45], 2, s[4:5]
	global_load_dword v1, v[2:3], off
	s_mov_b64 s[2:3], exec
	s_waitcnt vmcnt(0)
	v_subrev_u32_e32 v1, s12, v1
.LBB27_8:
	s_or_b64 exec, exec, s[6:7]
	s_mov_b64 s[6:7], s[2:3]
	s_branch .LBB27_12
.LBB27_9:
	v_cmp_gt_i32_e32 vcc, s14, v44
	s_andn2_b64 s[2:3], s[6:7], exec
	s_and_b64 s[4:5], vcc, exec
	s_or_b64 s[6:7], s[2:3], s[4:5]
	s_and_b64 exec, exec, s[6:7]
	s_cbranch_execnz .LBB27_13
.LBB27_10:
	s_endpgm
.LBB27_11:
                                        ; implicit-def: $vgpr1
	s_cbranch_execnz .LBB27_9
.LBB27_12:
	v_mov_b32_e32 v44, v1
	s_and_b64 exec, exec, s[6:7]
	s_cbranch_execz .LBB27_10
.LBB27_13:
	s_load_dwordx8 s[4:11], s[0:1], 0x20
	v_ashrrev_i32_e32 v45, 31, v44
	v_lshlrev_b64 v[2:3], 3, v[44:45]
	v_and_b32_e32 v46, 15, v0
	v_mov_b32_e32 v47, 0
	s_waitcnt lgkmcnt(0)
	v_lshl_add_u64 v[4:5], s[4:5], 0, v[2:3]
	s_cmp_eq_u64 s[6:7], 0
	v_lshl_add_u64 v[2:3], s[6:7], 0, v[2:3]
	global_load_dwordx2 v[62:63], v[4:5], off
	v_lshl_add_u64 v[4:5], v[4:5], 0, 8
	s_cselect_b64 vcc, -1, 0
	v_cndmask_b32_e32 v3, v3, v5, vcc
	v_cndmask_b32_e32 v2, v2, v4, vcc
	global_load_dwordx2 v[2:3], v[2:3], off
	s_load_dwordx2 s[4:5], s[0:1], 0x40
	s_cmp_eq_u32 s15, 1
	s_waitcnt vmcnt(1)
	v_subrev_co_u32_e32 v0, vcc, s12, v62
	s_nop 1
	v_subbrev_co_u32_e32 v1, vcc, 0, v63, vcc
	v_lshl_add_u64 v[48:49], v[0:1], 0, v[46:47]
	s_waitcnt vmcnt(0)
	v_subrev_co_u32_e32 v50, vcc, s12, v2
	v_lshlrev_b64 v[0:1], 7, v[48:49]
	s_nop 0
	v_subbrev_co_u32_e32 v51, vcc, 0, v3, vcc
	v_lshl_add_u64 v[52:53], s[10:11], 0, v[0:1]
	v_cmp_lt_i64_e64 s[2:3], v[48:49], v[50:51]
	s_cbranch_scc1 .LBB27_25
; %bb.14:
	v_mov_b64_e32 v[54:55], 0
	v_mov_b64_e32 v[56:57], 0
	;; [unrolled: 1-line block ×4, first 2 shown]
	s_and_saveexec_b64 s[6:7], s[2:3]
	s_cbranch_execz .LBB27_24
; %bb.15:
	v_or_b32_e32 v0, 16, v46
	v_subrev_co_u32_e32 v0, vcc, s12, v0
	v_not_b32_e32 v3, v63
	s_nop 0
	v_subb_co_u32_e64 v1, s[10:11], 0, 0, vcc
	v_lshl_add_u64 v[0:1], v[0:1], 0, v[62:63]
	v_cmp_gt_i64_e32 vcc, v[0:1], v[50:51]
	v_not_b32_e32 v2, v62
	v_mov_b64_e32 v[60:61], 0
	v_cndmask_b32_e32 v1, v51, v1, vcc
	v_cndmask_b32_e32 v0, v50, v0, vcc
	v_sub_co_u32_e32 v4, vcc, s12, v46
	v_mov_b64_e32 v[58:59], 0
	s_nop 0
	v_subb_co_u32_e64 v5, s[10:11], 0, 0, vcc
	v_lshl_add_u64 v[2:3], v[4:5], 0, v[2:3]
	v_lshl_add_u64 v[0:1], v[2:3], 0, v[0:1]
	v_and_b32_e32 v2, 48, v0
	v_mov_b32_e32 v3, 0
	v_cmp_ne_u64_e32 vcc, 48, v[2:3]
	v_mov_b64_e32 v[56:57], 0
	v_mov_b64_e32 v[54:55], 0
	v_mov_b64_e32 v[64:65], v[48:49]
	v_mov_b64_e32 v[66:67], v[52:53]
	s_and_saveexec_b64 s[10:11], vcc
	s_cbranch_execz .LBB27_19
; %bb.16:
	v_lshrrev_b32_e32 v2, 4, v0
	v_add_u32_e32 v2, 1, v2
	v_and_b32_e32 v4, 3, v2
	v_sub_co_u32_e32 v4, vcc, 0, v4
	v_lshl_add_u64 v[2:3], v[48:49], 2, s[8:9]
	s_nop 0
	v_subb_co_u32_e64 v5, s[16:17], 0, 0, vcc
	s_mov_b64 s[14:15], 0
	v_mov_b64_e32 v[54:55], 0
	s_mov_b64 s[16:17], 0x800
	v_mov_b64_e32 v[66:67], v[52:53]
	v_mov_b64_e32 v[64:65], v[48:49]
	;; [unrolled: 1-line block ×5, first 2 shown]
.LBB27_17:                              ; =>This Inner Loop Header: Depth=1
	global_load_dword v38, v[2:3], off
	global_load_dwordx4 v[6:9], v[66:67], off offset:48
	global_load_dwordx4 v[10:13], v[66:67], off offset:32
	;; [unrolled: 1-line block ×3, first 2 shown]
	global_load_dwordx4 v[18:21], v[66:67], off
	global_load_dwordx4 v[22:25], v[66:67], off offset:112
	global_load_dwordx4 v[26:29], v[66:67], off offset:96
	;; [unrolled: 1-line block ×4, first 2 shown]
	v_lshl_add_u64 v[4:5], v[4:5], 0, 1
	v_cmp_eq_u64_e32 vcc, 0, v[4:5]
	v_lshl_add_u64 v[66:67], v[66:67], 0, s[16:17]
	v_lshl_add_u64 v[64:65], v[64:65], 0, 16
	;; [unrolled: 1-line block ×3, first 2 shown]
	s_or_b64 s[14:15], vcc, s[14:15]
	s_waitcnt vmcnt(8)
	v_subrev_u32_e32 v38, s12, v38
	v_lshlrev_b32_e32 v38, 2, v38
	v_ashrrev_i32_e32 v39, 31, v38
	s_waitcnt lgkmcnt(0)
	v_lshl_add_u64 v[38:39], v[38:39], 3, s[4:5]
	global_load_dwordx4 v[68:71], v[38:39], off
	global_load_dwordx4 v[72:75], v[38:39], off offset:16
	s_waitcnt vmcnt(1)
	v_fmac_f64_e32 v[60:61], v[18:19], v[68:69]
	v_fmac_f64_e32 v[58:59], v[10:11], v[68:69]
	;; [unrolled: 1-line block ×8, first 2 shown]
	s_waitcnt vmcnt(0)
	v_fmac_f64_e32 v[60:61], v[14:15], v[72:73]
	v_fmac_f64_e32 v[58:59], v[6:7], v[72:73]
	;; [unrolled: 1-line block ×8, first 2 shown]
	s_andn2_b64 exec, exec, s[14:15]
	s_cbranch_execnz .LBB27_17
; %bb.18:
	s_or_b64 exec, exec, s[14:15]
.LBB27_19:
	s_or_b64 exec, exec, s[10:11]
	v_cmp_lt_u64_e32 vcc, 47, v[0:1]
	s_and_saveexec_b64 s[10:11], vcc
	s_cbranch_execz .LBB27_23
; %bb.20:
	v_lshl_add_u64 v[0:1], v[64:65], 2, s[8:9]
	s_mov_b64 s[14:15], 0x80
	v_lshl_add_u64 v[68:69], v[0:1], 0, s[14:15]
	s_mov_b64 s[14:15], 0
	s_mov_b64 s[16:17], 0x1000
	s_movk_i32 s13, 0x1000
	s_mov_b64 s[18:19], 0x100
	s_mov_b64 s[20:21], 0x2000
.LBB27_21:                              ; =>This Inner Loop Header: Depth=1
	global_load_dword v45, v[68:69], off offset:-128
	global_load_dwordx4 v[4:7], v[66:67], off offset:48
	global_load_dwordx4 v[20:23], v[66:67], off offset:32
	;; [unrolled: 1-line block ×3, first 2 shown]
	global_load_dwordx4 v[70:73], v[66:67], off
	global_load_dwordx4 v[28:31], v[66:67], off offset:112
	global_load_dwordx4 v[74:77], v[66:67], off offset:96
	;; [unrolled: 1-line block ×11, first 2 shown]
	v_lshl_add_u64 v[96:97], v[66:67], 0, s[16:17]
	v_add_co_u32_e32 v98, vcc, s13, v66
	v_lshl_add_u64 v[64:65], v[64:65], 0, 64
	s_nop 0
	v_addc_co_u32_e32 v99, vcc, 0, v67, vcc
	v_cmp_ge_i64_e32 vcc, v[64:65], v[50:51]
	s_or_b64 s[14:15], vcc, s[14:15]
	s_waitcnt vmcnt(15)
	v_subrev_u32_e32 v45, s12, v45
	v_lshlrev_b32_e32 v90, 2, v45
	v_ashrrev_i32_e32 v91, 31, v90
	s_waitcnt lgkmcnt(0)
	v_lshl_add_u64 v[94:95], v[90:91], 3, s[4:5]
	global_load_dwordx4 v[90:93], v[94:95], off
	global_load_dword v45, v[68:69], off offset:-64
	s_waitcnt vmcnt(1)
	v_fmac_f64_e32 v[60:61], v[70:71], v[90:91]
	v_fmac_f64_e32 v[58:59], v[20:21], v[90:91]
	v_fmac_f64_e32 v[56:57], v[78:79], v[90:91]
	v_fmac_f64_e32 v[54:55], v[74:75], v[90:91]
	v_fmac_f64_e32 v[60:61], v[72:73], v[92:93]
	global_load_dwordx4 v[70:73], v[66:67], off offset:2112
	v_fmac_f64_e32 v[58:59], v[22:23], v[92:93]
	global_load_dword v47, v[68:69], off
	global_load_dword v100, v[68:69], off offset:64
	v_fmac_f64_e32 v[56:57], v[80:81], v[92:93]
	global_load_dwordx4 v[20:23], v[96:97], off offset:48
	v_fmac_f64_e32 v[54:55], v[76:77], v[92:93]
	global_load_dwordx4 v[74:77], v[96:97], off offset:32
	global_load_dwordx4 v[78:81], v[94:95], off offset:16
	s_waitcnt vmcnt(6)
	v_subrev_u32_e32 v45, s12, v45
	v_lshl_add_u64 v[68:69], v[68:69], 0, s[18:19]
	v_lshl_add_u64 v[66:67], v[66:67], 0, s[20:21]
	s_waitcnt vmcnt(0)
	v_fmac_f64_e32 v[60:61], v[12:13], v[78:79]
	v_fmac_f64_e32 v[58:59], v[4:5], v[78:79]
	;; [unrolled: 1-line block ×4, first 2 shown]
	v_lshlrev_b32_e32 v78, 2, v45
	v_ashrrev_i32_e32 v79, 31, v78
	v_lshl_add_u64 v[90:91], v[78:79], 3, s[4:5]
	v_fmac_f64_e32 v[60:61], v[14:15], v[80:81]
	v_fmac_f64_e32 v[58:59], v[6:7], v[80:81]
	;; [unrolled: 1-line block ×4, first 2 shown]
	global_load_dwordx4 v[78:81], v[90:91], off
	global_load_dwordx4 v[12:15], v[96:97], off offset:16
	global_load_dwordx4 v[4:7], v[96:97], off offset:112
	;; [unrolled: 1-line block ×4, first 2 shown]
	v_subrev_u32_e32 v45, s12, v47
	s_waitcnt vmcnt(4)
	v_fmac_f64_e32 v[60:61], v[82:83], v[78:79]
	v_fmac_f64_e32 v[58:59], v[36:37], v[78:79]
	;; [unrolled: 1-line block ×5, first 2 shown]
	global_load_dwordx4 v[82:85], v[96:97], off offset:64
	v_fmac_f64_e32 v[58:59], v[38:39], v[80:81]
	global_load_dwordx4 v[36:39], v[96:97], off offset:2096
	v_fmac_f64_e32 v[56:57], v[72:73], v[80:81]
	;; [unrolled: 2-line block ×3, first 2 shown]
	global_load_dwordx4 v[78:81], v[96:97], off offset:2064
	global_load_dwordx4 v[86:89], v[90:91], off offset:16
	v_lshlrev_b32_e32 v90, 2, v45
	v_ashrrev_i32_e32 v91, 31, v90
	v_lshl_add_u64 v[94:95], v[90:91], 3, s[4:5]
	v_subrev_u32_e32 v45, s12, v100
	s_waitcnt vmcnt(0)
	v_fmac_f64_e32 v[60:61], v[24:25], v[86:87]
	v_fmac_f64_e32 v[58:59], v[0:1], v[86:87]
	;; [unrolled: 1-line block ×5, first 2 shown]
	global_load_dwordx4 v[24:27], v[96:97], off offset:2048
	v_fmac_f64_e32 v[58:59], v[2:3], v[88:89]
	global_load_dwordx4 v[0:3], v[96:97], off offset:2160
	v_fmac_f64_e32 v[56:57], v[18:19], v[88:89]
	;; [unrolled: 2-line block ×3, first 2 shown]
	global_load_dwordx4 v[8:11], v[96:97], off offset:2112
	global_load_dwordx4 v[86:89], v[98:99], off
	global_load_dwordx4 v[90:93], v[94:95], off
	s_waitcnt vmcnt(0)
	v_fmac_f64_e32 v[60:61], v[86:87], v[90:91]
	v_fmac_f64_e32 v[58:59], v[74:75], v[90:91]
	;; [unrolled: 1-line block ×3, first 2 shown]
	global_load_dwordx4 v[86:89], v[96:97], off offset:2128
	v_lshlrev_b32_e32 v96, 2, v45
	v_fmac_f64_e32 v[58:59], v[76:77], v[92:93]
	global_load_dwordx4 v[74:77], v[94:95], off offset:16
	v_ashrrev_i32_e32 v97, 31, v96
	v_lshl_add_u64 v[98:99], v[96:97], 3, s[4:5]
	v_fmac_f64_e32 v[56:57], v[82:83], v[90:91]
	v_fmac_f64_e32 v[56:57], v[84:85], v[92:93]
	global_load_dwordx4 v[82:85], v[98:99], off
	global_load_dwordx4 v[94:97], v[98:99], off offset:16
	v_fmac_f64_e32 v[54:55], v[32:33], v[90:91]
	v_fmac_f64_e32 v[54:55], v[34:35], v[92:93]
	s_waitcnt vmcnt(2)
	v_fmac_f64_e32 v[60:61], v[12:13], v[74:75]
	v_fmac_f64_e32 v[58:59], v[20:21], v[74:75]
	v_fmac_f64_e32 v[56:57], v[28:29], v[74:75]
	v_fmac_f64_e32 v[54:55], v[4:5], v[74:75]
	v_fmac_f64_e32 v[60:61], v[14:15], v[76:77]
	v_fmac_f64_e32 v[58:59], v[22:23], v[76:77]
	v_fmac_f64_e32 v[56:57], v[30:31], v[76:77]
	v_fmac_f64_e32 v[54:55], v[6:7], v[76:77]
	s_waitcnt vmcnt(1)
	v_fmac_f64_e32 v[60:61], v[24:25], v[82:83]
	v_fmac_f64_e32 v[58:59], v[70:71], v[82:83]
	v_fmac_f64_e32 v[56:57], v[8:9], v[82:83]
	v_fmac_f64_e32 v[54:55], v[16:17], v[82:83]
	v_fmac_f64_e32 v[60:61], v[26:27], v[84:85]
	v_fmac_f64_e32 v[58:59], v[72:73], v[84:85]
	v_fmac_f64_e32 v[56:57], v[10:11], v[84:85]
	v_fmac_f64_e32 v[54:55], v[18:19], v[84:85]
	s_waitcnt vmcnt(0)
	v_fmac_f64_e32 v[60:61], v[78:79], v[94:95]
	v_fmac_f64_e32 v[58:59], v[36:37], v[94:95]
	v_fmac_f64_e32 v[56:57], v[86:87], v[94:95]
	v_fmac_f64_e32 v[54:55], v[0:1], v[94:95]
	v_fmac_f64_e32 v[60:61], v[80:81], v[96:97]
	v_fmac_f64_e32 v[58:59], v[38:39], v[96:97]
	v_fmac_f64_e32 v[56:57], v[88:89], v[96:97]
	v_fmac_f64_e32 v[54:55], v[2:3], v[96:97]
	s_andn2_b64 exec, exec, s[14:15]
	s_cbranch_execnz .LBB27_21
; %bb.22:
	s_or_b64 exec, exec, s[14:15]
.LBB27_23:
	s_or_b64 exec, exec, s[10:11]
.LBB27_24:
	s_or_b64 exec, exec, s[6:7]
	s_cbranch_execz .LBB27_26
	s_branch .LBB27_37
.LBB27_25:
                                        ; implicit-def: $vgpr54_vgpr55
                                        ; implicit-def: $vgpr56_vgpr57
                                        ; implicit-def: $vgpr58_vgpr59
                                        ; implicit-def: $vgpr60_vgpr61
.LBB27_26:
	v_mov_b64_e32 v[54:55], 0
	v_mov_b64_e32 v[56:57], 0
	v_mov_b64_e32 v[58:59], 0
	v_mov_b64_e32 v[60:61], 0
	s_and_saveexec_b64 s[6:7], s[2:3]
	s_cbranch_execz .LBB27_36
; %bb.27:
	v_or_b32_e32 v0, 16, v46
	v_subrev_co_u32_e32 v0, vcc, s12, v0
	v_not_b32_e32 v3, v63
	s_nop 0
	v_subb_co_u32_e64 v1, s[2:3], 0, 0, vcc
	v_lshl_add_u64 v[0:1], v[0:1], 0, v[62:63]
	v_cmp_gt_i64_e32 vcc, v[0:1], v[50:51]
	v_not_b32_e32 v2, v62
	v_mov_b64_e32 v[60:61], 0
	v_cndmask_b32_e32 v1, v51, v1, vcc
	v_cndmask_b32_e32 v0, v50, v0, vcc
	v_sub_co_u32_e32 v4, vcc, s12, v46
	v_mov_b64_e32 v[58:59], 0
	s_nop 0
	v_subb_co_u32_e64 v5, s[2:3], 0, 0, vcc
	v_lshl_add_u64 v[2:3], v[4:5], 0, v[2:3]
	v_lshl_add_u64 v[0:1], v[2:3], 0, v[0:1]
	v_and_b32_e32 v2, 48, v0
	v_mov_b32_e32 v3, 0
	v_cmp_ne_u64_e32 vcc, 48, v[2:3]
	v_mov_b64_e32 v[56:57], 0
	v_mov_b64_e32 v[54:55], 0
	s_and_saveexec_b64 s[2:3], vcc
	s_cbranch_execz .LBB27_31
; %bb.28:
	v_lshrrev_b32_e32 v2, 4, v0
	v_add_u32_e32 v2, 1, v2
	v_and_b32_e32 v4, 3, v2
	v_sub_co_u32_e32 v4, vcc, 0, v4
	v_lshl_add_u64 v[2:3], v[48:49], 2, s[8:9]
	s_nop 0
	v_subb_co_u32_e64 v5, s[14:15], 0, 0, vcc
	s_mov_b64 s[10:11], 0
	v_mov_b64_e32 v[54:55], 0
	s_mov_b64 s[14:15], 0x800
	v_mov_b64_e32 v[56:57], 0
	v_mov_b64_e32 v[58:59], 0
	;; [unrolled: 1-line block ×3, first 2 shown]
.LBB27_29:                              ; =>This Inner Loop Header: Depth=1
	global_load_dword v30, v[2:3], off
	global_load_dwordx4 v[6:9], v[52:53], off offset:48
	global_load_dwordx4 v[10:13], v[52:53], off offset:32
	;; [unrolled: 1-line block ×3, first 2 shown]
	global_load_dwordx4 v[18:21], v[52:53], off
	global_load_dwordx4 v[22:25], v[52:53], off offset:80
	global_load_dwordx4 v[26:29], v[52:53], off offset:64
	v_lshl_add_u64 v[4:5], v[4:5], 0, 1
	v_cmp_eq_u64_e32 vcc, 0, v[4:5]
	v_lshl_add_u64 v[48:49], v[48:49], 0, 16
	v_lshl_add_u64 v[2:3], v[2:3], 0, 64
	s_or_b64 s[10:11], vcc, s[10:11]
	s_waitcnt vmcnt(6)
	v_subrev_u32_e32 v30, s12, v30
	v_lshlrev_b32_e32 v30, 2, v30
	v_ashrrev_i32_e32 v31, 31, v30
	s_waitcnt lgkmcnt(0)
	v_lshl_add_u64 v[38:39], v[30:31], 3, s[4:5]
	global_load_dwordx4 v[30:33], v[38:39], off
	global_load_dwordx4 v[34:37], v[38:39], off offset:16
	global_load_dwordx4 v[62:65], v[52:53], off offset:96
	;; [unrolled: 1-line block ×3, first 2 shown]
	v_lshl_add_u64 v[52:53], v[52:53], 0, s[14:15]
	s_waitcnt vmcnt(3)
	v_fmac_f64_e32 v[60:61], v[18:19], v[30:31]
	v_fmac_f64_e32 v[58:59], v[20:21], v[30:31]
	;; [unrolled: 1-line block ×8, first 2 shown]
	s_waitcnt vmcnt(2)
	v_fmac_f64_e32 v[60:61], v[26:27], v[34:35]
	v_fmac_f64_e32 v[58:59], v[28:29], v[34:35]
	;; [unrolled: 1-line block ×4, first 2 shown]
	s_waitcnt vmcnt(1)
	v_fmac_f64_e32 v[60:61], v[62:63], v[36:37]
	v_fmac_f64_e32 v[58:59], v[64:65], v[36:37]
	s_waitcnt vmcnt(0)
	v_fmac_f64_e32 v[56:57], v[66:67], v[36:37]
	v_fmac_f64_e32 v[54:55], v[68:69], v[36:37]
	s_andn2_b64 exec, exec, s[10:11]
	s_cbranch_execnz .LBB27_29
; %bb.30:
	s_or_b64 exec, exec, s[10:11]
.LBB27_31:
	s_or_b64 exec, exec, s[2:3]
	v_cmp_lt_u64_e32 vcc, 47, v[0:1]
	s_and_saveexec_b64 s[2:3], vcc
	s_cbranch_execz .LBB27_35
; %bb.32:
	v_lshl_add_u64 v[0:1], v[48:49], 2, s[8:9]
	s_mov_b64 s[8:9], 0x80
	v_lshl_add_u64 v[36:37], v[0:1], 0, s[8:9]
	s_mov_b64 s[8:9], 0
	s_mov_b64 s[10:11], 0x1000
	s_movk_i32 s13, 0x1000
	s_mov_b64 s[14:15], 0x100
	s_mov_b64 s[16:17], 0x2000
.LBB27_33:                              ; =>This Inner Loop Header: Depth=1
	global_load_dword v38, v[36:37], off offset:-128
	global_load_dwordx4 v[0:3], v[52:53], off offset:48
	global_load_dwordx4 v[4:7], v[52:53], off offset:32
	;; [unrolled: 1-line block ×3, first 2 shown]
	global_load_dwordx4 v[12:15], v[52:53], off
	global_load_dwordx4 v[16:19], v[52:53], off offset:112
	global_load_dwordx4 v[24:27], v[52:53], off offset:96
	;; [unrolled: 1-line block ×8, first 2 shown]
	global_load_dword v45, v[36:37], off offset:-64
	global_load_dword v47, v[36:37], off
	global_load_dword v82, v[36:37], off offset:64
	v_add_co_u32_e32 v78, vcc, s13, v52
	v_lshl_add_u64 v[86:87], v[52:53], 0, s[10:11]
	s_nop 0
	v_addc_co_u32_e32 v79, vcc, 0, v53, vcc
	v_lshl_add_u64 v[48:49], v[48:49], 0, 64
	v_cmp_ge_i64_e32 vcc, v[48:49], v[50:51]
	v_lshl_add_u64 v[36:37], v[36:37], 0, s[14:15]
	s_or_b64 s[8:9], vcc, s[8:9]
	s_waitcnt vmcnt(15)
	v_subrev_u32_e32 v38, s12, v38
	v_lshlrev_b32_e32 v38, 2, v38
	v_ashrrev_i32_e32 v39, 31, v38
	s_waitcnt lgkmcnt(0)
	v_lshl_add_u64 v[38:39], v[38:39], 3, s[4:5]
	global_load_dwordx4 v[74:77], v[38:39], off
	s_waitcnt vmcnt(0)
	v_fmac_f64_e32 v[56:57], v[8:9], v[74:75]
	v_fmac_f64_e32 v[54:55], v[10:11], v[74:75]
	;; [unrolled: 1-line block ×4, first 2 shown]
	global_load_dwordx4 v[0:3], v[38:39], off offset:16
	v_fmac_f64_e32 v[60:61], v[12:13], v[74:75]
	v_fmac_f64_e32 v[58:59], v[14:15], v[74:75]
	;; [unrolled: 1-line block ×4, first 2 shown]
	global_load_dwordx4 v[12:15], v[52:53], off offset:2160
	global_load_dwordx4 v[8:11], v[52:53], off offset:2144
	;; [unrolled: 1-line block ×4, first 2 shown]
	v_lshl_add_u64 v[52:53], v[52:53], 0, s[16:17]
	s_waitcnt vmcnt(4)
	v_fmac_f64_e32 v[60:61], v[62:63], v[0:1]
	v_fmac_f64_e32 v[58:59], v[64:65], v[0:1]
	;; [unrolled: 1-line block ×4, first 2 shown]
	v_subrev_u32_e32 v0, s12, v45
	v_lshlrev_b32_e32 v0, 2, v0
	v_ashrrev_i32_e32 v1, 31, v0
	v_lshl_add_u64 v[38:39], v[0:1], 3, s[4:5]
	global_load_dwordx4 v[62:65], v[78:79], off
	v_fmac_f64_e32 v[56:57], v[16:17], v[2:3]
	v_fmac_f64_e32 v[54:55], v[18:19], v[2:3]
	global_load_dwordx4 v[16:19], v[86:87], off offset:16
	global_load_dwordx4 v[78:81], v[38:39], off
	v_fmac_f64_e32 v[60:61], v[24:25], v[2:3]
	v_fmac_f64_e32 v[58:59], v[26:27], v[2:3]
	global_load_dwordx4 v[28:31], v[86:87], off offset:48
	global_load_dwordx4 v[24:27], v[86:87], off offset:32
	;; [unrolled: 1-line block ×3, first 2 shown]
	s_waitcnt vmcnt(3)
	v_fmac_f64_e32 v[60:61], v[70:71], v[78:79]
	v_fmac_f64_e32 v[58:59], v[72:73], v[78:79]
	;; [unrolled: 1-line block ×4, first 2 shown]
	global_load_dwordx4 v[66:69], v[86:87], off offset:96
	v_fmac_f64_e32 v[60:61], v[32:33], v[80:81]
	v_fmac_f64_e32 v[58:59], v[34:35], v[80:81]
	global_load_dwordx4 v[32:35], v[86:87], off offset:80
	v_fmac_f64_e32 v[56:57], v[20:21], v[80:81]
	v_fmac_f64_e32 v[54:55], v[22:23], v[80:81]
	global_load_dwordx4 v[20:23], v[86:87], off offset:64
	global_load_dwordx4 v[70:73], v[86:87], off offset:2096
	;; [unrolled: 1-line block ×3, first 2 shown]
	v_subrev_u32_e32 v38, s12, v47
	s_waitcnt vmcnt(0)
	v_fmac_f64_e32 v[56:57], v[4:5], v[78:79]
	v_fmac_f64_e32 v[56:57], v[12:13], v[80:81]
	v_lshlrev_b32_e32 v12, 2, v38
	v_ashrrev_i32_e32 v13, 31, v12
	v_fmac_f64_e32 v[54:55], v[6:7], v[78:79]
	v_lshl_add_u64 v[38:39], v[12:13], 3, s[4:5]
	v_fmac_f64_e32 v[54:55], v[14:15], v[80:81]
	global_load_dwordx4 v[12:15], v[38:39], off
	v_fmac_f64_e32 v[60:61], v[74:75], v[78:79]
	v_fmac_f64_e32 v[58:59], v[76:77], v[78:79]
	;; [unrolled: 1-line block ×4, first 2 shown]
	global_load_dwordx4 v[78:81], v[38:39], off offset:16
	global_load_dwordx4 v[4:7], v[86:87], off offset:2064
	;; [unrolled: 1-line block ×4, first 2 shown]
	s_waitcnt vmcnt(4)
	v_fmac_f64_e32 v[60:61], v[62:63], v[12:13]
	v_fmac_f64_e32 v[58:59], v[64:65], v[12:13]
	;; [unrolled: 1-line block ×4, first 2 shown]
	v_subrev_u32_e32 v12, s12, v82
	v_lshlrev_b32_e32 v12, 2, v12
	global_load_dwordx4 v[62:65], v[86:87], off offset:2048
	v_ashrrev_i32_e32 v13, 31, v12
	v_lshl_add_u64 v[88:89], v[12:13], 3, s[4:5]
	global_load_dwordx4 v[16:19], v[86:87], off offset:2128
	v_fmac_f64_e32 v[60:61], v[24:25], v[14:15]
	v_fmac_f64_e32 v[58:59], v[26:27], v[14:15]
	global_load_dwordx4 v[24:27], v[86:87], off offset:2112
	v_fmac_f64_e32 v[56:57], v[28:29], v[14:15]
	v_fmac_f64_e32 v[54:55], v[30:31], v[14:15]
	global_load_dwordx4 v[12:15], v[88:89], off
	global_load_dwordx4 v[28:31], v[88:89], off offset:16
	global_load_dwordx4 v[82:85], v[86:87], off offset:2144
	s_waitcnt vmcnt(9)
	v_fmac_f64_e32 v[60:61], v[20:21], v[78:79]
	v_fmac_f64_e32 v[58:59], v[22:23], v[78:79]
	;; [unrolled: 1-line block ×8, first 2 shown]
	s_waitcnt vmcnt(2)
	v_fmac_f64_e32 v[60:61], v[62:63], v[12:13]
	v_fmac_f64_e32 v[58:59], v[64:65], v[12:13]
	;; [unrolled: 1-line block ×8, first 2 shown]
	s_waitcnt vmcnt(1)
	v_fmac_f64_e32 v[60:61], v[24:25], v[28:29]
	v_fmac_f64_e32 v[58:59], v[26:27], v[28:29]
	;; [unrolled: 1-line block ×4, first 2 shown]
	s_waitcnt vmcnt(0)
	v_fmac_f64_e32 v[60:61], v[82:83], v[30:31]
	v_fmac_f64_e32 v[58:59], v[84:85], v[30:31]
	;; [unrolled: 1-line block ×4, first 2 shown]
	s_andn2_b64 exec, exec, s[8:9]
	s_cbranch_execnz .LBB27_33
; %bb.34:
	s_or_b64 exec, exec, s[8:9]
.LBB27_35:
	s_or_b64 exec, exec, s[2:3]
.LBB27_36:
	s_or_b64 exec, exec, s[6:7]
.LBB27_37:
	v_mov_b32_dpp v0, v60 row_shr:1 row_mask:0xf bank_mask:0xf
	v_mov_b32_dpp v1, v61 row_shr:1 row_mask:0xf bank_mask:0xf
	v_mov_b32_dpp v4, v58 row_shr:1 row_mask:0xf bank_mask:0xf
	v_mov_b32_dpp v5, v59 row_shr:1 row_mask:0xf bank_mask:0xf
	v_mov_b32_dpp v8, v56 row_shr:1 row_mask:0xf bank_mask:0xf
	v_mov_b32_dpp v9, v57 row_shr:1 row_mask:0xf bank_mask:0xf
	v_mov_b32_dpp v12, v54 row_shr:1 row_mask:0xf bank_mask:0xf
	v_mov_b32_dpp v13, v55 row_shr:1 row_mask:0xf bank_mask:0xf
	v_add_f64 v[0:1], v[60:61], v[0:1]
	v_add_f64 v[4:5], v[58:59], v[4:5]
	v_add_f64 v[8:9], v[56:57], v[8:9]
	v_add_f64 v[12:13], v[54:55], v[12:13]
	v_mov_b32_dpp v2, v0 row_shr:2 row_mask:0xf bank_mask:0xf
	v_mov_b32_dpp v3, v1 row_shr:2 row_mask:0xf bank_mask:0xf
	v_mov_b32_dpp v6, v4 row_shr:2 row_mask:0xf bank_mask:0xf
	v_mov_b32_dpp v7, v5 row_shr:2 row_mask:0xf bank_mask:0xf
	v_mov_b32_dpp v10, v8 row_shr:2 row_mask:0xf bank_mask:0xf
	v_mov_b32_dpp v11, v9 row_shr:2 row_mask:0xf bank_mask:0xf
	v_mov_b32_dpp v14, v12 row_shr:2 row_mask:0xf bank_mask:0xf
	v_mov_b32_dpp v15, v13 row_shr:2 row_mask:0xf bank_mask:0xf
	v_add_f64 v[0:1], v[0:1], v[2:3]
	v_add_f64 v[4:5], v[4:5], v[6:7]
	v_add_f64 v[8:9], v[8:9], v[10:11]
	v_add_f64 v[12:13], v[12:13], v[14:15]
	;; [unrolled: 12-line block ×3, first 2 shown]
	v_mov_b32_dpp v2, v0 row_shr:8 row_mask:0xf bank_mask:0xc
	v_mov_b32_dpp v3, v1 row_shr:8 row_mask:0xf bank_mask:0xc
	;; [unrolled: 1-line block ×8, first 2 shown]
	v_cmp_eq_u32_e32 vcc, 15, v46
	s_and_b64 exec, exec, vcc
	s_cbranch_execz .LBB27_10
; %bb.38:
	s_load_dwordx2 s[0:1], s[0:1], 0x50
	v_add_f64 v[0:1], v[0:1], v[2:3]
	v_add_f64 v[2:3], v[4:5], v[6:7]
	;; [unrolled: 1-line block ×4, first 2 shown]
	v_cmp_eq_f64_e32 vcc, 0, v[40:41]
	v_mul_f64 v[4:5], v[42:43], v[0:1]
	v_mul_f64 v[6:7], v[42:43], v[2:3]
	;; [unrolled: 1-line block ×4, first 2 shown]
	v_lshlrev_b32_e32 v8, 2, v44
	s_and_saveexec_b64 s[2:3], vcc
	s_xor_b64 s[2:3], exec, s[2:3]
	s_cbranch_execz .LBB27_40
; %bb.39:
	v_ashrrev_i32_e32 v9, 31, v8
	s_waitcnt lgkmcnt(0)
	v_lshl_add_u64 v[8:9], v[8:9], 3, s[0:1]
	global_store_dwordx4 v[8:9], v[4:7], off
	global_store_dwordx4 v[8:9], v[0:3], off offset:16
                                        ; implicit-def: $vgpr8
                                        ; implicit-def: $vgpr40_vgpr41
                                        ; implicit-def: $vgpr4_vgpr5
                                        ; implicit-def: $vgpr0_vgpr1
.LBB27_40:
	s_andn2_saveexec_b64 s[2:3], s[2:3]
	s_cbranch_execz .LBB27_10
; %bb.41:
	v_ashrrev_i32_e32 v9, 31, v8
	s_waitcnt lgkmcnt(0)
	v_lshl_add_u64 v[16:17], v[8:9], 3, s[0:1]
	global_load_dwordx4 v[8:11], v[16:17], off
	global_load_dwordx4 v[12:15], v[16:17], off offset:16
	s_waitcnt vmcnt(1)
	v_fmac_f64_e32 v[4:5], v[40:41], v[8:9]
	v_fmac_f64_e32 v[6:7], v[40:41], v[10:11]
	s_waitcnt vmcnt(0)
	v_fmac_f64_e32 v[0:1], v[40:41], v[12:13]
	v_fmac_f64_e32 v[2:3], v[40:41], v[14:15]
	global_store_dwordx4 v[16:17], v[4:7], off
	global_store_dwordx4 v[16:17], v[0:3], off offset:16
	s_endpgm
	.section	.rodata,"a",@progbits
	.p2align	6, 0x0
	.amdhsa_kernel _ZN9rocsparseL18bsrxmvn_4x4_kernelILj128ELj16EdlidddEEvT3_20rocsparse_direction_NS_24const_host_device_scalarIT1_EES1_PKS1_PKT2_SA_S7_PKT4_PKT5_S5_PT6_21rocsparse_index_base_b
		.amdhsa_group_segment_fixed_size 0
		.amdhsa_private_segment_fixed_size 0
		.amdhsa_kernarg_size 96
		.amdhsa_user_sgpr_count 2
		.amdhsa_user_sgpr_dispatch_ptr 0
		.amdhsa_user_sgpr_queue_ptr 0
		.amdhsa_user_sgpr_kernarg_segment_ptr 1
		.amdhsa_user_sgpr_dispatch_id 0
		.amdhsa_user_sgpr_kernarg_preload_length 0
		.amdhsa_user_sgpr_kernarg_preload_offset 0
		.amdhsa_user_sgpr_private_segment_size 0
		.amdhsa_uses_dynamic_stack 0
		.amdhsa_enable_private_segment 0
		.amdhsa_system_sgpr_workgroup_id_x 1
		.amdhsa_system_sgpr_workgroup_id_y 0
		.amdhsa_system_sgpr_workgroup_id_z 0
		.amdhsa_system_sgpr_workgroup_info 0
		.amdhsa_system_vgpr_workitem_id 0
		.amdhsa_next_free_vgpr 101
		.amdhsa_next_free_sgpr 22
		.amdhsa_accum_offset 104
		.amdhsa_reserve_vcc 1
		.amdhsa_float_round_mode_32 0
		.amdhsa_float_round_mode_16_64 0
		.amdhsa_float_denorm_mode_32 3
		.amdhsa_float_denorm_mode_16_64 3
		.amdhsa_dx10_clamp 1
		.amdhsa_ieee_mode 1
		.amdhsa_fp16_overflow 0
		.amdhsa_tg_split 0
		.amdhsa_exception_fp_ieee_invalid_op 0
		.amdhsa_exception_fp_denorm_src 0
		.amdhsa_exception_fp_ieee_div_zero 0
		.amdhsa_exception_fp_ieee_overflow 0
		.amdhsa_exception_fp_ieee_underflow 0
		.amdhsa_exception_fp_ieee_inexact 0
		.amdhsa_exception_int_div_zero 0
	.end_amdhsa_kernel
	.section	.text._ZN9rocsparseL18bsrxmvn_4x4_kernelILj128ELj16EdlidddEEvT3_20rocsparse_direction_NS_24const_host_device_scalarIT1_EES1_PKS1_PKT2_SA_S7_PKT4_PKT5_S5_PT6_21rocsparse_index_base_b,"axG",@progbits,_ZN9rocsparseL18bsrxmvn_4x4_kernelILj128ELj16EdlidddEEvT3_20rocsparse_direction_NS_24const_host_device_scalarIT1_EES1_PKS1_PKT2_SA_S7_PKT4_PKT5_S5_PT6_21rocsparse_index_base_b,comdat
.Lfunc_end27:
	.size	_ZN9rocsparseL18bsrxmvn_4x4_kernelILj128ELj16EdlidddEEvT3_20rocsparse_direction_NS_24const_host_device_scalarIT1_EES1_PKS1_PKT2_SA_S7_PKT4_PKT5_S5_PT6_21rocsparse_index_base_b, .Lfunc_end27-_ZN9rocsparseL18bsrxmvn_4x4_kernelILj128ELj16EdlidddEEvT3_20rocsparse_direction_NS_24const_host_device_scalarIT1_EES1_PKS1_PKT2_SA_S7_PKT4_PKT5_S5_PT6_21rocsparse_index_base_b
                                        ; -- End function
	.set _ZN9rocsparseL18bsrxmvn_4x4_kernelILj128ELj16EdlidddEEvT3_20rocsparse_direction_NS_24const_host_device_scalarIT1_EES1_PKS1_PKT2_SA_S7_PKT4_PKT5_S5_PT6_21rocsparse_index_base_b.num_vgpr, 101
	.set _ZN9rocsparseL18bsrxmvn_4x4_kernelILj128ELj16EdlidddEEvT3_20rocsparse_direction_NS_24const_host_device_scalarIT1_EES1_PKS1_PKT2_SA_S7_PKT4_PKT5_S5_PT6_21rocsparse_index_base_b.num_agpr, 0
	.set _ZN9rocsparseL18bsrxmvn_4x4_kernelILj128ELj16EdlidddEEvT3_20rocsparse_direction_NS_24const_host_device_scalarIT1_EES1_PKS1_PKT2_SA_S7_PKT4_PKT5_S5_PT6_21rocsparse_index_base_b.numbered_sgpr, 22
	.set _ZN9rocsparseL18bsrxmvn_4x4_kernelILj128ELj16EdlidddEEvT3_20rocsparse_direction_NS_24const_host_device_scalarIT1_EES1_PKS1_PKT2_SA_S7_PKT4_PKT5_S5_PT6_21rocsparse_index_base_b.num_named_barrier, 0
	.set _ZN9rocsparseL18bsrxmvn_4x4_kernelILj128ELj16EdlidddEEvT3_20rocsparse_direction_NS_24const_host_device_scalarIT1_EES1_PKS1_PKT2_SA_S7_PKT4_PKT5_S5_PT6_21rocsparse_index_base_b.private_seg_size, 0
	.set _ZN9rocsparseL18bsrxmvn_4x4_kernelILj128ELj16EdlidddEEvT3_20rocsparse_direction_NS_24const_host_device_scalarIT1_EES1_PKS1_PKT2_SA_S7_PKT4_PKT5_S5_PT6_21rocsparse_index_base_b.uses_vcc, 1
	.set _ZN9rocsparseL18bsrxmvn_4x4_kernelILj128ELj16EdlidddEEvT3_20rocsparse_direction_NS_24const_host_device_scalarIT1_EES1_PKS1_PKT2_SA_S7_PKT4_PKT5_S5_PT6_21rocsparse_index_base_b.uses_flat_scratch, 0
	.set _ZN9rocsparseL18bsrxmvn_4x4_kernelILj128ELj16EdlidddEEvT3_20rocsparse_direction_NS_24const_host_device_scalarIT1_EES1_PKS1_PKT2_SA_S7_PKT4_PKT5_S5_PT6_21rocsparse_index_base_b.has_dyn_sized_stack, 0
	.set _ZN9rocsparseL18bsrxmvn_4x4_kernelILj128ELj16EdlidddEEvT3_20rocsparse_direction_NS_24const_host_device_scalarIT1_EES1_PKS1_PKT2_SA_S7_PKT4_PKT5_S5_PT6_21rocsparse_index_base_b.has_recursion, 0
	.set _ZN9rocsparseL18bsrxmvn_4x4_kernelILj128ELj16EdlidddEEvT3_20rocsparse_direction_NS_24const_host_device_scalarIT1_EES1_PKS1_PKT2_SA_S7_PKT4_PKT5_S5_PT6_21rocsparse_index_base_b.has_indirect_call, 0
	.section	.AMDGPU.csdata,"",@progbits
; Kernel info:
; codeLenInByte = 3692
; TotalNumSgprs: 28
; NumVgprs: 101
; NumAgprs: 0
; TotalNumVgprs: 101
; ScratchSize: 0
; MemoryBound: 1
; FloatMode: 240
; IeeeMode: 1
; LDSByteSize: 0 bytes/workgroup (compile time only)
; SGPRBlocks: 3
; VGPRBlocks: 12
; NumSGPRsForWavesPerEU: 28
; NumVGPRsForWavesPerEU: 101
; AccumOffset: 104
; Occupancy: 4
; WaveLimiterHint : 1
; COMPUTE_PGM_RSRC2:SCRATCH_EN: 0
; COMPUTE_PGM_RSRC2:USER_SGPR: 2
; COMPUTE_PGM_RSRC2:TRAP_HANDLER: 0
; COMPUTE_PGM_RSRC2:TGID_X_EN: 1
; COMPUTE_PGM_RSRC2:TGID_Y_EN: 0
; COMPUTE_PGM_RSRC2:TGID_Z_EN: 0
; COMPUTE_PGM_RSRC2:TIDIG_COMP_CNT: 0
; COMPUTE_PGM_RSRC3_GFX90A:ACCUM_OFFSET: 25
; COMPUTE_PGM_RSRC3_GFX90A:TG_SPLIT: 0
	.section	.text._ZN9rocsparseL18bsrxmvn_4x4_kernelILj128ELj32EdlidddEEvT3_20rocsparse_direction_NS_24const_host_device_scalarIT1_EES1_PKS1_PKT2_SA_S7_PKT4_PKT5_S5_PT6_21rocsparse_index_base_b,"axG",@progbits,_ZN9rocsparseL18bsrxmvn_4x4_kernelILj128ELj32EdlidddEEvT3_20rocsparse_direction_NS_24const_host_device_scalarIT1_EES1_PKS1_PKT2_SA_S7_PKT4_PKT5_S5_PT6_21rocsparse_index_base_b,comdat
	.globl	_ZN9rocsparseL18bsrxmvn_4x4_kernelILj128ELj32EdlidddEEvT3_20rocsparse_direction_NS_24const_host_device_scalarIT1_EES1_PKS1_PKT2_SA_S7_PKT4_PKT5_S5_PT6_21rocsparse_index_base_b ; -- Begin function _ZN9rocsparseL18bsrxmvn_4x4_kernelILj128ELj32EdlidddEEvT3_20rocsparse_direction_NS_24const_host_device_scalarIT1_EES1_PKS1_PKT2_SA_S7_PKT4_PKT5_S5_PT6_21rocsparse_index_base_b
	.p2align	8
	.type	_ZN9rocsparseL18bsrxmvn_4x4_kernelILj128ELj32EdlidddEEvT3_20rocsparse_direction_NS_24const_host_device_scalarIT1_EES1_PKS1_PKT2_SA_S7_PKT4_PKT5_S5_PT6_21rocsparse_index_base_b,@function
_ZN9rocsparseL18bsrxmvn_4x4_kernelILj128ELj32EdlidddEEvT3_20rocsparse_direction_NS_24const_host_device_scalarIT1_EES1_PKS1_PKT2_SA_S7_PKT4_PKT5_S5_PT6_21rocsparse_index_base_b: ; @_ZN9rocsparseL18bsrxmvn_4x4_kernelILj128ELj32EdlidddEEvT3_20rocsparse_direction_NS_24const_host_device_scalarIT1_EES1_PKS1_PKT2_SA_S7_PKT4_PKT5_S5_PT6_21rocsparse_index_base_b
; %bb.0:
	s_load_dwordx2 s[12:13], s[0:1], 0x58
	s_load_dwordx2 s[8:9], s[0:1], 0x8
	;; [unrolled: 1-line block ×3, first 2 shown]
	s_waitcnt lgkmcnt(0)
	s_bitcmp1_b32 s13, 0
	s_cselect_b64 s[10:11], -1, 0
	s_xor_b64 s[6:7], s[10:11], -1
	s_and_b64 vcc, exec, s[10:11]
	v_mov_b64_e32 v[34:35], s[8:9]
	s_cbranch_vccnz .LBB28_2
; %bb.1:
	v_mov_b64_e32 v[2:3], s[8:9]
	flat_load_dwordx2 v[34:35], v[2:3]
.LBB28_2:
	s_andn2_b64 vcc, exec, s[6:7]
	v_mov_b64_e32 v[32:33], s[4:5]
	s_cbranch_vccnz .LBB28_4
; %bb.3:
	v_mov_b64_e32 v[2:3], s[4:5]
	flat_load_dwordx2 v[32:33], v[2:3]
.LBB28_4:
	s_waitcnt vmcnt(0) lgkmcnt(0)
	v_cmp_neq_f64_e32 vcc, 0, v[34:35]
	v_cmp_neq_f64_e64 s[4:5], 1.0, v[32:33]
	s_mov_b64 s[6:7], 0
	s_or_b64 s[4:5], vcc, s[4:5]
	s_and_saveexec_b64 s[8:9], s[4:5]
	s_cbranch_execz .LBB28_10
; %bb.5:
	s_load_dwordx2 s[4:5], s[0:1], 0x18
	s_load_dwordx2 s[14:15], s[0:1], 0x0
	v_lshrrev_b32_e32 v1, 5, v0
	v_lshl_or_b32 v36, s2, 2, v1
	s_mov_b64 s[2:3], 0
	s_waitcnt lgkmcnt(0)
	s_cmp_lg_u64 s[4:5], 0
	s_cbranch_scc0 .LBB28_11
; %bb.6:
	s_load_dword s6, s[0:1], 0x10
                                        ; implicit-def: $vgpr1
	s_waitcnt lgkmcnt(0)
	v_cmp_gt_i32_e32 vcc, s6, v36
	s_and_saveexec_b64 s[6:7], vcc
	s_xor_b64 s[6:7], exec, s[6:7]
	s_cbranch_execz .LBB28_8
; %bb.7:
	v_ashrrev_i32_e32 v37, 31, v36
	v_lshl_add_u64 v[2:3], v[36:37], 2, s[4:5]
	global_load_dword v1, v[2:3], off
	s_mov_b64 s[2:3], exec
	s_waitcnt vmcnt(0)
	v_subrev_u32_e32 v1, s12, v1
.LBB28_8:
	s_or_b64 exec, exec, s[6:7]
	s_mov_b64 s[6:7], s[2:3]
	s_branch .LBB28_12
.LBB28_9:
	v_cmp_gt_i32_e32 vcc, s14, v36
	s_andn2_b64 s[2:3], s[6:7], exec
	s_and_b64 s[4:5], vcc, exec
	s_or_b64 s[6:7], s[2:3], s[4:5]
	s_and_b64 exec, exec, s[6:7]
	s_cbranch_execnz .LBB28_13
.LBB28_10:
	s_endpgm
.LBB28_11:
                                        ; implicit-def: $vgpr1
	s_cbranch_execnz .LBB28_9
.LBB28_12:
	v_mov_b32_e32 v36, v1
	s_and_b64 exec, exec, s[6:7]
	s_cbranch_execz .LBB28_10
.LBB28_13:
	s_load_dwordx8 s[4:11], s[0:1], 0x20
	v_ashrrev_i32_e32 v37, 31, v36
	v_lshlrev_b64 v[2:3], 3, v[36:37]
	v_and_b32_e32 v38, 31, v0
	v_mov_b32_e32 v39, 0
	s_waitcnt lgkmcnt(0)
	v_lshl_add_u64 v[4:5], s[4:5], 0, v[2:3]
	s_cmp_eq_u64 s[6:7], 0
	v_lshl_add_u64 v[2:3], s[6:7], 0, v[2:3]
	global_load_dwordx2 v[54:55], v[4:5], off
	v_lshl_add_u64 v[4:5], v[4:5], 0, 8
	s_cselect_b64 vcc, -1, 0
	v_cndmask_b32_e32 v3, v3, v5, vcc
	v_cndmask_b32_e32 v2, v2, v4, vcc
	global_load_dwordx2 v[2:3], v[2:3], off
	s_load_dwordx2 s[6:7], s[0:1], 0x40
	s_cmp_eq_u32 s15, 1
	s_waitcnt vmcnt(1)
	v_subrev_co_u32_e32 v0, vcc, s12, v54
	s_nop 1
	v_subbrev_co_u32_e32 v1, vcc, 0, v55, vcc
	v_lshl_add_u64 v[42:43], v[0:1], 0, v[38:39]
	s_waitcnt vmcnt(0)
	v_subrev_co_u32_e32 v44, vcc, s12, v2
	v_lshlrev_b64 v[0:1], 7, v[42:43]
	s_nop 0
	v_subbrev_co_u32_e32 v45, vcc, 0, v3, vcc
	v_lshl_add_u64 v[46:47], s[10:11], 0, v[0:1]
	v_cmp_lt_i64_e64 s[2:3], v[42:43], v[44:45]
	s_cbranch_scc1 .LBB28_25
; %bb.14:
	v_mov_b64_e32 v[40:41], 0
	v_mov_b64_e32 v[48:49], 0
	;; [unrolled: 1-line block ×4, first 2 shown]
	s_and_saveexec_b64 s[10:11], s[2:3]
	s_cbranch_execz .LBB28_24
; %bb.15:
	v_or_b32_e32 v0, 32, v38
	v_subrev_co_u32_e32 v0, vcc, s12, v0
	v_not_b32_e32 v3, v55
	s_nop 0
	v_subb_co_u32_e64 v1, s[4:5], 0, 0, vcc
	v_lshl_add_u64 v[0:1], v[0:1], 0, v[54:55]
	v_cmp_gt_i64_e32 vcc, v[0:1], v[44:45]
	v_not_b32_e32 v2, v54
	v_mov_b64_e32 v[52:53], 0
	v_cndmask_b32_e32 v1, v45, v1, vcc
	v_cndmask_b32_e32 v0, v44, v0, vcc
	v_sub_co_u32_e32 v4, vcc, s12, v38
	v_mov_b64_e32 v[50:51], 0
	s_nop 0
	v_subb_co_u32_e64 v5, s[4:5], 0, 0, vcc
	v_lshl_add_u64 v[2:3], v[4:5], 0, v[2:3]
	v_lshl_add_u64 v[0:1], v[2:3], 0, v[0:1]
	v_and_b32_e32 v2, 0x60, v0
	v_mov_b32_e32 v3, 0
	s_mov_b64 s[4:5], 0x60
	v_cmp_ne_u64_e32 vcc, s[4:5], v[2:3]
	v_mov_b64_e32 v[48:49], 0
	v_mov_b64_e32 v[40:41], 0
	;; [unrolled: 1-line block ×4, first 2 shown]
	s_and_saveexec_b64 s[4:5], vcc
	s_cbranch_execz .LBB28_19
; %bb.16:
	v_lshrrev_b32_e32 v2, 5, v0
	v_add_u32_e32 v2, 1, v2
	v_and_b32_e32 v4, 3, v2
	v_sub_co_u32_e32 v4, vcc, 0, v4
	v_lshl_add_u64 v[2:3], v[42:43], 2, s[8:9]
	s_nop 0
	v_subb_co_u32_e64 v5, s[16:17], 0, 0, vcc
	s_mov_b64 s[14:15], 0
	v_mov_b64_e32 v[40:41], 0
	s_mov_b64 s[16:17], 0x1000
	s_mov_b64 s[18:19], 0x80
	v_mov_b64_e32 v[58:59], v[46:47]
	v_mov_b64_e32 v[56:57], v[42:43]
	;; [unrolled: 1-line block ×5, first 2 shown]
.LBB28_17:                              ; =>This Inner Loop Header: Depth=1
	global_load_dword v30, v[2:3], off
	global_load_dwordx4 v[6:9], v[58:59], off offset:48
	global_load_dwordx4 v[10:13], v[58:59], off offset:32
	;; [unrolled: 1-line block ×3, first 2 shown]
	global_load_dwordx4 v[18:21], v[58:59], off
	global_load_dwordx4 v[22:25], v[58:59], off offset:112
	global_load_dwordx4 v[26:29], v[58:59], off offset:96
	;; [unrolled: 1-line block ×4, first 2 shown]
	v_lshl_add_u64 v[4:5], v[4:5], 0, 1
	v_cmp_eq_u64_e32 vcc, 0, v[4:5]
	v_lshl_add_u64 v[58:59], v[58:59], 0, s[16:17]
	v_lshl_add_u64 v[56:57], v[56:57], 0, 32
	;; [unrolled: 1-line block ×3, first 2 shown]
	s_or_b64 s[14:15], vcc, s[14:15]
	s_waitcnt vmcnt(8)
	v_subrev_u32_e32 v30, s12, v30
	v_lshlrev_b32_e32 v30, 2, v30
	v_ashrrev_i32_e32 v31, 31, v30
	s_waitcnt lgkmcnt(0)
	v_lshl_add_u64 v[30:31], v[30:31], 3, s[6:7]
	global_load_dwordx4 v[68:71], v[30:31], off
	global_load_dwordx4 v[72:75], v[30:31], off offset:16
	s_waitcnt vmcnt(1)
	v_fmac_f64_e32 v[52:53], v[18:19], v[68:69]
	v_fmac_f64_e32 v[50:51], v[10:11], v[68:69]
	;; [unrolled: 1-line block ×8, first 2 shown]
	s_waitcnt vmcnt(0)
	v_fmac_f64_e32 v[52:53], v[14:15], v[72:73]
	v_fmac_f64_e32 v[50:51], v[6:7], v[72:73]
	;; [unrolled: 1-line block ×8, first 2 shown]
	s_andn2_b64 exec, exec, s[14:15]
	s_cbranch_execnz .LBB28_17
; %bb.18:
	s_or_b64 exec, exec, s[14:15]
.LBB28_19:
	s_or_b64 exec, exec, s[4:5]
	s_mov_b64 s[4:5], 0x5f
	v_cmp_lt_u64_e32 vcc, s[4:5], v[0:1]
	s_and_saveexec_b64 s[14:15], vcc
	s_cbranch_execz .LBB28_23
; %bb.20:
	v_lshl_add_u64 v[0:1], v[56:57], 2, s[8:9]
	s_mov_b64 s[4:5], 0x100
	v_lshl_add_u64 v[60:61], v[0:1], 0, s[4:5]
	s_mov_b64 s[16:17], 0
	s_mov_b64 s[18:19], 0x1000
	;; [unrolled: 1-line block ×3, first 2 shown]
	s_movk_i32 s13, 0x2000
	s_mov_b64 s[22:23], 0x3000
	s_movk_i32 s30, 0x3000
	s_mov_b64 s[24:25], 0x80
	s_mov_b64 s[26:27], 0x200
	;; [unrolled: 1-line block ×3, first 2 shown]
.LBB28_21:                              ; =>This Inner Loop Header: Depth=1
	global_load_dword v37, v[60:61], off offset:-256
	global_load_dwordx4 v[0:3], v[58:59], off offset:48
	global_load_dwordx4 v[8:11], v[58:59], off offset:32
	;; [unrolled: 1-line block ×3, first 2 shown]
	global_load_dwordx4 v[16:19], v[58:59], off
	global_load_dwordx4 v[12:15], v[58:59], off offset:112
	global_load_dwordx4 v[24:27], v[58:59], off offset:96
	;; [unrolled: 1-line block ×4, first 2 shown]
	v_lshl_add_u64 v[96:97], v[58:59], 0, s[18:19]
	global_load_dword v39, v[60:61], off offset:-128
	global_load_dword v106, v[60:61], off
	global_load_dword v107, v[60:61], off offset:128
	global_load_dwordx4 v[64:67], v[96:97], off offset:48
	global_load_dwordx4 v[68:71], v[96:97], off offset:32
	;; [unrolled: 1-line block ×4, first 2 shown]
	v_lshl_add_u64 v[98:99], v[58:59], 0, s[20:21]
	global_load_dwordx4 v[84:87], v[96:97], off offset:96
	v_add_co_u32_e32 v62, vcc, s13, v58
	v_lshl_add_u64 v[100:101], v[58:59], 0, s[22:23]
	s_nop 0
	v_addc_co_u32_e32 v63, vcc, 0, v59, vcc
	v_add_co_u32_e64 v102, s[4:5], s30, v58
	v_lshl_add_u64 v[56:57], v[56:57], 0, s[24:25]
	s_nop 0
	v_addc_co_u32_e64 v103, vcc, 0, v59, s[4:5]
	v_cmp_ge_i64_e32 vcc, v[56:57], v[44:45]
	v_lshl_add_u64 v[60:61], v[60:61], 0, s[26:27]
	v_lshl_add_u64 v[58:59], v[58:59], 0, s[28:29]
	s_or_b64 s[16:17], vcc, s[16:17]
	s_waitcnt vmcnt(16)
	v_subrev_u32_e32 v37, s12, v37
	v_lshlrev_b32_e32 v80, 2, v37
	v_ashrrev_i32_e32 v81, 31, v80
	s_waitcnt lgkmcnt(0)
	v_lshl_add_u64 v[104:105], v[80:81], 3, s[6:7]
	global_load_dwordx4 v[80:83], v[104:105], off
	global_load_dwordx4 v[88:91], v[96:97], off offset:80
	global_load_dwordx4 v[92:95], v[96:97], off offset:64
	s_waitcnt vmcnt(9)
	v_subrev_u32_e32 v37, s12, v106
	s_waitcnt vmcnt(2)
	v_fmac_f64_e32 v[50:51], v[8:9], v[80:81]
	v_fmac_f64_e32 v[48:49], v[28:29], v[80:81]
	;; [unrolled: 1-line block ×5, first 2 shown]
	global_load_dwordx4 v[28:31], v[98:99], off offset:32
	v_fmac_f64_e32 v[40:41], v[26:27], v[82:83]
	global_load_dwordx4 v[8:11], v[98:99], off offset:16
	global_load_dwordx4 v[24:27], v[104:105], off offset:16
	v_fmac_f64_e32 v[52:53], v[16:17], v[80:81]
	v_fmac_f64_e32 v[52:53], v[18:19], v[82:83]
	global_load_dwordx4 v[16:19], v[98:99], off offset:96
	s_waitcnt vmcnt(1)
	v_fmac_f64_e32 v[48:49], v[20:21], v[24:25]
	v_subrev_u32_e32 v20, s12, v39
	v_lshlrev_b32_e32 v20, 2, v20
	v_ashrrev_i32_e32 v21, 31, v20
	v_fmac_f64_e32 v[40:41], v[12:13], v[24:25]
	v_lshl_add_u64 v[96:97], v[20:21], 3, s[6:7]
	v_fmac_f64_e32 v[48:49], v[22:23], v[26:27]
	v_fmac_f64_e32 v[40:41], v[14:15], v[26:27]
	global_load_dwordx4 v[12:15], v[62:63], off offset:-4096
	global_load_dwordx4 v[20:23], v[96:97], off
	v_fmac_f64_e32 v[52:53], v[4:5], v[24:25]
	v_fmac_f64_e32 v[50:51], v[0:1], v[24:25]
	;; [unrolled: 1-line block ×4, first 2 shown]
	global_load_dwordx4 v[4:7], v[98:99], off offset:112
	global_load_dwordx4 v[0:3], v[98:99], off offset:80
	;; [unrolled: 1-line block ×3, first 2 shown]
	s_waitcnt vmcnt(3)
	v_fmac_f64_e32 v[52:53], v[12:13], v[20:21]
	v_fmac_f64_e32 v[50:51], v[68:69], v[20:21]
	v_fmac_f64_e32 v[48:49], v[92:93], v[20:21]
	v_fmac_f64_e32 v[40:41], v[84:85], v[20:21]
	v_fmac_f64_e32 v[52:53], v[14:15], v[22:23]
	global_load_dwordx4 v[12:15], v[98:99], off offset:48
	v_fmac_f64_e32 v[50:51], v[70:71], v[22:23]
	v_fmac_f64_e32 v[48:49], v[94:95], v[22:23]
	global_load_dwordx4 v[68:71], v[100:101], off offset:48
	v_fmac_f64_e32 v[40:41], v[86:87], v[22:23]
	global_load_dwordx4 v[20:23], v[100:101], off offset:32
	global_load_dwordx4 v[80:83], v[100:101], off offset:16
	;; [unrolled: 1-line block ×3, first 2 shown]
	s_waitcnt vmcnt(0)
	v_fmac_f64_e32 v[52:53], v[72:73], v[84:85]
	v_fmac_f64_e32 v[50:51], v[64:65], v[84:85]
	;; [unrolled: 1-line block ×5, first 2 shown]
	global_load_dwordx4 v[72:75], v[100:101], off offset:96
	v_fmac_f64_e32 v[50:51], v[66:67], v[86:87]
	global_load_dwordx4 v[64:67], v[100:101], off offset:80
	v_fmac_f64_e32 v[48:49], v[90:91], v[86:87]
	global_load_dwordx4 v[88:91], v[100:101], off offset:64
	v_fmac_f64_e32 v[40:41], v[78:79], v[86:87]
	global_load_dwordx4 v[76:79], v[100:101], off offset:112
	global_load_dwordx4 v[84:87], v[62:63], off
	v_lshlrev_b32_e32 v62, 2, v37
	v_ashrrev_i32_e32 v63, 31, v62
	v_lshl_add_u64 v[62:63], v[62:63], 3, s[6:7]
	global_load_dwordx4 v[92:95], v[62:63], off
	v_subrev_u32_e32 v37, s12, v107
	v_lshlrev_b32_e32 v96, 2, v37
	v_ashrrev_i32_e32 v97, 31, v96
	v_lshl_add_u64 v[100:101], v[96:97], 3, s[6:7]
	s_waitcnt vmcnt(0)
	v_fmac_f64_e32 v[50:51], v[28:29], v[92:93]
	v_fmac_f64_e32 v[50:51], v[30:31], v[94:95]
	global_load_dwordx4 v[28:31], v[62:63], off offset:16
	v_fmac_f64_e32 v[52:53], v[84:85], v[92:93]
	v_fmac_f64_e32 v[52:53], v[86:87], v[94:95]
	global_load_dwordx4 v[84:87], v[102:103], off
	v_fmac_f64_e32 v[48:49], v[24:25], v[92:93]
	v_fmac_f64_e32 v[48:49], v[26:27], v[94:95]
	global_load_dwordx4 v[24:27], v[100:101], off
	global_load_dwordx4 v[96:99], v[100:101], off offset:16
	v_fmac_f64_e32 v[40:41], v[16:17], v[92:93]
	v_fmac_f64_e32 v[40:41], v[18:19], v[94:95]
	s_waitcnt vmcnt(3)
	v_fmac_f64_e32 v[52:53], v[8:9], v[28:29]
	v_fmac_f64_e32 v[50:51], v[12:13], v[28:29]
	v_fmac_f64_e32 v[48:49], v[0:1], v[28:29]
	v_fmac_f64_e32 v[40:41], v[4:5], v[28:29]
	v_fmac_f64_e32 v[52:53], v[10:11], v[30:31]
	v_fmac_f64_e32 v[50:51], v[14:15], v[30:31]
	v_fmac_f64_e32 v[48:49], v[2:3], v[30:31]
	v_fmac_f64_e32 v[40:41], v[6:7], v[30:31]
	s_waitcnt vmcnt(1)
	v_fmac_f64_e32 v[52:53], v[84:85], v[24:25]
	v_fmac_f64_e32 v[50:51], v[20:21], v[24:25]
	v_fmac_f64_e32 v[48:49], v[88:89], v[24:25]
	v_fmac_f64_e32 v[40:41], v[72:73], v[24:25]
	v_fmac_f64_e32 v[52:53], v[86:87], v[26:27]
	v_fmac_f64_e32 v[50:51], v[22:23], v[26:27]
	;; [unrolled: 9-line block ×3, first 2 shown]
	v_fmac_f64_e32 v[48:49], v[66:67], v[98:99]
	v_fmac_f64_e32 v[40:41], v[78:79], v[98:99]
	s_andn2_b64 exec, exec, s[16:17]
	s_cbranch_execnz .LBB28_21
; %bb.22:
	s_or_b64 exec, exec, s[16:17]
.LBB28_23:
	s_or_b64 exec, exec, s[14:15]
.LBB28_24:
	s_or_b64 exec, exec, s[10:11]
	s_cbranch_execz .LBB28_26
	s_branch .LBB28_37
.LBB28_25:
                                        ; implicit-def: $vgpr40_vgpr41
                                        ; implicit-def: $vgpr48_vgpr49
                                        ; implicit-def: $vgpr50_vgpr51
                                        ; implicit-def: $vgpr52_vgpr53
.LBB28_26:
	v_mov_b64_e32 v[40:41], 0
	v_mov_b64_e32 v[48:49], 0
	;; [unrolled: 1-line block ×4, first 2 shown]
	s_and_saveexec_b64 s[4:5], s[2:3]
	s_cbranch_execz .LBB28_36
; %bb.27:
	v_or_b32_e32 v0, 32, v38
	v_subrev_co_u32_e32 v0, vcc, s12, v0
	v_not_b32_e32 v3, v55
	s_nop 0
	v_subb_co_u32_e64 v1, s[2:3], 0, 0, vcc
	v_lshl_add_u64 v[0:1], v[0:1], 0, v[54:55]
	v_cmp_gt_i64_e32 vcc, v[0:1], v[44:45]
	v_not_b32_e32 v2, v54
	v_mov_b64_e32 v[52:53], 0
	v_cndmask_b32_e32 v1, v45, v1, vcc
	v_cndmask_b32_e32 v0, v44, v0, vcc
	v_sub_co_u32_e32 v4, vcc, s12, v38
	v_mov_b64_e32 v[50:51], 0
	s_nop 0
	v_subb_co_u32_e64 v5, s[2:3], 0, 0, vcc
	v_lshl_add_u64 v[2:3], v[4:5], 0, v[2:3]
	v_lshl_add_u64 v[0:1], v[2:3], 0, v[0:1]
	v_and_b32_e32 v2, 0x60, v0
	v_mov_b32_e32 v3, 0
	s_mov_b64 s[2:3], 0x60
	v_cmp_ne_u64_e32 vcc, s[2:3], v[2:3]
	v_mov_b64_e32 v[48:49], 0
	v_mov_b64_e32 v[40:41], 0
	s_and_saveexec_b64 s[2:3], vcc
	s_cbranch_execz .LBB28_31
; %bb.28:
	v_lshrrev_b32_e32 v2, 5, v0
	v_add_u32_e32 v2, 1, v2
	v_and_b32_e32 v4, 3, v2
	v_sub_co_u32_e32 v4, vcc, 0, v4
	v_lshl_add_u64 v[2:3], v[42:43], 2, s[8:9]
	s_nop 0
	v_subb_co_u32_e64 v5, s[14:15], 0, 0, vcc
	s_mov_b64 s[10:11], 0
	v_mov_b64_e32 v[40:41], 0
	s_mov_b64 s[14:15], 0x1000
	s_mov_b64 s[16:17], 0x80
	v_mov_b64_e32 v[48:49], 0
	v_mov_b64_e32 v[50:51], 0
	;; [unrolled: 1-line block ×3, first 2 shown]
.LBB28_29:                              ; =>This Inner Loop Header: Depth=1
	global_load_dword v30, v[2:3], off
	global_load_dwordx4 v[6:9], v[46:47], off offset:48
	global_load_dwordx4 v[10:13], v[46:47], off offset:32
	;; [unrolled: 1-line block ×3, first 2 shown]
	global_load_dwordx4 v[18:21], v[46:47], off
	global_load_dwordx4 v[22:25], v[46:47], off offset:80
	global_load_dwordx4 v[26:29], v[46:47], off offset:64
	v_lshl_add_u64 v[4:5], v[4:5], 0, 1
	v_cmp_eq_u64_e32 vcc, 0, v[4:5]
	v_lshl_add_u64 v[42:43], v[42:43], 0, 32
	v_lshl_add_u64 v[2:3], v[2:3], 0, s[16:17]
	s_or_b64 s[10:11], vcc, s[10:11]
	s_waitcnt vmcnt(6)
	v_subrev_u32_e32 v30, s12, v30
	v_lshlrev_b32_e32 v30, 2, v30
	v_ashrrev_i32_e32 v31, 31, v30
	s_waitcnt lgkmcnt(0)
	v_lshl_add_u64 v[30:31], v[30:31], 3, s[6:7]
	global_load_dwordx4 v[54:57], v[30:31], off
	global_load_dwordx4 v[58:61], v[30:31], off offset:16
	global_load_dwordx4 v[62:65], v[46:47], off offset:96
	;; [unrolled: 1-line block ×3, first 2 shown]
	v_lshl_add_u64 v[46:47], v[46:47], 0, s[14:15]
	s_waitcnt vmcnt(3)
	v_fmac_f64_e32 v[52:53], v[18:19], v[54:55]
	v_fmac_f64_e32 v[50:51], v[20:21], v[54:55]
	;; [unrolled: 1-line block ×8, first 2 shown]
	s_waitcnt vmcnt(2)
	v_fmac_f64_e32 v[52:53], v[26:27], v[58:59]
	v_fmac_f64_e32 v[50:51], v[28:29], v[58:59]
	;; [unrolled: 1-line block ×4, first 2 shown]
	s_waitcnt vmcnt(1)
	v_fmac_f64_e32 v[52:53], v[62:63], v[60:61]
	v_fmac_f64_e32 v[50:51], v[64:65], v[60:61]
	s_waitcnt vmcnt(0)
	v_fmac_f64_e32 v[48:49], v[66:67], v[60:61]
	v_fmac_f64_e32 v[40:41], v[68:69], v[60:61]
	s_andn2_b64 exec, exec, s[10:11]
	s_cbranch_execnz .LBB28_29
; %bb.30:
	s_or_b64 exec, exec, s[10:11]
.LBB28_31:
	s_or_b64 exec, exec, s[2:3]
	s_mov_b64 s[2:3], 0x5f
	v_cmp_lt_u64_e32 vcc, s[2:3], v[0:1]
	s_and_saveexec_b64 s[2:3], vcc
	s_cbranch_execz .LBB28_35
; %bb.32:
	v_lshl_add_u64 v[0:1], v[42:43], 2, s[8:9]
	s_mov_b64 s[8:9], 0x100
	v_lshl_add_u64 v[54:55], v[0:1], 0, s[8:9]
	s_mov_b64 s[8:9], 0
	s_mov_b64 s[10:11], 0x1000
	;; [unrolled: 1-line block ×3, first 2 shown]
	s_movk_i32 s13, 0x2000
	s_mov_b64 s[16:17], 0x3000
	s_movk_i32 s24, 0x3000
	s_mov_b64 s[18:19], 0x80
	s_mov_b64 s[20:21], 0x200
	;; [unrolled: 1-line block ×3, first 2 shown]
.LBB28_33:                              ; =>This Inner Loop Header: Depth=1
	global_load_dword v37, v[54:55], off offset:-256
	global_load_dwordx4 v[0:3], v[46:47], off offset:48
	global_load_dwordx4 v[4:7], v[46:47], off offset:32
	;; [unrolled: 1-line block ×3, first 2 shown]
	global_load_dwordx4 v[12:15], v[46:47], off
	global_load_dwordx4 v[16:19], v[46:47], off offset:112
	global_load_dwordx4 v[20:23], v[46:47], off offset:96
	global_load_dwordx4 v[24:27], v[46:47], off offset:80
	global_load_dwordx4 v[28:31], v[46:47], off offset:64
	v_add_co_u32_e32 v76, vcc, s13, v46
	v_lshl_add_u64 v[74:75], v[46:47], 0, s[10:11]
	s_nop 0
	v_addc_co_u32_e32 v77, vcc, 0, v47, vcc
	global_load_dword v39, v[54:55], off offset:-128
	global_load_dword v88, v[54:55], off
	global_load_dword v89, v[54:55], off offset:128
	global_load_dwordx4 v[58:61], v[76:77], off offset:-4096
	global_load_dwordx4 v[62:65], v[74:75], off offset:32
	v_lshl_add_u64 v[82:83], v[46:47], 0, s[14:15]
	v_add_co_u32_e32 v84, vcc, s24, v46
	v_lshl_add_u64 v[56:57], v[46:47], 0, s[16:17]
	s_nop 0
	v_addc_co_u32_e32 v85, vcc, 0, v47, vcc
	v_lshl_add_u64 v[42:43], v[42:43], 0, s[18:19]
	v_cmp_ge_i64_e32 vcc, v[42:43], v[44:45]
	v_lshl_add_u64 v[54:55], v[54:55], 0, s[20:21]
	v_lshl_add_u64 v[46:47], v[46:47], 0, s[22:23]
	s_or_b64 s[8:9], vcc, s[8:9]
	s_waitcnt vmcnt(13)
	v_subrev_u32_e32 v37, s12, v37
	v_lshlrev_b32_e32 v66, 2, v37
	v_ashrrev_i32_e32 v67, 31, v66
	s_waitcnt lgkmcnt(0)
	v_lshl_add_u64 v[70:71], v[66:67], 3, s[6:7]
	global_load_dwordx4 v[66:69], v[70:71], off
	s_waitcnt vmcnt(5)
	v_subrev_u32_e32 v37, s12, v39
	s_waitcnt vmcnt(0)
	v_fmac_f64_e32 v[52:53], v[12:13], v[66:67]
	v_fmac_f64_e32 v[50:51], v[14:15], v[66:67]
	;; [unrolled: 1-line block ×4, first 2 shown]
	global_load_dwordx4 v[12:15], v[74:75], off offset:16
	global_load_dwordx4 v[8:11], v[74:75], off offset:112
	v_fmac_f64_e32 v[52:53], v[4:5], v[68:69]
	v_fmac_f64_e32 v[50:51], v[6:7], v[68:69]
	global_load_dwordx4 v[4:7], v[74:75], off offset:96
	v_fmac_f64_e32 v[48:49], v[0:1], v[68:69]
	v_fmac_f64_e32 v[40:41], v[2:3], v[68:69]
	global_load_dwordx4 v[0:3], v[74:75], off offset:80
	global_load_dwordx4 v[66:69], v[70:71], off offset:16
	s_waitcnt vmcnt(0)
	v_fmac_f64_e32 v[52:53], v[28:29], v[66:67]
	v_fmac_f64_e32 v[50:51], v[30:31], v[66:67]
	;; [unrolled: 1-line block ×4, first 2 shown]
	v_lshlrev_b32_e32 v66, 2, v37
	v_ashrrev_i32_e32 v67, 31, v66
	v_lshl_add_u64 v[86:87], v[66:67], 3, s[6:7]
	global_load_dwordx4 v[28:31], v[74:75], off offset:48
	global_load_dwordx4 v[70:73], v[74:75], off offset:64
	v_fmac_f64_e32 v[52:53], v[20:21], v[68:69]
	v_fmac_f64_e32 v[50:51], v[22:23], v[68:69]
	;; [unrolled: 1-line block ×4, first 2 shown]
	global_load_dwordx4 v[66:69], v[86:87], off
	global_load_dwordx4 v[24:27], v[76:77], off
	global_load_dwordx4 v[16:19], v[82:83], off offset:16
	global_load_dwordx4 v[20:23], v[82:83], off offset:32
	v_subrev_u32_e32 v37, s12, v88
	s_waitcnt vmcnt(3)
	v_fmac_f64_e32 v[52:53], v[58:59], v[66:67]
	v_fmac_f64_e32 v[50:51], v[60:61], v[66:67]
	;; [unrolled: 1-line block ×4, first 2 shown]
	global_load_dwordx4 v[58:61], v[82:83], off offset:112
	global_load_dwordx4 v[12:15], v[82:83], off offset:96
	v_fmac_f64_e32 v[52:53], v[62:63], v[68:69]
	v_fmac_f64_e32 v[50:51], v[64:65], v[68:69]
	global_load_dwordx4 v[62:65], v[82:83], off offset:80
	v_fmac_f64_e32 v[48:49], v[28:29], v[68:69]
	v_fmac_f64_e32 v[40:41], v[30:31], v[68:69]
	global_load_dwordx4 v[28:31], v[82:83], off offset:48
	global_load_dwordx4 v[66:69], v[82:83], off offset:64
	global_load_dwordx4 v[74:77], v[84:85], off
	global_load_dwordx4 v[78:81], v[86:87], off offset:16
	s_waitcnt vmcnt(0)
	v_fmac_f64_e32 v[48:49], v[0:1], v[78:79]
	v_fmac_f64_e32 v[48:49], v[8:9], v[80:81]
	v_lshlrev_b32_e32 v8, 2, v37
	v_ashrrev_i32_e32 v9, 31, v8
	v_fmac_f64_e32 v[52:53], v[70:71], v[78:79]
	v_fmac_f64_e32 v[50:51], v[72:73], v[78:79]
	v_fmac_f64_e32 v[40:41], v[2:3], v[78:79]
	v_lshl_add_u64 v[78:79], v[8:9], 3, s[6:7]
	v_fmac_f64_e32 v[40:41], v[10:11], v[80:81]
	global_load_dwordx4 v[8:11], v[78:79], off
	v_fmac_f64_e32 v[52:53], v[4:5], v[80:81]
	v_fmac_f64_e32 v[50:51], v[6:7], v[80:81]
	global_load_dwordx4 v[78:81], v[78:79], off offset:16
	s_waitcnt vmcnt(1)
	v_fmac_f64_e32 v[52:53], v[24:25], v[8:9]
	v_fmac_f64_e32 v[50:51], v[26:27], v[8:9]
	;; [unrolled: 1-line block ×4, first 2 shown]
	v_subrev_u32_e32 v8, s12, v89
	v_lshlrev_b32_e32 v8, 2, v8
	v_ashrrev_i32_e32 v9, 31, v8
	v_lshl_add_u64 v[86:87], v[8:9], 3, s[6:7]
	global_load_dwordx4 v[0:3], v[56:57], off offset:32
	global_load_dwordx4 v[4:7], v[56:57], off offset:16
	v_fmac_f64_e32 v[52:53], v[20:21], v[10:11]
	v_fmac_f64_e32 v[50:51], v[22:23], v[10:11]
	global_load_dwordx4 v[20:23], v[86:87], off
	global_load_dwordx4 v[70:73], v[56:57], off offset:48
	global_load_dwordx4 v[16:19], v[56:57], off offset:64
	;; [unrolled: 1-line block ×3, first 2 shown]
	v_fmac_f64_e32 v[48:49], v[28:29], v[10:11]
	v_fmac_f64_e32 v[40:41], v[30:31], v[10:11]
	global_load_dwordx4 v[8:11], v[86:87], off offset:16
	global_load_dwordx4 v[28:31], v[56:57], off offset:96
	;; [unrolled: 1-line block ×3, first 2 shown]
	s_waitcnt vmcnt(9)
	v_fmac_f64_e32 v[52:53], v[66:67], v[78:79]
	v_fmac_f64_e32 v[50:51], v[68:69], v[78:79]
	;; [unrolled: 1-line block ×8, first 2 shown]
	s_waitcnt vmcnt(6)
	v_fmac_f64_e32 v[52:53], v[74:75], v[20:21]
	v_fmac_f64_e32 v[50:51], v[76:77], v[20:21]
	;; [unrolled: 1-line block ×6, first 2 shown]
	s_waitcnt vmcnt(5)
	v_fmac_f64_e32 v[48:49], v[70:71], v[22:23]
	v_fmac_f64_e32 v[40:41], v[72:73], v[22:23]
	s_waitcnt vmcnt(2)
	v_fmac_f64_e32 v[52:53], v[16:17], v[8:9]
	v_fmac_f64_e32 v[50:51], v[18:19], v[8:9]
	;; [unrolled: 1-line block ×4, first 2 shown]
	s_waitcnt vmcnt(1)
	v_fmac_f64_e32 v[52:53], v[28:29], v[10:11]
	v_fmac_f64_e32 v[50:51], v[30:31], v[10:11]
	s_waitcnt vmcnt(0)
	v_fmac_f64_e32 v[48:49], v[82:83], v[10:11]
	v_fmac_f64_e32 v[40:41], v[84:85], v[10:11]
	s_andn2_b64 exec, exec, s[8:9]
	s_cbranch_execnz .LBB28_33
; %bb.34:
	s_or_b64 exec, exec, s[8:9]
.LBB28_35:
	s_or_b64 exec, exec, s[2:3]
.LBB28_36:
	s_or_b64 exec, exec, s[4:5]
.LBB28_37:
	v_mov_b32_dpp v0, v52 row_shr:1 row_mask:0xf bank_mask:0xf
	v_mov_b32_dpp v1, v53 row_shr:1 row_mask:0xf bank_mask:0xf
	v_mov_b32_dpp v4, v50 row_shr:1 row_mask:0xf bank_mask:0xf
	v_mov_b32_dpp v5, v51 row_shr:1 row_mask:0xf bank_mask:0xf
	v_mov_b32_dpp v8, v48 row_shr:1 row_mask:0xf bank_mask:0xf
	v_mov_b32_dpp v9, v49 row_shr:1 row_mask:0xf bank_mask:0xf
	v_mov_b32_dpp v12, v40 row_shr:1 row_mask:0xf bank_mask:0xf
	v_mov_b32_dpp v13, v41 row_shr:1 row_mask:0xf bank_mask:0xf
	v_add_f64 v[0:1], v[52:53], v[0:1]
	v_add_f64 v[4:5], v[50:51], v[4:5]
	v_add_f64 v[8:9], v[48:49], v[8:9]
	v_add_f64 v[12:13], v[40:41], v[12:13]
	v_mov_b32_dpp v2, v0 row_shr:2 row_mask:0xf bank_mask:0xf
	v_mov_b32_dpp v3, v1 row_shr:2 row_mask:0xf bank_mask:0xf
	v_mov_b32_dpp v6, v4 row_shr:2 row_mask:0xf bank_mask:0xf
	v_mov_b32_dpp v7, v5 row_shr:2 row_mask:0xf bank_mask:0xf
	v_mov_b32_dpp v10, v8 row_shr:2 row_mask:0xf bank_mask:0xf
	v_mov_b32_dpp v11, v9 row_shr:2 row_mask:0xf bank_mask:0xf
	v_mov_b32_dpp v14, v12 row_shr:2 row_mask:0xf bank_mask:0xf
	v_mov_b32_dpp v15, v13 row_shr:2 row_mask:0xf bank_mask:0xf
	v_add_f64 v[0:1], v[0:1], v[2:3]
	v_add_f64 v[4:5], v[4:5], v[6:7]
	v_add_f64 v[8:9], v[8:9], v[10:11]
	v_add_f64 v[12:13], v[12:13], v[14:15]
	v_mov_b32_dpp v2, v0 row_shr:4 row_mask:0xf bank_mask:0xe
	v_mov_b32_dpp v3, v1 row_shr:4 row_mask:0xf bank_mask:0xe
	v_mov_b32_dpp v6, v4 row_shr:4 row_mask:0xf bank_mask:0xe
	v_mov_b32_dpp v7, v5 row_shr:4 row_mask:0xf bank_mask:0xe
	v_mov_b32_dpp v10, v8 row_shr:4 row_mask:0xf bank_mask:0xe
	v_mov_b32_dpp v11, v9 row_shr:4 row_mask:0xf bank_mask:0xe
	v_mov_b32_dpp v14, v12 row_shr:4 row_mask:0xf bank_mask:0xe
	v_mov_b32_dpp v15, v13 row_shr:4 row_mask:0xf bank_mask:0xe
	v_add_f64 v[0:1], v[0:1], v[2:3]
	v_add_f64 v[4:5], v[4:5], v[6:7]
	v_add_f64 v[8:9], v[8:9], v[10:11]
	v_add_f64 v[12:13], v[12:13], v[14:15]
	v_mov_b32_dpp v2, v0 row_shr:8 row_mask:0xf bank_mask:0xc
	v_mov_b32_dpp v3, v1 row_shr:8 row_mask:0xf bank_mask:0xc
	v_mov_b32_dpp v6, v4 row_shr:8 row_mask:0xf bank_mask:0xc
	v_mov_b32_dpp v7, v5 row_shr:8 row_mask:0xf bank_mask:0xc
	v_mov_b32_dpp v10, v8 row_shr:8 row_mask:0xf bank_mask:0xc
	v_mov_b32_dpp v11, v9 row_shr:8 row_mask:0xf bank_mask:0xc
	v_mov_b32_dpp v14, v12 row_shr:8 row_mask:0xf bank_mask:0xc
	v_mov_b32_dpp v15, v13 row_shr:8 row_mask:0xf bank_mask:0xc
	v_add_f64 v[0:1], v[0:1], v[2:3]
	v_add_f64 v[4:5], v[4:5], v[6:7]
	v_add_f64 v[8:9], v[8:9], v[10:11]
	v_add_f64 v[12:13], v[12:13], v[14:15]
	v_mov_b32_dpp v2, v0 row_bcast:15 row_mask:0xa bank_mask:0xf
	v_mov_b32_dpp v3, v1 row_bcast:15 row_mask:0xa bank_mask:0xf
	;; [unrolled: 1-line block ×8, first 2 shown]
	v_cmp_eq_u32_e32 vcc, 31, v38
	s_and_b64 exec, exec, vcc
	s_cbranch_execz .LBB28_10
; %bb.38:
	s_load_dwordx2 s[0:1], s[0:1], 0x50
	v_add_f64 v[0:1], v[0:1], v[2:3]
	v_add_f64 v[2:3], v[4:5], v[6:7]
	;; [unrolled: 1-line block ×4, first 2 shown]
	v_cmp_eq_f64_e32 vcc, 0, v[32:33]
	v_mul_f64 v[4:5], v[34:35], v[0:1]
	v_mul_f64 v[6:7], v[34:35], v[2:3]
	v_mul_f64 v[0:1], v[34:35], v[8:9]
	v_mul_f64 v[2:3], v[34:35], v[10:11]
	v_lshlrev_b32_e32 v8, 2, v36
	s_and_saveexec_b64 s[2:3], vcc
	s_xor_b64 s[2:3], exec, s[2:3]
	s_cbranch_execz .LBB28_40
; %bb.39:
	v_ashrrev_i32_e32 v9, 31, v8
	s_waitcnt lgkmcnt(0)
	v_lshl_add_u64 v[8:9], v[8:9], 3, s[0:1]
	global_store_dwordx4 v[8:9], v[4:7], off
	global_store_dwordx4 v[8:9], v[0:3], off offset:16
                                        ; implicit-def: $vgpr8
                                        ; implicit-def: $vgpr32_vgpr33
                                        ; implicit-def: $vgpr4_vgpr5
                                        ; implicit-def: $vgpr0_vgpr1
.LBB28_40:
	s_andn2_saveexec_b64 s[2:3], s[2:3]
	s_cbranch_execz .LBB28_10
; %bb.41:
	v_ashrrev_i32_e32 v9, 31, v8
	s_waitcnt lgkmcnt(0)
	v_lshl_add_u64 v[16:17], v[8:9], 3, s[0:1]
	global_load_dwordx4 v[8:11], v[16:17], off
	global_load_dwordx4 v[12:15], v[16:17], off offset:16
	s_waitcnt vmcnt(1)
	v_fmac_f64_e32 v[4:5], v[32:33], v[8:9]
	v_fmac_f64_e32 v[6:7], v[32:33], v[10:11]
	s_waitcnt vmcnt(0)
	v_fmac_f64_e32 v[0:1], v[32:33], v[12:13]
	v_fmac_f64_e32 v[2:3], v[32:33], v[14:15]
	global_store_dwordx4 v[16:17], v[4:7], off
	global_store_dwordx4 v[16:17], v[0:3], off offset:16
	s_endpgm
	.section	.rodata,"a",@progbits
	.p2align	6, 0x0
	.amdhsa_kernel _ZN9rocsparseL18bsrxmvn_4x4_kernelILj128ELj32EdlidddEEvT3_20rocsparse_direction_NS_24const_host_device_scalarIT1_EES1_PKS1_PKT2_SA_S7_PKT4_PKT5_S5_PT6_21rocsparse_index_base_b
		.amdhsa_group_segment_fixed_size 0
		.amdhsa_private_segment_fixed_size 0
		.amdhsa_kernarg_size 96
		.amdhsa_user_sgpr_count 2
		.amdhsa_user_sgpr_dispatch_ptr 0
		.amdhsa_user_sgpr_queue_ptr 0
		.amdhsa_user_sgpr_kernarg_segment_ptr 1
		.amdhsa_user_sgpr_dispatch_id 0
		.amdhsa_user_sgpr_kernarg_preload_length 0
		.amdhsa_user_sgpr_kernarg_preload_offset 0
		.amdhsa_user_sgpr_private_segment_size 0
		.amdhsa_uses_dynamic_stack 0
		.amdhsa_enable_private_segment 0
		.amdhsa_system_sgpr_workgroup_id_x 1
		.amdhsa_system_sgpr_workgroup_id_y 0
		.amdhsa_system_sgpr_workgroup_id_z 0
		.amdhsa_system_sgpr_workgroup_info 0
		.amdhsa_system_vgpr_workitem_id 0
		.amdhsa_next_free_vgpr 108
		.amdhsa_next_free_sgpr 31
		.amdhsa_accum_offset 108
		.amdhsa_reserve_vcc 1
		.amdhsa_float_round_mode_32 0
		.amdhsa_float_round_mode_16_64 0
		.amdhsa_float_denorm_mode_32 3
		.amdhsa_float_denorm_mode_16_64 3
		.amdhsa_dx10_clamp 1
		.amdhsa_ieee_mode 1
		.amdhsa_fp16_overflow 0
		.amdhsa_tg_split 0
		.amdhsa_exception_fp_ieee_invalid_op 0
		.amdhsa_exception_fp_denorm_src 0
		.amdhsa_exception_fp_ieee_div_zero 0
		.amdhsa_exception_fp_ieee_overflow 0
		.amdhsa_exception_fp_ieee_underflow 0
		.amdhsa_exception_fp_ieee_inexact 0
		.amdhsa_exception_int_div_zero 0
	.end_amdhsa_kernel
	.section	.text._ZN9rocsparseL18bsrxmvn_4x4_kernelILj128ELj32EdlidddEEvT3_20rocsparse_direction_NS_24const_host_device_scalarIT1_EES1_PKS1_PKT2_SA_S7_PKT4_PKT5_S5_PT6_21rocsparse_index_base_b,"axG",@progbits,_ZN9rocsparseL18bsrxmvn_4x4_kernelILj128ELj32EdlidddEEvT3_20rocsparse_direction_NS_24const_host_device_scalarIT1_EES1_PKS1_PKT2_SA_S7_PKT4_PKT5_S5_PT6_21rocsparse_index_base_b,comdat
.Lfunc_end28:
	.size	_ZN9rocsparseL18bsrxmvn_4x4_kernelILj128ELj32EdlidddEEvT3_20rocsparse_direction_NS_24const_host_device_scalarIT1_EES1_PKS1_PKT2_SA_S7_PKT4_PKT5_S5_PT6_21rocsparse_index_base_b, .Lfunc_end28-_ZN9rocsparseL18bsrxmvn_4x4_kernelILj128ELj32EdlidddEEvT3_20rocsparse_direction_NS_24const_host_device_scalarIT1_EES1_PKS1_PKT2_SA_S7_PKT4_PKT5_S5_PT6_21rocsparse_index_base_b
                                        ; -- End function
	.set _ZN9rocsparseL18bsrxmvn_4x4_kernelILj128ELj32EdlidddEEvT3_20rocsparse_direction_NS_24const_host_device_scalarIT1_EES1_PKS1_PKT2_SA_S7_PKT4_PKT5_S5_PT6_21rocsparse_index_base_b.num_vgpr, 108
	.set _ZN9rocsparseL18bsrxmvn_4x4_kernelILj128ELj32EdlidddEEvT3_20rocsparse_direction_NS_24const_host_device_scalarIT1_EES1_PKS1_PKT2_SA_S7_PKT4_PKT5_S5_PT6_21rocsparse_index_base_b.num_agpr, 0
	.set _ZN9rocsparseL18bsrxmvn_4x4_kernelILj128ELj32EdlidddEEvT3_20rocsparse_direction_NS_24const_host_device_scalarIT1_EES1_PKS1_PKT2_SA_S7_PKT4_PKT5_S5_PT6_21rocsparse_index_base_b.numbered_sgpr, 31
	.set _ZN9rocsparseL18bsrxmvn_4x4_kernelILj128ELj32EdlidddEEvT3_20rocsparse_direction_NS_24const_host_device_scalarIT1_EES1_PKS1_PKT2_SA_S7_PKT4_PKT5_S5_PT6_21rocsparse_index_base_b.num_named_barrier, 0
	.set _ZN9rocsparseL18bsrxmvn_4x4_kernelILj128ELj32EdlidddEEvT3_20rocsparse_direction_NS_24const_host_device_scalarIT1_EES1_PKS1_PKT2_SA_S7_PKT4_PKT5_S5_PT6_21rocsparse_index_base_b.private_seg_size, 0
	.set _ZN9rocsparseL18bsrxmvn_4x4_kernelILj128ELj32EdlidddEEvT3_20rocsparse_direction_NS_24const_host_device_scalarIT1_EES1_PKS1_PKT2_SA_S7_PKT4_PKT5_S5_PT6_21rocsparse_index_base_b.uses_vcc, 1
	.set _ZN9rocsparseL18bsrxmvn_4x4_kernelILj128ELj32EdlidddEEvT3_20rocsparse_direction_NS_24const_host_device_scalarIT1_EES1_PKS1_PKT2_SA_S7_PKT4_PKT5_S5_PT6_21rocsparse_index_base_b.uses_flat_scratch, 0
	.set _ZN9rocsparseL18bsrxmvn_4x4_kernelILj128ELj32EdlidddEEvT3_20rocsparse_direction_NS_24const_host_device_scalarIT1_EES1_PKS1_PKT2_SA_S7_PKT4_PKT5_S5_PT6_21rocsparse_index_base_b.has_dyn_sized_stack, 0
	.set _ZN9rocsparseL18bsrxmvn_4x4_kernelILj128ELj32EdlidddEEvT3_20rocsparse_direction_NS_24const_host_device_scalarIT1_EES1_PKS1_PKT2_SA_S7_PKT4_PKT5_S5_PT6_21rocsparse_index_base_b.has_recursion, 0
	.set _ZN9rocsparseL18bsrxmvn_4x4_kernelILj128ELj32EdlidddEEvT3_20rocsparse_direction_NS_24const_host_device_scalarIT1_EES1_PKS1_PKT2_SA_S7_PKT4_PKT5_S5_PT6_21rocsparse_index_base_b.has_indirect_call, 0
	.section	.AMDGPU.csdata,"",@progbits
; Kernel info:
; codeLenInByte = 3976
; TotalNumSgprs: 37
; NumVgprs: 108
; NumAgprs: 0
; TotalNumVgprs: 108
; ScratchSize: 0
; MemoryBound: 1
; FloatMode: 240
; IeeeMode: 1
; LDSByteSize: 0 bytes/workgroup (compile time only)
; SGPRBlocks: 4
; VGPRBlocks: 13
; NumSGPRsForWavesPerEU: 37
; NumVGPRsForWavesPerEU: 108
; AccumOffset: 108
; Occupancy: 4
; WaveLimiterHint : 1
; COMPUTE_PGM_RSRC2:SCRATCH_EN: 0
; COMPUTE_PGM_RSRC2:USER_SGPR: 2
; COMPUTE_PGM_RSRC2:TRAP_HANDLER: 0
; COMPUTE_PGM_RSRC2:TGID_X_EN: 1
; COMPUTE_PGM_RSRC2:TGID_Y_EN: 0
; COMPUTE_PGM_RSRC2:TGID_Z_EN: 0
; COMPUTE_PGM_RSRC2:TIDIG_COMP_CNT: 0
; COMPUTE_PGM_RSRC3_GFX90A:ACCUM_OFFSET: 26
; COMPUTE_PGM_RSRC3_GFX90A:TG_SPLIT: 0
	.section	.text._ZN9rocsparseL18bsrxmvn_4x4_kernelILj128ELj64EdlidddEEvT3_20rocsparse_direction_NS_24const_host_device_scalarIT1_EES1_PKS1_PKT2_SA_S7_PKT4_PKT5_S5_PT6_21rocsparse_index_base_b,"axG",@progbits,_ZN9rocsparseL18bsrxmvn_4x4_kernelILj128ELj64EdlidddEEvT3_20rocsparse_direction_NS_24const_host_device_scalarIT1_EES1_PKS1_PKT2_SA_S7_PKT4_PKT5_S5_PT6_21rocsparse_index_base_b,comdat
	.globl	_ZN9rocsparseL18bsrxmvn_4x4_kernelILj128ELj64EdlidddEEvT3_20rocsparse_direction_NS_24const_host_device_scalarIT1_EES1_PKS1_PKT2_SA_S7_PKT4_PKT5_S5_PT6_21rocsparse_index_base_b ; -- Begin function _ZN9rocsparseL18bsrxmvn_4x4_kernelILj128ELj64EdlidddEEvT3_20rocsparse_direction_NS_24const_host_device_scalarIT1_EES1_PKS1_PKT2_SA_S7_PKT4_PKT5_S5_PT6_21rocsparse_index_base_b
	.p2align	8
	.type	_ZN9rocsparseL18bsrxmvn_4x4_kernelILj128ELj64EdlidddEEvT3_20rocsparse_direction_NS_24const_host_device_scalarIT1_EES1_PKS1_PKT2_SA_S7_PKT4_PKT5_S5_PT6_21rocsparse_index_base_b,@function
_ZN9rocsparseL18bsrxmvn_4x4_kernelILj128ELj64EdlidddEEvT3_20rocsparse_direction_NS_24const_host_device_scalarIT1_EES1_PKS1_PKT2_SA_S7_PKT4_PKT5_S5_PT6_21rocsparse_index_base_b: ; @_ZN9rocsparseL18bsrxmvn_4x4_kernelILj128ELj64EdlidddEEvT3_20rocsparse_direction_NS_24const_host_device_scalarIT1_EES1_PKS1_PKT2_SA_S7_PKT4_PKT5_S5_PT6_21rocsparse_index_base_b
; %bb.0:
	s_load_dwordx2 s[12:13], s[0:1], 0x58
	s_load_dwordx2 s[8:9], s[0:1], 0x8
	s_load_dwordx2 s[4:5], s[0:1], 0x48
	s_waitcnt lgkmcnt(0)
	s_bitcmp1_b32 s13, 0
	s_cselect_b64 s[10:11], -1, 0
	s_xor_b64 s[6:7], s[10:11], -1
	s_and_b64 vcc, exec, s[10:11]
	v_mov_b64_e32 v[34:35], s[8:9]
	s_cbranch_vccnz .LBB29_2
; %bb.1:
	v_mov_b64_e32 v[2:3], s[8:9]
	flat_load_dwordx2 v[34:35], v[2:3]
.LBB29_2:
	s_andn2_b64 vcc, exec, s[6:7]
	v_mov_b64_e32 v[32:33], s[4:5]
	s_cbranch_vccnz .LBB29_4
; %bb.3:
	v_mov_b64_e32 v[2:3], s[4:5]
	flat_load_dwordx2 v[32:33], v[2:3]
.LBB29_4:
	s_waitcnt vmcnt(0) lgkmcnt(0)
	v_cmp_neq_f64_e32 vcc, 0, v[34:35]
	v_cmp_neq_f64_e64 s[4:5], 1.0, v[32:33]
	s_mov_b64 s[6:7], 0
	s_or_b64 s[4:5], vcc, s[4:5]
	s_and_saveexec_b64 s[8:9], s[4:5]
	s_cbranch_execz .LBB29_10
; %bb.5:
	s_load_dwordx2 s[4:5], s[0:1], 0x18
	s_load_dwordx2 s[16:17], s[0:1], 0x0
	v_lshrrev_b32_e32 v1, 6, v0
	v_lshl_or_b32 v36, s2, 1, v1
	s_mov_b64 s[2:3], 0
	s_waitcnt lgkmcnt(0)
	s_cmp_lg_u64 s[4:5], 0
	s_cbranch_scc0 .LBB29_11
; %bb.6:
	s_load_dword s6, s[0:1], 0x10
                                        ; implicit-def: $vgpr1
	s_waitcnt lgkmcnt(0)
	v_cmp_gt_i32_e32 vcc, s6, v36
	s_and_saveexec_b64 s[6:7], vcc
	s_xor_b64 s[6:7], exec, s[6:7]
	s_cbranch_execz .LBB29_8
; %bb.7:
	v_ashrrev_i32_e32 v37, 31, v36
	v_lshl_add_u64 v[2:3], v[36:37], 2, s[4:5]
	global_load_dword v1, v[2:3], off
	s_mov_b64 s[2:3], exec
	s_waitcnt vmcnt(0)
	v_subrev_u32_e32 v1, s12, v1
.LBB29_8:
	s_or_b64 exec, exec, s[6:7]
	s_mov_b64 s[6:7], s[2:3]
	s_branch .LBB29_12
.LBB29_9:
	v_cmp_gt_i32_e32 vcc, s16, v36
	s_andn2_b64 s[2:3], s[6:7], exec
	s_and_b64 s[4:5], vcc, exec
	s_or_b64 s[6:7], s[2:3], s[4:5]
	s_and_b64 exec, exec, s[6:7]
	s_cbranch_execnz .LBB29_13
.LBB29_10:
	s_endpgm
.LBB29_11:
                                        ; implicit-def: $vgpr1
	s_cbranch_execnz .LBB29_9
.LBB29_12:
	v_mov_b32_e32 v36, v1
	s_and_b64 exec, exec, s[6:7]
	s_cbranch_execz .LBB29_10
.LBB29_13:
	s_load_dwordx8 s[4:11], s[0:1], 0x20
	v_ashrrev_i32_e32 v37, 31, v36
	v_lshlrev_b64 v[2:3], 3, v[36:37]
	s_load_dwordx2 s[14:15], s[0:1], 0x40
	v_and_b32_e32 v38, 63, v0
	s_waitcnt lgkmcnt(0)
	v_lshl_add_u64 v[4:5], s[4:5], 0, v[2:3]
	s_cmp_eq_u64 s[6:7], 0
	v_lshl_add_u64 v[2:3], s[6:7], 0, v[2:3]
	global_load_dwordx2 v[54:55], v[4:5], off
	v_lshl_add_u64 v[4:5], v[4:5], 0, 8
	s_cselect_b64 vcc, -1, 0
	v_cndmask_b32_e32 v3, v3, v5, vcc
	v_cndmask_b32_e32 v2, v2, v4, vcc
	global_load_dwordx2 v[2:3], v[2:3], off
	v_mov_b32_e32 v39, 0
	s_cmp_eq_u32 s17, 1
	s_waitcnt vmcnt(1)
	v_subrev_co_u32_e32 v0, vcc, s12, v54
	s_nop 1
	v_subbrev_co_u32_e32 v1, vcc, 0, v55, vcc
	v_lshl_add_u64 v[42:43], v[0:1], 0, v[38:39]
	s_waitcnt vmcnt(0)
	v_subrev_co_u32_e32 v44, vcc, s12, v2
	v_lshlrev_b64 v[0:1], 7, v[42:43]
	s_nop 0
	v_subbrev_co_u32_e32 v45, vcc, 0, v3, vcc
	v_lshl_add_u64 v[46:47], s[10:11], 0, v[0:1]
	v_cmp_lt_i64_e64 s[2:3], v[42:43], v[44:45]
	s_cbranch_scc1 .LBB29_25
; %bb.14:
	v_mov_b64_e32 v[40:41], 0
	v_mov_b64_e32 v[48:49], 0
	;; [unrolled: 1-line block ×4, first 2 shown]
	s_and_saveexec_b64 s[10:11], s[2:3]
	s_cbranch_execz .LBB29_24
; %bb.15:
	v_or_b32_e32 v0, 64, v38
	v_subrev_co_u32_e32 v0, vcc, s12, v0
	v_not_b32_e32 v3, v55
	s_nop 0
	v_subb_co_u32_e64 v1, s[4:5], 0, 0, vcc
	v_lshl_add_u64 v[0:1], v[0:1], 0, v[54:55]
	v_cmp_gt_i64_e32 vcc, v[0:1], v[44:45]
	v_not_b32_e32 v2, v54
	v_mov_b64_e32 v[52:53], 0
	v_cndmask_b32_e32 v1, v45, v1, vcc
	v_cndmask_b32_e32 v0, v44, v0, vcc
	v_sub_co_u32_e32 v4, vcc, s12, v38
	v_mov_b64_e32 v[50:51], 0
	s_nop 0
	v_subb_co_u32_e64 v5, s[4:5], 0, 0, vcc
	v_lshl_add_u64 v[2:3], v[4:5], 0, v[2:3]
	v_lshl_add_u64 v[0:1], v[2:3], 0, v[0:1]
	v_and_b32_e32 v2, 0xc0, v0
	v_mov_b32_e32 v3, 0
	s_mov_b64 s[4:5], 0xc0
	v_cmp_ne_u64_e32 vcc, s[4:5], v[2:3]
	v_mov_b64_e32 v[48:49], 0
	v_mov_b64_e32 v[40:41], 0
	;; [unrolled: 1-line block ×4, first 2 shown]
	s_and_saveexec_b64 s[4:5], vcc
	s_cbranch_execz .LBB29_19
; %bb.16:
	v_lshrrev_b32_e32 v2, 6, v0
	v_add_u32_e32 v2, 1, v2
	v_and_b32_e32 v4, 3, v2
	v_sub_co_u32_e32 v4, vcc, 0, v4
	v_lshl_add_u64 v[2:3], v[42:43], 2, s[8:9]
	s_nop 0
	v_subb_co_u32_e64 v5, s[16:17], 0, 0, vcc
	s_mov_b64 s[6:7], 0
	v_mov_b64_e32 v[40:41], 0
	s_mov_b64 s[16:17], 0x2000
	s_mov_b64 s[18:19], 0x100
	v_mov_b64_e32 v[58:59], v[46:47]
	v_mov_b64_e32 v[56:57], v[42:43]
	;; [unrolled: 1-line block ×5, first 2 shown]
.LBB29_17:                              ; =>This Inner Loop Header: Depth=1
	global_load_dword v30, v[2:3], off
	global_load_dwordx4 v[6:9], v[58:59], off offset:48
	global_load_dwordx4 v[10:13], v[58:59], off offset:32
	;; [unrolled: 1-line block ×3, first 2 shown]
	global_load_dwordx4 v[18:21], v[58:59], off
	global_load_dwordx4 v[22:25], v[58:59], off offset:112
	global_load_dwordx4 v[26:29], v[58:59], off offset:96
	;; [unrolled: 1-line block ×4, first 2 shown]
	v_lshl_add_u64 v[4:5], v[4:5], 0, 1
	v_cmp_eq_u64_e32 vcc, 0, v[4:5]
	v_lshl_add_u64 v[58:59], v[58:59], 0, s[16:17]
	v_lshl_add_u64 v[56:57], v[56:57], 0, 64
	;; [unrolled: 1-line block ×3, first 2 shown]
	s_or_b64 s[6:7], vcc, s[6:7]
	s_waitcnt vmcnt(8)
	v_subrev_u32_e32 v30, s12, v30
	v_lshlrev_b32_e32 v30, 2, v30
	v_ashrrev_i32_e32 v31, 31, v30
	v_lshl_add_u64 v[30:31], v[30:31], 3, s[14:15]
	global_load_dwordx4 v[68:71], v[30:31], off
	global_load_dwordx4 v[72:75], v[30:31], off offset:16
	s_waitcnt vmcnt(1)
	v_fmac_f64_e32 v[52:53], v[18:19], v[68:69]
	v_fmac_f64_e32 v[50:51], v[10:11], v[68:69]
	;; [unrolled: 1-line block ×8, first 2 shown]
	s_waitcnt vmcnt(0)
	v_fmac_f64_e32 v[52:53], v[14:15], v[72:73]
	v_fmac_f64_e32 v[50:51], v[6:7], v[72:73]
	;; [unrolled: 1-line block ×8, first 2 shown]
	s_andn2_b64 exec, exec, s[6:7]
	s_cbranch_execnz .LBB29_17
; %bb.18:
	s_or_b64 exec, exec, s[6:7]
.LBB29_19:
	s_or_b64 exec, exec, s[4:5]
	s_mov_b64 s[4:5], 0xbf
	v_cmp_lt_u64_e32 vcc, s[4:5], v[0:1]
	s_and_saveexec_b64 s[16:17], vcc
	s_cbranch_execz .LBB29_23
; %bb.20:
	v_lshl_add_u64 v[0:1], v[56:57], 2, s[8:9]
	s_mov_b64 s[4:5], 0x200
	v_lshl_add_u64 v[60:61], v[0:1], 0, s[4:5]
	s_mov_b64 s[18:19], 0
	s_mov_b64 s[20:21], 0x2000
	s_movk_i32 s13, 0x2000
	s_mov_b64 s[22:23], 0x4000
	s_movk_i32 s33, 0x4000
	;; [unrolled: 2-line block ×3, first 2 shown]
	s_mov_b64 s[26:27], 0x100
	s_mov_b64 s[28:29], 0x400
	;; [unrolled: 1-line block ×3, first 2 shown]
.LBB29_21:                              ; =>This Inner Loop Header: Depth=1
	global_load_dword v37, v[60:61], off offset:-512
	global_load_dwordx4 v[0:3], v[58:59], off offset:48
	global_load_dwordx4 v[8:11], v[58:59], off offset:32
	;; [unrolled: 1-line block ×3, first 2 shown]
	global_load_dwordx4 v[16:19], v[58:59], off
	global_load_dwordx4 v[12:15], v[58:59], off offset:112
	global_load_dwordx4 v[24:27], v[58:59], off offset:96
	;; [unrolled: 1-line block ×4, first 2 shown]
	v_lshl_add_u64 v[94:95], v[58:59], 0, s[20:21]
	global_load_dword v39, v[60:61], off offset:-256
	global_load_dword v104, v[60:61], off
	global_load_dword v105, v[60:61], off offset:256
	global_load_dwordx4 v[66:69], v[94:95], off offset:48
	global_load_dwordx4 v[70:73], v[94:95], off offset:32
	;; [unrolled: 1-line block ×4, first 2 shown]
	v_lshl_add_u64 v[96:97], v[58:59], 0, s[22:23]
	global_load_dwordx4 v[86:89], v[94:95], off offset:96
	global_load_dwordx4 v[90:93], v[94:95], off offset:80
	v_add_co_u32_e32 v64, vcc, s13, v58
	v_lshl_add_u64 v[98:99], v[58:59], 0, s[24:25]
	s_nop 0
	v_addc_co_u32_e32 v65, vcc, 0, v59, vcc
	v_add_co_u32_e64 v62, s[4:5], s33, v58
	v_add_co_u32_e64 v100, s[6:7], s34, v58
	s_nop 0
	v_addc_co_u32_e64 v63, vcc, 0, v59, s[4:5]
	v_addc_co_u32_e64 v101, vcc, 0, v59, s[6:7]
	v_lshl_add_u64 v[56:57], v[56:57], 0, s[26:27]
	v_cmp_ge_i64_e32 vcc, v[56:57], v[44:45]
	v_lshl_add_u64 v[60:61], v[60:61], 0, s[28:29]
	v_lshl_add_u64 v[58:59], v[58:59], 0, s[30:31]
	s_or_b64 s[18:19], vcc, s[18:19]
	s_waitcnt vmcnt(17)
	v_subrev_u32_e32 v37, s12, v37
	v_lshlrev_b32_e32 v82, 2, v37
	v_ashrrev_i32_e32 v83, 31, v82
	v_lshl_add_u64 v[102:103], v[82:83], 3, s[14:15]
	global_load_dwordx4 v[82:85], v[102:103], off
	s_waitcnt vmcnt(8)
	v_subrev_u32_e32 v37, s12, v104
	s_waitcnt vmcnt(0)
	v_fmac_f64_e32 v[52:53], v[16:17], v[82:83]
	v_fmac_f64_e32 v[50:51], v[8:9], v[82:83]
	;; [unrolled: 1-line block ×7, first 2 shown]
	global_load_dwordx4 v[28:31], v[94:95], off offset:64
	v_fmac_f64_e32 v[40:41], v[26:27], v[84:85]
	global_load_dwordx4 v[24:27], v[96:97], off offset:32
	global_load_dwordx4 v[8:11], v[96:97], off offset:16
	;; [unrolled: 1-line block ×4, first 2 shown]
	s_waitcnt vmcnt(1)
	v_fmac_f64_e32 v[48:49], v[20:21], v[82:83]
	v_subrev_u32_e32 v20, s12, v39
	v_lshlrev_b32_e32 v20, 2, v20
	v_fmac_f64_e32 v[50:51], v[0:1], v[82:83]
	v_fmac_f64_e32 v[40:41], v[12:13], v[82:83]
	v_ashrrev_i32_e32 v21, 31, v20
	v_fmac_f64_e32 v[50:51], v[2:3], v[84:85]
	global_load_dwordx4 v[0:3], v[96:97], off offset:80
	v_fmac_f64_e32 v[40:41], v[14:15], v[84:85]
	global_load_dwordx4 v[12:15], v[64:65], off
	v_lshl_add_u64 v[64:65], v[20:21], 3, s[14:15]
	v_fmac_f64_e32 v[48:49], v[22:23], v[84:85]
	global_load_dwordx4 v[20:23], v[64:65], off
	v_fmac_f64_e32 v[52:53], v[4:5], v[82:83]
	v_fmac_f64_e32 v[52:53], v[6:7], v[84:85]
	global_load_dwordx4 v[4:7], v[96:97], off offset:112
	s_waitcnt vmcnt(1)
	v_fmac_f64_e32 v[52:53], v[12:13], v[20:21]
	v_fmac_f64_e32 v[50:51], v[70:71], v[20:21]
	;; [unrolled: 1-line block ×5, first 2 shown]
	global_load_dwordx4 v[12:15], v[96:97], off offset:48
	v_fmac_f64_e32 v[50:51], v[72:73], v[22:23]
	global_load_dwordx4 v[70:73], v[96:97], off offset:64
	v_fmac_f64_e32 v[48:49], v[30:31], v[22:23]
	;; [unrolled: 2-line block ×3, first 2 shown]
	global_load_dwordx4 v[20:23], v[98:99], off offset:32
	global_load_dwordx4 v[82:85], v[98:99], off offset:16
	;; [unrolled: 1-line block ×3, first 2 shown]
	s_waitcnt vmcnt(0)
	v_fmac_f64_e32 v[52:53], v[74:75], v[86:87]
	v_fmac_f64_e32 v[50:51], v[66:67], v[86:87]
	v_fmac_f64_e32 v[48:49], v[90:91], v[86:87]
	v_fmac_f64_e32 v[40:41], v[78:79], v[86:87]
	v_fmac_f64_e32 v[52:53], v[76:77], v[88:89]
	global_load_dwordx4 v[74:77], v[98:99], off offset:96
	v_fmac_f64_e32 v[50:51], v[68:69], v[88:89]
	global_load_dwordx4 v[64:67], v[98:99], off offset:80
	v_fmac_f64_e32 v[48:49], v[92:93], v[88:89]
	;; [unrolled: 2-line block ×3, first 2 shown]
	global_load_dwordx4 v[78:81], v[98:99], off offset:112
	global_load_dwordx4 v[86:89], v[62:63], off
	v_lshlrev_b32_e32 v62, 2, v37
	v_ashrrev_i32_e32 v63, 31, v62
	v_lshl_add_u64 v[62:63], v[62:63], 3, s[14:15]
	global_load_dwordx4 v[94:97], v[62:63], off
	v_subrev_u32_e32 v37, s12, v105
	v_lshlrev_b32_e32 v68, 2, v37
	v_ashrrev_i32_e32 v69, 31, v68
	v_lshl_add_u64 v[102:103], v[68:69], 3, s[14:15]
	s_waitcnt vmcnt(0)
	v_fmac_f64_e32 v[50:51], v[24:25], v[94:95]
	v_fmac_f64_e32 v[50:51], v[26:27], v[96:97]
	global_load_dwordx4 v[24:27], v[62:63], off offset:16
	v_fmac_f64_e32 v[52:53], v[86:87], v[94:95]
	v_fmac_f64_e32 v[52:53], v[88:89], v[96:97]
	global_load_dwordx4 v[86:89], v[100:101], off
	v_fmac_f64_e32 v[48:49], v[70:71], v[94:95]
	global_load_dwordx4 v[68:71], v[102:103], off
	global_load_dwordx4 v[98:101], v[102:103], off offset:16
	v_fmac_f64_e32 v[40:41], v[16:17], v[94:95]
	v_fmac_f64_e32 v[48:49], v[72:73], v[96:97]
	v_fmac_f64_e32 v[40:41], v[18:19], v[96:97]
	s_waitcnt vmcnt(3)
	v_fmac_f64_e32 v[52:53], v[8:9], v[24:25]
	v_fmac_f64_e32 v[50:51], v[12:13], v[24:25]
	v_fmac_f64_e32 v[48:49], v[0:1], v[24:25]
	v_fmac_f64_e32 v[40:41], v[4:5], v[24:25]
	v_fmac_f64_e32 v[52:53], v[10:11], v[26:27]
	v_fmac_f64_e32 v[50:51], v[14:15], v[26:27]
	v_fmac_f64_e32 v[48:49], v[2:3], v[26:27]
	v_fmac_f64_e32 v[40:41], v[6:7], v[26:27]
	s_waitcnt vmcnt(1)
	v_fmac_f64_e32 v[52:53], v[86:87], v[68:69]
	v_fmac_f64_e32 v[50:51], v[20:21], v[68:69]
	v_fmac_f64_e32 v[48:49], v[90:91], v[68:69]
	v_fmac_f64_e32 v[40:41], v[74:75], v[68:69]
	v_fmac_f64_e32 v[52:53], v[88:89], v[70:71]
	;; [unrolled: 9-line block ×3, first 2 shown]
	v_fmac_f64_e32 v[50:51], v[30:31], v[100:101]
	v_fmac_f64_e32 v[48:49], v[66:67], v[100:101]
	;; [unrolled: 1-line block ×3, first 2 shown]
	s_andn2_b64 exec, exec, s[18:19]
	s_cbranch_execnz .LBB29_21
; %bb.22:
	s_or_b64 exec, exec, s[18:19]
.LBB29_23:
	s_or_b64 exec, exec, s[16:17]
.LBB29_24:
	s_or_b64 exec, exec, s[10:11]
	s_cbranch_execz .LBB29_26
	s_branch .LBB29_37
.LBB29_25:
                                        ; implicit-def: $vgpr40_vgpr41
                                        ; implicit-def: $vgpr48_vgpr49
                                        ; implicit-def: $vgpr50_vgpr51
                                        ; implicit-def: $vgpr52_vgpr53
.LBB29_26:
	v_mov_b64_e32 v[40:41], 0
	v_mov_b64_e32 v[48:49], 0
	;; [unrolled: 1-line block ×4, first 2 shown]
	s_and_saveexec_b64 s[4:5], s[2:3]
	s_cbranch_execz .LBB29_36
; %bb.27:
	v_or_b32_e32 v0, 64, v38
	v_subrev_co_u32_e32 v0, vcc, s12, v0
	v_not_b32_e32 v3, v55
	s_nop 0
	v_subb_co_u32_e64 v1, s[2:3], 0, 0, vcc
	v_lshl_add_u64 v[0:1], v[0:1], 0, v[54:55]
	v_cmp_gt_i64_e32 vcc, v[0:1], v[44:45]
	v_not_b32_e32 v2, v54
	v_mov_b64_e32 v[52:53], 0
	v_cndmask_b32_e32 v1, v45, v1, vcc
	v_cndmask_b32_e32 v0, v44, v0, vcc
	v_sub_co_u32_e32 v4, vcc, s12, v38
	v_mov_b64_e32 v[50:51], 0
	s_nop 0
	v_subb_co_u32_e64 v5, s[2:3], 0, 0, vcc
	v_lshl_add_u64 v[2:3], v[4:5], 0, v[2:3]
	v_lshl_add_u64 v[0:1], v[2:3], 0, v[0:1]
	v_and_b32_e32 v2, 0xc0, v0
	v_mov_b32_e32 v3, 0
	s_mov_b64 s[2:3], 0xc0
	v_cmp_ne_u64_e32 vcc, s[2:3], v[2:3]
	v_mov_b64_e32 v[48:49], 0
	v_mov_b64_e32 v[40:41], 0
	s_and_saveexec_b64 s[2:3], vcc
	s_cbranch_execz .LBB29_31
; %bb.28:
	v_lshrrev_b32_e32 v2, 6, v0
	v_add_u32_e32 v2, 1, v2
	v_and_b32_e32 v4, 3, v2
	v_sub_co_u32_e32 v4, vcc, 0, v4
	v_lshl_add_u64 v[2:3], v[42:43], 2, s[8:9]
	s_nop 0
	v_subb_co_u32_e64 v5, s[10:11], 0, 0, vcc
	s_mov_b64 s[6:7], 0
	v_mov_b64_e32 v[40:41], 0
	s_mov_b64 s[10:11], 0x2000
	s_mov_b64 s[16:17], 0x100
	v_mov_b64_e32 v[48:49], 0
	v_mov_b64_e32 v[50:51], 0
	;; [unrolled: 1-line block ×3, first 2 shown]
.LBB29_29:                              ; =>This Inner Loop Header: Depth=1
	global_load_dword v30, v[2:3], off
	global_load_dwordx4 v[6:9], v[46:47], off offset:48
	global_load_dwordx4 v[10:13], v[46:47], off offset:32
	;; [unrolled: 1-line block ×3, first 2 shown]
	global_load_dwordx4 v[18:21], v[46:47], off
	global_load_dwordx4 v[22:25], v[46:47], off offset:80
	global_load_dwordx4 v[26:29], v[46:47], off offset:64
	v_lshl_add_u64 v[4:5], v[4:5], 0, 1
	v_cmp_eq_u64_e32 vcc, 0, v[4:5]
	v_lshl_add_u64 v[42:43], v[42:43], 0, 64
	v_lshl_add_u64 v[2:3], v[2:3], 0, s[16:17]
	s_or_b64 s[6:7], vcc, s[6:7]
	s_waitcnt vmcnt(6)
	v_subrev_u32_e32 v30, s12, v30
	v_lshlrev_b32_e32 v30, 2, v30
	v_ashrrev_i32_e32 v31, 31, v30
	v_lshl_add_u64 v[30:31], v[30:31], 3, s[14:15]
	global_load_dwordx4 v[54:57], v[30:31], off
	global_load_dwordx4 v[58:61], v[30:31], off offset:16
	global_load_dwordx4 v[62:65], v[46:47], off offset:96
	global_load_dwordx4 v[66:69], v[46:47], off offset:112
	v_lshl_add_u64 v[46:47], v[46:47], 0, s[10:11]
	s_waitcnt vmcnt(3)
	v_fmac_f64_e32 v[52:53], v[18:19], v[54:55]
	v_fmac_f64_e32 v[50:51], v[20:21], v[54:55]
	;; [unrolled: 1-line block ×8, first 2 shown]
	s_waitcnt vmcnt(2)
	v_fmac_f64_e32 v[52:53], v[26:27], v[58:59]
	v_fmac_f64_e32 v[50:51], v[28:29], v[58:59]
	;; [unrolled: 1-line block ×4, first 2 shown]
	s_waitcnt vmcnt(1)
	v_fmac_f64_e32 v[52:53], v[62:63], v[60:61]
	v_fmac_f64_e32 v[50:51], v[64:65], v[60:61]
	s_waitcnt vmcnt(0)
	v_fmac_f64_e32 v[48:49], v[66:67], v[60:61]
	v_fmac_f64_e32 v[40:41], v[68:69], v[60:61]
	s_andn2_b64 exec, exec, s[6:7]
	s_cbranch_execnz .LBB29_29
; %bb.30:
	s_or_b64 exec, exec, s[6:7]
.LBB29_31:
	s_or_b64 exec, exec, s[2:3]
	s_mov_b64 s[2:3], 0xbf
	v_cmp_lt_u64_e32 vcc, s[2:3], v[0:1]
	s_and_saveexec_b64 s[2:3], vcc
	s_cbranch_execz .LBB29_35
; %bb.32:
	v_lshl_add_u64 v[0:1], v[42:43], 2, s[8:9]
	s_mov_b64 s[6:7], 0x200
	v_lshl_add_u64 v[54:55], v[0:1], 0, s[6:7]
	s_mov_b64 s[6:7], 0
	s_mov_b64 s[8:9], 0x2000
	s_movk_i32 s13, 0x2000
	s_mov_b64 s[10:11], 0x4000
	s_movk_i32 s24, 0x4000
	;; [unrolled: 2-line block ×3, first 2 shown]
	s_mov_b64 s[18:19], 0x100
	s_mov_b64 s[20:21], 0x400
	;; [unrolled: 1-line block ×3, first 2 shown]
.LBB29_33:                              ; =>This Inner Loop Header: Depth=1
	global_load_dword v37, v[54:55], off offset:-512
	global_load_dwordx4 v[0:3], v[46:47], off offset:48
	global_load_dwordx4 v[4:7], v[46:47], off offset:32
	;; [unrolled: 1-line block ×3, first 2 shown]
	global_load_dwordx4 v[12:15], v[46:47], off
	global_load_dwordx4 v[16:19], v[46:47], off offset:112
	global_load_dwordx4 v[20:23], v[46:47], off offset:96
	;; [unrolled: 1-line block ×4, first 2 shown]
	v_add_co_u32_e32 v66, vcc, s13, v46
	v_lshl_add_u64 v[74:75], v[46:47], 0, s[8:9]
	s_nop 0
	v_addc_co_u32_e32 v67, vcc, 0, v47, vcc
	global_load_dword v39, v[54:55], off offset:-256
	global_load_dword v88, v[54:55], off
	global_load_dword v89, v[54:55], off offset:256
	global_load_dwordx4 v[58:61], v[66:67], off
	global_load_dwordx4 v[62:65], v[74:75], off offset:32
	v_add_co_u32_e32 v76, vcc, s24, v46
	v_lshl_add_u64 v[82:83], v[46:47], 0, s[10:11]
	s_nop 0
	v_addc_co_u32_e32 v77, vcc, 0, v47, vcc
	v_add_co_u32_e32 v84, vcc, s25, v46
	v_lshl_add_u64 v[56:57], v[46:47], 0, s[16:17]
	s_nop 0
	v_addc_co_u32_e32 v85, vcc, 0, v47, vcc
	v_lshl_add_u64 v[42:43], v[42:43], 0, s[18:19]
	v_cmp_ge_i64_e32 vcc, v[42:43], v[44:45]
	v_lshl_add_u64 v[54:55], v[54:55], 0, s[20:21]
	v_lshl_add_u64 v[46:47], v[46:47], 0, s[22:23]
	s_or_b64 s[6:7], vcc, s[6:7]
	s_waitcnt vmcnt(13)
	v_subrev_u32_e32 v37, s12, v37
	v_lshlrev_b32_e32 v66, 2, v37
	v_ashrrev_i32_e32 v67, 31, v66
	v_lshl_add_u64 v[70:71], v[66:67], 3, s[14:15]
	global_load_dwordx4 v[66:69], v[70:71], off
	s_waitcnt vmcnt(5)
	v_subrev_u32_e32 v37, s12, v39
	s_waitcnt vmcnt(0)
	v_fmac_f64_e32 v[52:53], v[12:13], v[66:67]
	v_fmac_f64_e32 v[50:51], v[14:15], v[66:67]
	;; [unrolled: 1-line block ×4, first 2 shown]
	global_load_dwordx4 v[12:15], v[74:75], off offset:16
	global_load_dwordx4 v[8:11], v[74:75], off offset:112
	v_fmac_f64_e32 v[52:53], v[4:5], v[68:69]
	v_fmac_f64_e32 v[50:51], v[6:7], v[68:69]
	global_load_dwordx4 v[4:7], v[74:75], off offset:96
	v_fmac_f64_e32 v[48:49], v[0:1], v[68:69]
	v_fmac_f64_e32 v[40:41], v[2:3], v[68:69]
	global_load_dwordx4 v[0:3], v[74:75], off offset:80
	global_load_dwordx4 v[66:69], v[70:71], off offset:16
	s_waitcnt vmcnt(0)
	v_fmac_f64_e32 v[52:53], v[28:29], v[66:67]
	v_fmac_f64_e32 v[50:51], v[30:31], v[66:67]
	;; [unrolled: 1-line block ×4, first 2 shown]
	v_lshlrev_b32_e32 v66, 2, v37
	v_ashrrev_i32_e32 v67, 31, v66
	v_lshl_add_u64 v[86:87], v[66:67], 3, s[14:15]
	global_load_dwordx4 v[28:31], v[74:75], off offset:48
	global_load_dwordx4 v[70:73], v[74:75], off offset:64
	v_fmac_f64_e32 v[52:53], v[20:21], v[68:69]
	v_fmac_f64_e32 v[50:51], v[22:23], v[68:69]
	;; [unrolled: 1-line block ×4, first 2 shown]
	global_load_dwordx4 v[66:69], v[86:87], off
	global_load_dwordx4 v[24:27], v[76:77], off
	global_load_dwordx4 v[16:19], v[82:83], off offset:16
	global_load_dwordx4 v[20:23], v[82:83], off offset:32
	v_subrev_u32_e32 v37, s12, v88
	s_waitcnt vmcnt(3)
	v_fmac_f64_e32 v[52:53], v[58:59], v[66:67]
	v_fmac_f64_e32 v[50:51], v[60:61], v[66:67]
	;; [unrolled: 1-line block ×4, first 2 shown]
	global_load_dwordx4 v[58:61], v[82:83], off offset:112
	global_load_dwordx4 v[12:15], v[82:83], off offset:96
	v_fmac_f64_e32 v[52:53], v[62:63], v[68:69]
	v_fmac_f64_e32 v[50:51], v[64:65], v[68:69]
	global_load_dwordx4 v[62:65], v[82:83], off offset:80
	v_fmac_f64_e32 v[48:49], v[28:29], v[68:69]
	v_fmac_f64_e32 v[40:41], v[30:31], v[68:69]
	global_load_dwordx4 v[28:31], v[82:83], off offset:48
	global_load_dwordx4 v[66:69], v[82:83], off offset:64
	global_load_dwordx4 v[74:77], v[84:85], off
	global_load_dwordx4 v[78:81], v[86:87], off offset:16
	s_waitcnt vmcnt(0)
	v_fmac_f64_e32 v[48:49], v[0:1], v[78:79]
	v_fmac_f64_e32 v[48:49], v[8:9], v[80:81]
	v_lshlrev_b32_e32 v8, 2, v37
	v_ashrrev_i32_e32 v9, 31, v8
	v_fmac_f64_e32 v[52:53], v[70:71], v[78:79]
	v_fmac_f64_e32 v[50:51], v[72:73], v[78:79]
	;; [unrolled: 1-line block ×3, first 2 shown]
	v_lshl_add_u64 v[78:79], v[8:9], 3, s[14:15]
	v_fmac_f64_e32 v[40:41], v[10:11], v[80:81]
	global_load_dwordx4 v[8:11], v[78:79], off
	v_fmac_f64_e32 v[52:53], v[4:5], v[80:81]
	v_fmac_f64_e32 v[50:51], v[6:7], v[80:81]
	global_load_dwordx4 v[78:81], v[78:79], off offset:16
	s_waitcnt vmcnt(1)
	v_fmac_f64_e32 v[52:53], v[24:25], v[8:9]
	v_fmac_f64_e32 v[50:51], v[26:27], v[8:9]
	;; [unrolled: 1-line block ×4, first 2 shown]
	v_subrev_u32_e32 v8, s12, v89
	v_lshlrev_b32_e32 v8, 2, v8
	v_ashrrev_i32_e32 v9, 31, v8
	v_lshl_add_u64 v[86:87], v[8:9], 3, s[14:15]
	global_load_dwordx4 v[0:3], v[56:57], off offset:32
	global_load_dwordx4 v[4:7], v[56:57], off offset:16
	v_fmac_f64_e32 v[52:53], v[20:21], v[10:11]
	v_fmac_f64_e32 v[50:51], v[22:23], v[10:11]
	global_load_dwordx4 v[20:23], v[86:87], off
	global_load_dwordx4 v[70:73], v[56:57], off offset:48
	global_load_dwordx4 v[16:19], v[56:57], off offset:64
	;; [unrolled: 1-line block ×3, first 2 shown]
	v_fmac_f64_e32 v[48:49], v[28:29], v[10:11]
	v_fmac_f64_e32 v[40:41], v[30:31], v[10:11]
	global_load_dwordx4 v[8:11], v[86:87], off offset:16
	global_load_dwordx4 v[28:31], v[56:57], off offset:96
	global_load_dwordx4 v[82:85], v[56:57], off offset:112
	s_waitcnt vmcnt(9)
	v_fmac_f64_e32 v[52:53], v[66:67], v[78:79]
	v_fmac_f64_e32 v[50:51], v[68:69], v[78:79]
	;; [unrolled: 1-line block ×8, first 2 shown]
	s_waitcnt vmcnt(6)
	v_fmac_f64_e32 v[52:53], v[74:75], v[20:21]
	v_fmac_f64_e32 v[50:51], v[76:77], v[20:21]
	;; [unrolled: 1-line block ×6, first 2 shown]
	s_waitcnt vmcnt(5)
	v_fmac_f64_e32 v[48:49], v[70:71], v[22:23]
	v_fmac_f64_e32 v[40:41], v[72:73], v[22:23]
	s_waitcnt vmcnt(2)
	v_fmac_f64_e32 v[52:53], v[16:17], v[8:9]
	v_fmac_f64_e32 v[50:51], v[18:19], v[8:9]
	;; [unrolled: 1-line block ×4, first 2 shown]
	s_waitcnt vmcnt(1)
	v_fmac_f64_e32 v[52:53], v[28:29], v[10:11]
	v_fmac_f64_e32 v[50:51], v[30:31], v[10:11]
	s_waitcnt vmcnt(0)
	v_fmac_f64_e32 v[48:49], v[82:83], v[10:11]
	v_fmac_f64_e32 v[40:41], v[84:85], v[10:11]
	s_andn2_b64 exec, exec, s[6:7]
	s_cbranch_execnz .LBB29_33
; %bb.34:
	s_or_b64 exec, exec, s[6:7]
.LBB29_35:
	s_or_b64 exec, exec, s[2:3]
.LBB29_36:
	s_or_b64 exec, exec, s[4:5]
.LBB29_37:
	v_mov_b32_dpp v0, v52 row_shr:1 row_mask:0xf bank_mask:0xf
	v_mov_b32_dpp v1, v53 row_shr:1 row_mask:0xf bank_mask:0xf
	v_mov_b32_dpp v4, v50 row_shr:1 row_mask:0xf bank_mask:0xf
	v_mov_b32_dpp v5, v51 row_shr:1 row_mask:0xf bank_mask:0xf
	v_mov_b32_dpp v8, v48 row_shr:1 row_mask:0xf bank_mask:0xf
	v_mov_b32_dpp v9, v49 row_shr:1 row_mask:0xf bank_mask:0xf
	v_mov_b32_dpp v12, v40 row_shr:1 row_mask:0xf bank_mask:0xf
	v_mov_b32_dpp v13, v41 row_shr:1 row_mask:0xf bank_mask:0xf
	v_add_f64 v[0:1], v[52:53], v[0:1]
	v_add_f64 v[4:5], v[50:51], v[4:5]
	v_add_f64 v[8:9], v[48:49], v[8:9]
	v_add_f64 v[12:13], v[40:41], v[12:13]
	v_mov_b32_dpp v2, v0 row_shr:2 row_mask:0xf bank_mask:0xf
	v_mov_b32_dpp v3, v1 row_shr:2 row_mask:0xf bank_mask:0xf
	v_mov_b32_dpp v6, v4 row_shr:2 row_mask:0xf bank_mask:0xf
	v_mov_b32_dpp v7, v5 row_shr:2 row_mask:0xf bank_mask:0xf
	v_mov_b32_dpp v10, v8 row_shr:2 row_mask:0xf bank_mask:0xf
	v_mov_b32_dpp v11, v9 row_shr:2 row_mask:0xf bank_mask:0xf
	v_mov_b32_dpp v14, v12 row_shr:2 row_mask:0xf bank_mask:0xf
	v_mov_b32_dpp v15, v13 row_shr:2 row_mask:0xf bank_mask:0xf
	v_add_f64 v[0:1], v[0:1], v[2:3]
	v_add_f64 v[4:5], v[4:5], v[6:7]
	v_add_f64 v[8:9], v[8:9], v[10:11]
	v_add_f64 v[12:13], v[12:13], v[14:15]
	;; [unrolled: 12-line block ×4, first 2 shown]
	v_mov_b32_dpp v2, v0 row_bcast:15 row_mask:0xa bank_mask:0xf
	v_mov_b32_dpp v3, v1 row_bcast:15 row_mask:0xa bank_mask:0xf
	;; [unrolled: 1-line block ×8, first 2 shown]
	v_add_f64 v[0:1], v[0:1], v[2:3]
	v_add_f64 v[4:5], v[4:5], v[6:7]
	;; [unrolled: 1-line block ×4, first 2 shown]
	v_mov_b32_dpp v2, v0 row_bcast:31 row_mask:0xc bank_mask:0xf
	v_mov_b32_dpp v3, v1 row_bcast:31 row_mask:0xc bank_mask:0xf
	;; [unrolled: 1-line block ×8, first 2 shown]
	v_cmp_eq_u32_e32 vcc, 63, v38
	s_and_b64 exec, exec, vcc
	s_cbranch_execz .LBB29_10
; %bb.38:
	s_load_dwordx2 s[0:1], s[0:1], 0x50
	v_add_f64 v[0:1], v[0:1], v[2:3]
	v_add_f64 v[2:3], v[4:5], v[6:7]
	v_add_f64 v[8:9], v[8:9], v[10:11]
	v_add_f64 v[10:11], v[12:13], v[14:15]
	v_cmp_eq_f64_e32 vcc, 0, v[32:33]
	v_mul_f64 v[4:5], v[34:35], v[0:1]
	v_mul_f64 v[6:7], v[34:35], v[2:3]
	;; [unrolled: 1-line block ×4, first 2 shown]
	v_lshlrev_b32_e32 v8, 2, v36
	s_and_saveexec_b64 s[2:3], vcc
	s_xor_b64 s[2:3], exec, s[2:3]
	s_cbranch_execz .LBB29_40
; %bb.39:
	v_ashrrev_i32_e32 v9, 31, v8
	s_waitcnt lgkmcnt(0)
	v_lshl_add_u64 v[8:9], v[8:9], 3, s[0:1]
	global_store_dwordx4 v[8:9], v[4:7], off
	global_store_dwordx4 v[8:9], v[0:3], off offset:16
                                        ; implicit-def: $vgpr8
                                        ; implicit-def: $vgpr32_vgpr33
                                        ; implicit-def: $vgpr4_vgpr5
                                        ; implicit-def: $vgpr0_vgpr1
.LBB29_40:
	s_andn2_saveexec_b64 s[2:3], s[2:3]
	s_cbranch_execz .LBB29_10
; %bb.41:
	v_ashrrev_i32_e32 v9, 31, v8
	s_waitcnt lgkmcnt(0)
	v_lshl_add_u64 v[16:17], v[8:9], 3, s[0:1]
	global_load_dwordx4 v[8:11], v[16:17], off
	global_load_dwordx4 v[12:15], v[16:17], off offset:16
	s_waitcnt vmcnt(1)
	v_fmac_f64_e32 v[4:5], v[32:33], v[8:9]
	v_fmac_f64_e32 v[6:7], v[32:33], v[10:11]
	s_waitcnt vmcnt(0)
	v_fmac_f64_e32 v[0:1], v[32:33], v[12:13]
	v_fmac_f64_e32 v[2:3], v[32:33], v[14:15]
	global_store_dwordx4 v[16:17], v[4:7], off
	global_store_dwordx4 v[16:17], v[0:3], off offset:16
	s_endpgm
	.section	.rodata,"a",@progbits
	.p2align	6, 0x0
	.amdhsa_kernel _ZN9rocsparseL18bsrxmvn_4x4_kernelILj128ELj64EdlidddEEvT3_20rocsparse_direction_NS_24const_host_device_scalarIT1_EES1_PKS1_PKT2_SA_S7_PKT4_PKT5_S5_PT6_21rocsparse_index_base_b
		.amdhsa_group_segment_fixed_size 0
		.amdhsa_private_segment_fixed_size 0
		.amdhsa_kernarg_size 96
		.amdhsa_user_sgpr_count 2
		.amdhsa_user_sgpr_dispatch_ptr 0
		.amdhsa_user_sgpr_queue_ptr 0
		.amdhsa_user_sgpr_kernarg_segment_ptr 1
		.amdhsa_user_sgpr_dispatch_id 0
		.amdhsa_user_sgpr_kernarg_preload_length 0
		.amdhsa_user_sgpr_kernarg_preload_offset 0
		.amdhsa_user_sgpr_private_segment_size 0
		.amdhsa_uses_dynamic_stack 0
		.amdhsa_enable_private_segment 0
		.amdhsa_system_sgpr_workgroup_id_x 1
		.amdhsa_system_sgpr_workgroup_id_y 0
		.amdhsa_system_sgpr_workgroup_id_z 0
		.amdhsa_system_sgpr_workgroup_info 0
		.amdhsa_system_vgpr_workitem_id 0
		.amdhsa_next_free_vgpr 106
		.amdhsa_next_free_sgpr 35
		.amdhsa_accum_offset 108
		.amdhsa_reserve_vcc 1
		.amdhsa_float_round_mode_32 0
		.amdhsa_float_round_mode_16_64 0
		.amdhsa_float_denorm_mode_32 3
		.amdhsa_float_denorm_mode_16_64 3
		.amdhsa_dx10_clamp 1
		.amdhsa_ieee_mode 1
		.amdhsa_fp16_overflow 0
		.amdhsa_tg_split 0
		.amdhsa_exception_fp_ieee_invalid_op 0
		.amdhsa_exception_fp_denorm_src 0
		.amdhsa_exception_fp_ieee_div_zero 0
		.amdhsa_exception_fp_ieee_overflow 0
		.amdhsa_exception_fp_ieee_underflow 0
		.amdhsa_exception_fp_ieee_inexact 0
		.amdhsa_exception_int_div_zero 0
	.end_amdhsa_kernel
	.section	.text._ZN9rocsparseL18bsrxmvn_4x4_kernelILj128ELj64EdlidddEEvT3_20rocsparse_direction_NS_24const_host_device_scalarIT1_EES1_PKS1_PKT2_SA_S7_PKT4_PKT5_S5_PT6_21rocsparse_index_base_b,"axG",@progbits,_ZN9rocsparseL18bsrxmvn_4x4_kernelILj128ELj64EdlidddEEvT3_20rocsparse_direction_NS_24const_host_device_scalarIT1_EES1_PKS1_PKT2_SA_S7_PKT4_PKT5_S5_PT6_21rocsparse_index_base_b,comdat
.Lfunc_end29:
	.size	_ZN9rocsparseL18bsrxmvn_4x4_kernelILj128ELj64EdlidddEEvT3_20rocsparse_direction_NS_24const_host_device_scalarIT1_EES1_PKS1_PKT2_SA_S7_PKT4_PKT5_S5_PT6_21rocsparse_index_base_b, .Lfunc_end29-_ZN9rocsparseL18bsrxmvn_4x4_kernelILj128ELj64EdlidddEEvT3_20rocsparse_direction_NS_24const_host_device_scalarIT1_EES1_PKS1_PKT2_SA_S7_PKT4_PKT5_S5_PT6_21rocsparse_index_base_b
                                        ; -- End function
	.set _ZN9rocsparseL18bsrxmvn_4x4_kernelILj128ELj64EdlidddEEvT3_20rocsparse_direction_NS_24const_host_device_scalarIT1_EES1_PKS1_PKT2_SA_S7_PKT4_PKT5_S5_PT6_21rocsparse_index_base_b.num_vgpr, 106
	.set _ZN9rocsparseL18bsrxmvn_4x4_kernelILj128ELj64EdlidddEEvT3_20rocsparse_direction_NS_24const_host_device_scalarIT1_EES1_PKS1_PKT2_SA_S7_PKT4_PKT5_S5_PT6_21rocsparse_index_base_b.num_agpr, 0
	.set _ZN9rocsparseL18bsrxmvn_4x4_kernelILj128ELj64EdlidddEEvT3_20rocsparse_direction_NS_24const_host_device_scalarIT1_EES1_PKS1_PKT2_SA_S7_PKT4_PKT5_S5_PT6_21rocsparse_index_base_b.numbered_sgpr, 35
	.set _ZN9rocsparseL18bsrxmvn_4x4_kernelILj128ELj64EdlidddEEvT3_20rocsparse_direction_NS_24const_host_device_scalarIT1_EES1_PKS1_PKT2_SA_S7_PKT4_PKT5_S5_PT6_21rocsparse_index_base_b.num_named_barrier, 0
	.set _ZN9rocsparseL18bsrxmvn_4x4_kernelILj128ELj64EdlidddEEvT3_20rocsparse_direction_NS_24const_host_device_scalarIT1_EES1_PKS1_PKT2_SA_S7_PKT4_PKT5_S5_PT6_21rocsparse_index_base_b.private_seg_size, 0
	.set _ZN9rocsparseL18bsrxmvn_4x4_kernelILj128ELj64EdlidddEEvT3_20rocsparse_direction_NS_24const_host_device_scalarIT1_EES1_PKS1_PKT2_SA_S7_PKT4_PKT5_S5_PT6_21rocsparse_index_base_b.uses_vcc, 1
	.set _ZN9rocsparseL18bsrxmvn_4x4_kernelILj128ELj64EdlidddEEvT3_20rocsparse_direction_NS_24const_host_device_scalarIT1_EES1_PKS1_PKT2_SA_S7_PKT4_PKT5_S5_PT6_21rocsparse_index_base_b.uses_flat_scratch, 0
	.set _ZN9rocsparseL18bsrxmvn_4x4_kernelILj128ELj64EdlidddEEvT3_20rocsparse_direction_NS_24const_host_device_scalarIT1_EES1_PKS1_PKT2_SA_S7_PKT4_PKT5_S5_PT6_21rocsparse_index_base_b.has_dyn_sized_stack, 0
	.set _ZN9rocsparseL18bsrxmvn_4x4_kernelILj128ELj64EdlidddEEvT3_20rocsparse_direction_NS_24const_host_device_scalarIT1_EES1_PKS1_PKT2_SA_S7_PKT4_PKT5_S5_PT6_21rocsparse_index_base_b.has_recursion, 0
	.set _ZN9rocsparseL18bsrxmvn_4x4_kernelILj128ELj64EdlidddEEvT3_20rocsparse_direction_NS_24const_host_device_scalarIT1_EES1_PKS1_PKT2_SA_S7_PKT4_PKT5_S5_PT6_21rocsparse_index_base_b.has_indirect_call, 0
	.section	.AMDGPU.csdata,"",@progbits
; Kernel info:
; codeLenInByte = 4092
; TotalNumSgprs: 41
; NumVgprs: 106
; NumAgprs: 0
; TotalNumVgprs: 106
; ScratchSize: 0
; MemoryBound: 1
; FloatMode: 240
; IeeeMode: 1
; LDSByteSize: 0 bytes/workgroup (compile time only)
; SGPRBlocks: 5
; VGPRBlocks: 13
; NumSGPRsForWavesPerEU: 41
; NumVGPRsForWavesPerEU: 106
; AccumOffset: 108
; Occupancy: 4
; WaveLimiterHint : 1
; COMPUTE_PGM_RSRC2:SCRATCH_EN: 0
; COMPUTE_PGM_RSRC2:USER_SGPR: 2
; COMPUTE_PGM_RSRC2:TRAP_HANDLER: 0
; COMPUTE_PGM_RSRC2:TGID_X_EN: 1
; COMPUTE_PGM_RSRC2:TGID_Y_EN: 0
; COMPUTE_PGM_RSRC2:TGID_Z_EN: 0
; COMPUTE_PGM_RSRC2:TIDIG_COMP_CNT: 0
; COMPUTE_PGM_RSRC3_GFX90A:ACCUM_OFFSET: 26
; COMPUTE_PGM_RSRC3_GFX90A:TG_SPLIT: 0
	.section	.text._ZN9rocsparseL18bsrxmvn_4x4_kernelILj128ELj4E21rocsparse_complex_numIfEliS2_S2_S2_EEvT3_20rocsparse_direction_NS_24const_host_device_scalarIT1_EES3_PKS3_PKT2_SC_S9_PKT4_PKT5_S7_PT6_21rocsparse_index_base_b,"axG",@progbits,_ZN9rocsparseL18bsrxmvn_4x4_kernelILj128ELj4E21rocsparse_complex_numIfEliS2_S2_S2_EEvT3_20rocsparse_direction_NS_24const_host_device_scalarIT1_EES3_PKS3_PKT2_SC_S9_PKT4_PKT5_S7_PT6_21rocsparse_index_base_b,comdat
	.globl	_ZN9rocsparseL18bsrxmvn_4x4_kernelILj128ELj4E21rocsparse_complex_numIfEliS2_S2_S2_EEvT3_20rocsparse_direction_NS_24const_host_device_scalarIT1_EES3_PKS3_PKT2_SC_S9_PKT4_PKT5_S7_PT6_21rocsparse_index_base_b ; -- Begin function _ZN9rocsparseL18bsrxmvn_4x4_kernelILj128ELj4E21rocsparse_complex_numIfEliS2_S2_S2_EEvT3_20rocsparse_direction_NS_24const_host_device_scalarIT1_EES3_PKS3_PKT2_SC_S9_PKT4_PKT5_S7_PT6_21rocsparse_index_base_b
	.p2align	8
	.type	_ZN9rocsparseL18bsrxmvn_4x4_kernelILj128ELj4E21rocsparse_complex_numIfEliS2_S2_S2_EEvT3_20rocsparse_direction_NS_24const_host_device_scalarIT1_EES3_PKS3_PKT2_SC_S9_PKT4_PKT5_S7_PT6_21rocsparse_index_base_b,@function
_ZN9rocsparseL18bsrxmvn_4x4_kernelILj128ELj4E21rocsparse_complex_numIfEliS2_S2_S2_EEvT3_20rocsparse_direction_NS_24const_host_device_scalarIT1_EES3_PKS3_PKT2_SC_S9_PKT4_PKT5_S7_PT6_21rocsparse_index_base_b: ; @_ZN9rocsparseL18bsrxmvn_4x4_kernelILj128ELj4E21rocsparse_complex_numIfEliS2_S2_S2_EEvT3_20rocsparse_direction_NS_24const_host_device_scalarIT1_EES3_PKS3_PKT2_SC_S9_PKT4_PKT5_S7_PT6_21rocsparse_index_base_b
; %bb.0:
	s_load_dwordx2 s[4:5], s[0:1], 0x8
	s_load_dwordx2 s[16:17], s[0:1], 0x58
	s_add_u32 s3, s0, 8
	s_addc_u32 s8, s1, 0
	s_load_dwordx2 s[6:7], s[0:1], 0x48
	s_add_u32 s9, s0, 0x48
	s_addc_u32 s10, s1, 0
	s_waitcnt lgkmcnt(0)
	s_bitcmp1_b32 s17, 0
	s_cselect_b32 s3, s3, s4
	s_cselect_b32 s5, s8, s5
	v_mov_b32_e32 v2, s3
	s_cselect_b32 s3, s10, s7
	s_cselect_b32 s4, s9, s6
	v_mov_b32_e32 v3, s5
	v_mov_b32_e32 v4, s4
	v_mov_b32_e32 v5, s3
	flat_load_dwordx2 v[68:69], v[2:3]
	flat_load_dwordx2 v[70:71], v[4:5]
	s_waitcnt vmcnt(0) lgkmcnt(0)
	v_cmp_neq_f32_e32 vcc, 0, v68
	v_cmp_neq_f32_e64 s[4:5], 0, v69
	v_cmp_neq_f32_e64 s[8:9], 1.0, v70
	v_cmp_neq_f32_e64 s[6:7], 0, v71
	s_or_b64 s[4:5], vcc, s[4:5]
	s_or_b64 s[8:9], s[8:9], s[6:7]
	s_or_b64 s[4:5], s[4:5], s[8:9]
	s_and_saveexec_b64 s[8:9], s[4:5]
	s_cbranch_execz .LBB30_6
; %bb.1:
	s_load_dwordx2 s[8:9], s[0:1], 0x18
	s_load_dwordx2 s[4:5], s[0:1], 0x0
	v_lshrrev_b32_e32 v1, 2, v0
	v_lshl_or_b32 v72, s2, 5, v1
	s_mov_b64 s[2:3], 0
	s_waitcnt lgkmcnt(0)
	s_cmp_lg_u64 s[8:9], 0
	s_cbranch_scc0 .LBB30_7
; %bb.2:
	s_load_dword s10, s[0:1], 0x10
                                        ; implicit-def: $vgpr1
	s_waitcnt lgkmcnt(0)
	v_cmp_gt_i32_e32 vcc, s10, v72
	s_and_saveexec_b64 s[10:11], vcc
	s_xor_b64 s[10:11], exec, s[10:11]
	s_cbranch_execz .LBB30_4
; %bb.3:
	v_ashrrev_i32_e32 v73, 31, v72
	v_lshl_add_u64 v[2:3], v[72:73], 2, s[8:9]
	global_load_dword v1, v[2:3], off
	s_mov_b64 s[2:3], exec
	s_waitcnt vmcnt(0)
	v_subrev_u32_e32 v1, s16, v1
.LBB30_4:
	s_or_b64 exec, exec, s[10:11]
	s_branch .LBB30_8
.LBB30_5:
	v_cmp_gt_i32_e32 vcc, s4, v72
	s_andn2_b64 s[2:3], s[2:3], exec
	s_and_b64 s[8:9], vcc, exec
	s_or_b64 s[2:3], s[2:3], s[8:9]
	s_and_b64 exec, exec, s[2:3]
	s_cbranch_execnz .LBB30_9
.LBB30_6:
	s_endpgm
.LBB30_7:
                                        ; implicit-def: $vgpr1
	s_cbranch_execnz .LBB30_5
.LBB30_8:
	v_mov_b32_e32 v72, v1
	s_and_b64 exec, exec, s[2:3]
	s_cbranch_execz .LBB30_6
.LBB30_9:
	s_load_dwordx8 s[8:15], s[0:1], 0x20
	v_ashrrev_i32_e32 v73, 31, v72
	v_lshlrev_b64 v[2:3], 3, v[72:73]
	s_load_dwordx2 s[2:3], s[0:1], 0x40
	v_and_b32_e32 v74, 3, v0
	s_waitcnt lgkmcnt(0)
	v_lshl_add_u64 v[4:5], s[8:9], 0, v[2:3]
	s_cmp_eq_u64 s[10:11], 0
	v_lshl_add_u64 v[2:3], s[10:11], 0, v[2:3]
	global_load_dwordx2 v[34:35], v[4:5], off
	v_lshl_add_u64 v[4:5], v[4:5], 0, 8
	s_cselect_b64 vcc, -1, 0
	v_cndmask_b32_e32 v3, v3, v5, vcc
	v_cndmask_b32_e32 v2, v2, v4, vcc
	global_load_dwordx2 v[2:3], v[2:3], off
	v_mov_b32_e32 v75, 0
	s_cmp_eq_u32 s5, 1
	s_waitcnt vmcnt(1)
	v_subrev_co_u32_e32 v0, vcc, s16, v34
	s_nop 1
	v_subbrev_co_u32_e32 v1, vcc, 0, v35, vcc
	v_lshl_add_u64 v[76:77], v[0:1], 0, v[74:75]
	s_waitcnt vmcnt(0)
	v_subrev_co_u32_e32 v78, vcc, s16, v2
	v_lshlrev_b64 v[0:1], 7, v[76:77]
	s_nop 0
	v_subbrev_co_u32_e32 v79, vcc, 0, v3, vcc
	v_lshl_add_u64 v[80:81], s[14:15], 0, v[0:1]
	v_cmp_lt_i64_e64 s[4:5], v[76:77], v[78:79]
	s_cbranch_scc1 .LBB30_21
; %bb.10:
	v_mov_b32_e32 v52, v75
	v_mov_b32_e32 v47, v75
	;; [unrolled: 1-line block ×7, first 2 shown]
	s_and_saveexec_b64 s[8:9], s[4:5]
	s_cbranch_execz .LBB30_20
; %bb.11:
	v_or_b32_e32 v0, 4, v74
	v_subrev_co_u32_e32 v0, vcc, s16, v0
	v_not_b32_e32 v3, v35
	s_nop 0
	v_subb_co_u32_e64 v1, s[10:11], 0, 0, vcc
	v_lshl_add_u64 v[0:1], v[0:1], 0, v[34:35]
	v_cmp_gt_i64_e32 vcc, v[0:1], v[78:79]
	v_not_b32_e32 v2, v34
	v_mov_b32_e32 v45, 0
	v_cndmask_b32_e32 v1, v79, v1, vcc
	v_cndmask_b32_e32 v0, v78, v0, vcc
	v_sub_co_u32_e32 v4, vcc, s16, v74
	v_mov_b32_e32 v55, v45
	s_nop 0
	v_subb_co_u32_e64 v5, s[10:11], 0, 0, vcc
	v_lshl_add_u64 v[2:3], v[4:5], 0, v[2:3]
	v_lshl_add_u64 v[0:1], v[2:3], 0, v[0:1]
	v_and_b32_e32 v44, 12, v0
	v_cmp_ne_u64_e32 vcc, 12, v[44:45]
	v_mov_b32_e32 v44, v45
	v_mov_b32_e32 v54, v45
	;; [unrolled: 1-line block ×6, first 2 shown]
	v_mov_b64_e32 v[36:37], v[80:81]
	v_mov_b64_e32 v[38:39], v[76:77]
	s_and_saveexec_b64 s[10:11], vcc
	s_cbranch_execz .LBB30_15
; %bb.12:
	v_lshrrev_b32_e32 v2, 2, v0
	v_add_u32_e32 v2, 1, v2
	v_and_b32_e32 v4, 3, v2
	v_sub_co_u32_e32 v4, vcc, 0, v4
	v_mov_b32_e32 v44, 0
	s_nop 0
	v_subb_co_u32_e64 v5, s[18:19], 0, 0, vcc
	v_lshl_add_u64 v[2:3], v[76:77], 2, s[12:13]
	s_mov_b64 s[14:15], 0
	s_mov_b64 s[18:19], 0x200
	v_mov_b64_e32 v[38:39], v[76:77]
	v_mov_b64_e32 v[36:37], v[80:81]
	v_mov_b32_e32 v45, v44
	v_mov_b32_e32 v54, v44
	;; [unrolled: 1-line block ×7, first 2 shown]
.LBB30_13:                              ; =>This Inner Loop Header: Depth=1
	global_load_dword v48, v[2:3], off
	global_load_dwordx4 v[6:9], v[36:37], off
	global_load_dwordx4 v[10:13], v[36:37], off offset:16
	global_load_dwordx4 v[14:17], v[36:37], off offset:32
	;; [unrolled: 1-line block ×7, first 2 shown]
	v_lshl_add_u64 v[4:5], v[4:5], 0, 1
	v_cmp_eq_u64_e32 vcc, 0, v[4:5]
	v_lshl_add_u64 v[36:37], v[36:37], 0, s[18:19]
	v_lshl_add_u64 v[38:39], v[38:39], 0, 4
	;; [unrolled: 1-line block ×3, first 2 shown]
	s_or_b64 s[14:15], vcc, s[14:15]
	s_waitcnt vmcnt(8)
	v_subrev_u32_e32 v48, s16, v48
	v_lshlrev_b32_e32 v48, 2, v48
	v_ashrrev_i32_e32 v49, 31, v48
	v_lshl_add_u64 v[60:61], v[48:49], 3, s[2:3]
	global_load_dwordx4 v[48:51], v[60:61], off
	global_load_dwordx4 v[56:59], v[60:61], off offset:16
	s_waitcnt vmcnt(9)
	v_xor_b32_e32 v60, 0x80000000, v9
	v_mov_b32_e32 v61, v8
	s_waitcnt vmcnt(7)
	v_xor_b32_e32 v64, 0x80000000, v17
	v_mov_b32_e32 v65, v16
	;; [unrolled: 3-line block ×4, first 2 shown]
	v_xor_b32_e32 v62, 0x80000000, v13
	v_mov_b32_e32 v63, v12
	v_xor_b32_e32 v66, 0x80000000, v21
	v_mov_b32_e32 v67, v20
	v_xor_b32_e32 v84, 0x80000000, v29
	v_mov_b32_e32 v85, v28
	v_xor_b32_e32 v88, 0x80000000, v33
	v_mov_b32_e32 v89, v32
	s_waitcnt vmcnt(1)
	v_pk_fma_f32 v[52:53], v[6:7], v[48:49], v[52:53] op_sel_hi:[1,0,1]
	v_pk_fma_f32 v[44:45], v[14:15], v[48:49], v[44:45] op_sel_hi:[1,0,1]
	;; [unrolled: 1-line block ×4, first 2 shown]
	v_pk_fma_f32 v[6:7], v[6:7], v[48:49], v[52:53] op_sel:[1,1,0] op_sel_hi:[0,1,1] neg_lo:[1,0,0]
	v_pk_fma_f32 v[14:15], v[14:15], v[48:49], v[44:45] op_sel:[1,1,0] op_sel_hi:[0,1,1] neg_lo:[1,0,0]
	;; [unrolled: 1-line block ×4, first 2 shown]
	v_mov_b32_e32 v90, v51
	v_pk_fma_f32 v[6:7], v[8:9], v[50:51], v[6:7] op_sel_hi:[1,0,1]
	v_pk_fma_f32 v[8:9], v[16:17], v[50:51], v[14:15] op_sel_hi:[1,0,1]
	v_pk_fma_f32 v[14:15], v[24:25], v[50:51], v[22:23] op_sel_hi:[1,0,1]
	v_pk_fma_f32 v[16:17], v[42:43], v[50:51], v[40:41] op_sel_hi:[1,0,1]
	v_pk_fma_f32 v[6:7], v[60:61], v[90:91], v[6:7] op_sel_hi:[1,0,1]
	v_pk_fma_f32 v[8:9], v[64:65], v[90:91], v[8:9] op_sel_hi:[1,0,1]
	v_pk_fma_f32 v[14:15], v[82:83], v[90:91], v[14:15] op_sel_hi:[1,0,1]
	v_pk_fma_f32 v[16:17], v[86:87], v[90:91], v[16:17] op_sel_hi:[1,0,1]
	s_waitcnt vmcnt(0)
	v_pk_fma_f32 v[6:7], v[10:11], v[56:57], v[6:7] op_sel_hi:[1,0,1]
	v_pk_fma_f32 v[8:9], v[18:19], v[56:57], v[8:9] op_sel_hi:[1,0,1]
	;; [unrolled: 1-line block ×4, first 2 shown]
	v_pk_fma_f32 v[6:7], v[10:11], v[56:57], v[6:7] op_sel:[1,1,0] op_sel_hi:[0,1,1] neg_lo:[1,0,0]
	v_pk_fma_f32 v[8:9], v[18:19], v[56:57], v[8:9] op_sel:[1,1,0] op_sel_hi:[0,1,1] neg_lo:[1,0,0]
	;; [unrolled: 1-line block ×4, first 2 shown]
	v_mov_b32_e32 v92, v59
	v_pk_fma_f32 v[6:7], v[12:13], v[58:59], v[6:7] op_sel_hi:[1,0,1]
	v_pk_fma_f32 v[8:9], v[20:21], v[58:59], v[8:9] op_sel_hi:[1,0,1]
	;; [unrolled: 1-line block ×8, first 2 shown]
	s_andn2_b64 exec, exec, s[14:15]
	s_cbranch_execnz .LBB30_13
; %bb.14:
	s_or_b64 exec, exec, s[14:15]
.LBB30_15:
	s_or_b64 exec, exec, s[10:11]
	v_cmp_lt_u64_e32 vcc, 11, v[0:1]
	s_and_saveexec_b64 s[10:11], vcc
	s_cbranch_execz .LBB30_19
; %bb.16:
	v_lshl_add_u64 v[0:1], v[38:39], 2, s[12:13]
	v_lshl_add_u64 v[40:41], v[0:1], 0, 32
	s_mov_b64 s[14:15], 0
	s_mov_b64 s[18:19], 0x800
.LBB30_17:                              ; =>This Inner Loop Header: Depth=1
	global_load_dword v0, v[40:41], off offset:-32
	v_lshl_add_u64 v[38:39], v[38:39], 0, 16
	v_cmp_ge_i64_e32 vcc, v[38:39], v[78:79]
	s_or_b64 s[14:15], vcc, s[14:15]
	s_waitcnt vmcnt(0)
	v_subrev_u32_e32 v0, s16, v0
	v_lshlrev_b32_e32 v0, 2, v0
	v_ashrrev_i32_e32 v1, 31, v0
	v_lshl_add_u64 v[4:5], v[0:1], 3, s[2:3]
	global_load_dwordx4 v[0:3], v[4:5], off offset:16
	global_load_dwordx4 v[16:19], v[4:5], off
	global_load_dword v6, v[40:41], off offset:-16
	s_waitcnt vmcnt(2)
	v_mov_b32_e32 v66, v3
	s_waitcnt vmcnt(1)
	v_mov_b32_e32 v64, v19
	s_waitcnt vmcnt(0)
	v_subrev_u32_e32 v4, s16, v6
	v_lshlrev_b32_e32 v4, 2, v4
	v_ashrrev_i32_e32 v5, 31, v4
	v_lshl_add_u64 v[28:29], v[4:5], 3, s[2:3]
	global_load_dwordx4 v[4:7], v[28:29], off offset:16
	global_load_dwordx4 v[8:11], v[28:29], off
	global_load_dwordx4 v[20:23], v[36:37], off offset:48
	global_load_dwordx4 v[30:33], v[36:37], off offset:32
	;; [unrolled: 1-line block ×3, first 2 shown]
	global_load_dwordx4 v[24:27], v[36:37], off
	s_waitcnt vmcnt(0)
	v_pk_fma_f32 v[28:29], v[24:25], v[16:17], v[52:53] op_sel_hi:[1,0,1]
	s_nop 0
	v_pk_fma_f32 v[24:25], v[24:25], v[16:17], v[28:29] op_sel:[1,1,0] op_sel_hi:[0,1,1] neg_lo:[1,0,0]
	v_xor_b32_e32 v28, 0x80000000, v27
	v_pk_fma_f32 v[24:25], v[26:27], v[18:19], v[24:25] op_sel_hi:[1,0,1]
	v_mov_b32_e32 v29, v26
	v_pk_fma_f32 v[24:25], v[28:29], v[64:65], v[24:25] op_sel_hi:[1,0,1]
	s_nop 0
	v_pk_fma_f32 v[24:25], v[12:13], v[0:1], v[24:25] op_sel_hi:[1,0,1]
	s_nop 0
	v_pk_fma_f32 v[12:13], v[12:13], v[0:1], v[24:25] op_sel:[1,1,0] op_sel_hi:[0,1,1] neg_lo:[1,0,0]
	v_xor_b32_e32 v24, 0x80000000, v15
	v_pk_fma_f32 v[12:13], v[14:15], v[2:3], v[12:13] op_sel_hi:[1,0,1]
	v_mov_b32_e32 v25, v14
	v_pk_fma_f32 v[24:25], v[24:25], v[66:67], v[12:13] op_sel_hi:[1,0,1]
	global_load_dwordx4 v[12:15], v[36:37], off offset:560
	global_load_dwordx4 v[26:29], v[36:37], off offset:544
	;; [unrolled: 1-line block ×4, first 2 shown]
	s_waitcnt vmcnt(0)
	v_pk_fma_f32 v[24:25], v[56:57], v[8:9], v[24:25] op_sel_hi:[1,0,1]
	s_nop 0
	v_pk_fma_f32 v[56:57], v[56:57], v[8:9], v[24:25] op_sel:[1,1,0] op_sel_hi:[0,1,1] neg_lo:[1,0,0]
	v_pk_fma_f32 v[24:25], v[30:31], v[16:17], v[44:45] op_sel_hi:[1,0,1]
	s_nop 0
	v_pk_fma_f32 v[24:25], v[30:31], v[16:17], v[24:25] op_sel:[1,1,0] op_sel_hi:[0,1,1] neg_lo:[1,0,0]
	v_xor_b32_e32 v30, 0x80000000, v33
	v_pk_fma_f32 v[24:25], v[32:33], v[18:19], v[24:25] op_sel_hi:[1,0,1]
	v_mov_b32_e32 v31, v32
	v_pk_fma_f32 v[24:25], v[30:31], v[64:65], v[24:25] op_sel_hi:[1,0,1]
	s_nop 0
	v_pk_fma_f32 v[24:25], v[20:21], v[0:1], v[24:25] op_sel_hi:[1,0,1]
	s_nop 0
	v_pk_fma_f32 v[20:21], v[20:21], v[0:1], v[24:25] op_sel:[1,1,0] op_sel_hi:[0,1,1] neg_lo:[1,0,0]
	v_xor_b32_e32 v24, 0x80000000, v23
	v_pk_fma_f32 v[20:21], v[22:23], v[2:3], v[20:21] op_sel_hi:[1,0,1]
	v_mov_b32_e32 v25, v22
	v_pk_fma_f32 v[20:21], v[24:25], v[66:67], v[20:21] op_sel_hi:[1,0,1]
	s_nop 0
	v_pk_fma_f32 v[20:21], v[26:27], v[8:9], v[20:21] op_sel_hi:[1,0,1]
	s_nop 0
	v_pk_fma_f32 v[82:83], v[26:27], v[8:9], v[20:21] op_sel:[1,1,0] op_sel_hi:[0,1,1] neg_lo:[1,0,0]
	global_load_dwordx4 v[30:33], v[36:37], off offset:112
	global_load_dwordx4 v[42:45], v[36:37], off offset:96
	;; [unrolled: 1-line block ×4, first 2 shown]
	s_waitcnt vmcnt(2)
	v_pk_fma_f32 v[46:47], v[42:43], v[16:17], v[46:47] op_sel_hi:[1,0,1]
	s_waitcnt vmcnt(0)
	v_pk_fma_f32 v[52:53], v[24:25], v[16:17], v[54:55] op_sel_hi:[1,0,1]
	s_nop 0
	v_pk_fma_f32 v[24:25], v[24:25], v[16:17], v[52:53] op_sel:[1,1,0] op_sel_hi:[0,1,1] neg_lo:[1,0,0]
	v_xor_b32_e32 v52, 0x80000000, v27
	v_pk_fma_f32 v[24:25], v[26:27], v[18:19], v[24:25] op_sel_hi:[1,0,1]
	v_mov_b32_e32 v53, v26
	v_pk_fma_f32 v[24:25], v[52:53], v[64:65], v[24:25] op_sel_hi:[1,0,1]
	v_pk_fma_f32 v[16:17], v[42:43], v[16:17], v[46:47] op_sel:[1,1,0] op_sel_hi:[0,1,1] neg_lo:[1,0,0]
	v_pk_fma_f32 v[24:25], v[20:21], v[0:1], v[24:25] op_sel_hi:[1,0,1]
	v_xor_b32_e32 v42, 0x80000000, v45
	v_pk_fma_f32 v[20:21], v[20:21], v[0:1], v[24:25] op_sel:[1,1,0] op_sel_hi:[0,1,1] neg_lo:[1,0,0]
	v_xor_b32_e32 v24, 0x80000000, v23
	v_pk_fma_f32 v[20:21], v[22:23], v[2:3], v[20:21] op_sel_hi:[1,0,1]
	v_mov_b32_e32 v25, v22
	v_pk_fma_f32 v[84:85], v[24:25], v[66:67], v[20:21] op_sel_hi:[1,0,1]
	global_load_dwordx4 v[20:23], v[36:37], off offset:624
	global_load_dwordx4 v[24:27], v[36:37], off offset:608
	;; [unrolled: 1-line block ×4, first 2 shown]
	v_pk_fma_f32 v[16:17], v[44:45], v[18:19], v[16:17] op_sel_hi:[1,0,1]
	v_mov_b32_e32 v43, v44
	v_pk_fma_f32 v[16:17], v[42:43], v[64:65], v[16:17] op_sel_hi:[1,0,1]
	v_pk_fma_f32 v[18:19], v[58:59], v[10:11], v[56:57] op_sel_hi:[1,0,1]
	;; [unrolled: 1-line block ×3, first 2 shown]
	v_mov_b32_e32 v64, v11
	v_pk_fma_f32 v[0:1], v[30:31], v[0:1], v[16:17] op_sel:[1,1,0] op_sel_hi:[0,1,1] neg_lo:[1,0,0]
	v_xor_b32_e32 v16, 0x80000000, v33
	v_pk_fma_f32 v[0:1], v[32:33], v[2:3], v[0:1] op_sel_hi:[1,0,1]
	v_mov_b32_e32 v17, v32
	v_pk_fma_f32 v[0:1], v[16:17], v[66:67], v[0:1] op_sel_hi:[1,0,1]
	v_mov_b32_e32 v66, v7
	s_waitcnt vmcnt(2)
	v_pk_fma_f32 v[0:1], v[24:25], v[8:9], v[0:1] op_sel_hi:[1,0,1]
	s_waitcnt vmcnt(0)
	v_pk_fma_f32 v[84:85], v[60:61], v[8:9], v[84:85] op_sel_hi:[1,0,1]
	s_nop 0
	v_pk_fma_f32 v[60:61], v[60:61], v[8:9], v[84:85] op_sel:[1,1,0] op_sel_hi:[0,1,1] neg_lo:[1,0,0]
	v_pk_fma_f32 v[8:9], v[24:25], v[8:9], v[0:1] op_sel:[1,1,0] op_sel_hi:[0,1,1] neg_lo:[1,0,0]
	global_load_dword v0, v[40:41], off
	v_pk_fma_f32 v[8:9], v[26:27], v[10:11], v[8:9] op_sel_hi:[1,0,1]
	s_waitcnt vmcnt(0)
	v_subrev_u32_e32 v0, s16, v0
	v_lshlrev_b32_e32 v0, 2, v0
	v_ashrrev_i32_e32 v1, 31, v0
	v_lshl_add_u64 v[16:17], v[0:1], 3, s[2:3]
	global_load_dwordx4 v[0:3], v[16:17], off offset:16
	global_load_dwordx4 v[30:33], v[16:17], off
	v_xor_b32_e32 v16, 0x80000000, v59
	v_mov_b32_e32 v17, v58
	v_pk_fma_f32 v[16:17], v[16:17], v[64:65], v[18:19] op_sel_hi:[1,0,1]
	v_xor_b32_e32 v18, 0x80000000, v51
	v_pk_fma_f32 v[16:17], v[48:49], v[4:5], v[16:17] op_sel_hi:[1,0,1]
	v_mov_b32_e32 v19, v50
	v_pk_fma_f32 v[16:17], v[48:49], v[4:5], v[16:17] op_sel:[1,1,0] op_sel_hi:[0,1,1] neg_lo:[1,0,0]
	v_pk_fma_f32 v[16:17], v[50:51], v[6:7], v[16:17] op_sel_hi:[1,0,1]
	s_nop 0
	v_pk_fma_f32 v[24:25], v[18:19], v[66:67], v[16:17] op_sel_hi:[1,0,1]
	global_load_dwordx4 v[16:19], v[36:37], off offset:1072
	global_load_dwordx4 v[42:45], v[36:37], off offset:1056
	;; [unrolled: 1-line block ×4, first 2 shown]
	s_waitcnt vmcnt(1)
	v_xor_b32_e32 v84, 0x80000000, v47
	s_waitcnt vmcnt(0)
	v_pk_fma_f32 v[24:25], v[56:57], v[30:31], v[24:25] op_sel_hi:[1,0,1]
	v_xor_b32_e32 v50, 0x80000000, v59
	v_pk_fma_f32 v[24:25], v[56:57], v[30:31], v[24:25] op_sel:[1,1,0] op_sel_hi:[0,1,1] neg_lo:[1,0,0]
	v_pk_fma_f32 v[24:25], v[58:59], v[32:33], v[24:25] op_sel_hi:[1,0,1]
	v_mov_b32_e32 v51, v58
	v_mov_b32_e32 v58, v33
	v_pk_fma_f32 v[24:25], v[50:51], v[58:59], v[24:25] op_sel_hi:[1,0,1]
	v_pk_fma_f32 v[50:51], v[28:29], v[10:11], v[82:83] op_sel_hi:[1,0,1]
	;; [unrolled: 1-line block ×3, first 2 shown]
	v_xor_b32_e32 v24, 0x80000000, v29
	v_mov_b32_e32 v25, v28
	v_pk_fma_f32 v[24:25], v[24:25], v[64:65], v[50:51] op_sel_hi:[1,0,1]
	v_mov_b32_e32 v85, v46
	v_pk_fma_f32 v[24:25], v[12:13], v[4:5], v[24:25] op_sel_hi:[1,0,1]
	s_nop 0
	v_pk_fma_f32 v[12:13], v[12:13], v[4:5], v[24:25] op_sel:[1,1,0] op_sel_hi:[0,1,1] neg_lo:[1,0,0]
	v_xor_b32_e32 v24, 0x80000000, v15
	v_pk_fma_f32 v[12:13], v[14:15], v[6:7], v[12:13] op_sel_hi:[1,0,1]
	v_mov_b32_e32 v25, v14
	v_pk_fma_f32 v[12:13], v[24:25], v[66:67], v[12:13] op_sel_hi:[1,0,1]
	v_xor_b32_e32 v14, 0x80000000, v45
	v_pk_fma_f32 v[12:13], v[42:43], v[30:31], v[12:13] op_sel_hi:[1,0,1]
	v_mov_b32_e32 v15, v44
	v_pk_fma_f32 v[12:13], v[42:43], v[30:31], v[12:13] op_sel:[1,1,0] op_sel_hi:[0,1,1] neg_lo:[1,0,0]
	v_pk_fma_f32 v[12:13], v[44:45], v[32:33], v[12:13] op_sel_hi:[1,0,1]
	v_xor_b32_e32 v24, 0x80000000, v17
	v_pk_fma_f32 v[12:13], v[14:15], v[58:59], v[12:13] op_sel_hi:[1,0,1]
	v_pk_fma_f32 v[14:15], v[62:63], v[10:11], v[60:61] op_sel_hi:[1,0,1]
	;; [unrolled: 1-line block ×3, first 2 shown]
	v_xor_b32_e32 v12, 0x80000000, v63
	v_mov_b32_e32 v13, v62
	v_pk_fma_f32 v[12:13], v[12:13], v[64:65], v[14:15] op_sel_hi:[1,0,1]
	v_xor_b32_e32 v14, 0x80000000, v55
	v_pk_fma_f32 v[12:13], v[52:53], v[4:5], v[12:13] op_sel_hi:[1,0,1]
	v_mov_b32_e32 v15, v54
	v_pk_fma_f32 v[12:13], v[52:53], v[4:5], v[12:13] op_sel:[1,1,0] op_sel_hi:[0,1,1] neg_lo:[1,0,0]
	v_pk_fma_f32 v[12:13], v[54:55], v[6:7], v[12:13] op_sel_hi:[1,0,1]
	v_mov_b32_e32 v25, v16
	v_pk_fma_f32 v[60:61], v[14:15], v[66:67], v[12:13] op_sel_hi:[1,0,1]
	global_load_dwordx4 v[12:15], v[36:37], off offset:1136
	global_load_dwordx4 v[42:45], v[36:37], off offset:1120
	;; [unrolled: 1-line block ×4, first 2 shown]
	v_pk_fma_f32 v[16:17], v[24:25], v[0:1], v[28:29] op_sel:[0,1,0]
	v_xor_b32_e32 v24, 0x80000000, v19
	v_pk_fma_f32 v[16:17], v[18:19], v[2:3], v[16:17] op_sel_hi:[1,0,1]
	v_mov_b32_e32 v25, v18
	s_waitcnt vmcnt(0)
	v_pk_fma_f32 v[60:61], v[50:51], v[30:31], v[60:61] op_sel_hi:[1,0,1]
	s_nop 0
	v_pk_fma_f32 v[50:51], v[50:51], v[30:31], v[60:61] op_sel:[1,1,0] op_sel_hi:[0,1,1] neg_lo:[1,0,0]
	v_xor_b32_e32 v60, 0x80000000, v53
	v_pk_fma_f32 v[50:51], v[52:53], v[32:33], v[50:51] op_sel_hi:[1,0,1]
	v_mov_b32_e32 v61, v52
	v_pk_fma_f32 v[50:51], v[60:61], v[58:59], v[50:51] op_sel_hi:[1,0,1]
	v_xor_b32_e32 v60, 0x80000000, v55
	v_pk_fma_f32 v[62:63], v[54:55], v[0:1], v[50:51] op_sel_hi:[1,0,1]
	v_xor_b32_e32 v50, 0x80000000, v27
	v_mov_b32_e32 v51, v26
	v_pk_fma_f32 v[8:9], v[50:51], v[64:65], v[8:9] op_sel_hi:[1,0,1]
	v_mov_b32_e32 v61, v54
	v_pk_fma_f32 v[8:9], v[20:21], v[4:5], v[8:9] op_sel_hi:[1,0,1]
	s_nop 0
	v_pk_fma_f32 v[4:5], v[20:21], v[4:5], v[8:9] op_sel:[1,1,0] op_sel_hi:[0,1,1] neg_lo:[1,0,0]
	v_xor_b32_e32 v8, 0x80000000, v23
	v_pk_fma_f32 v[4:5], v[22:23], v[6:7], v[4:5] op_sel_hi:[1,0,1]
	v_mov_b32_e32 v9, v22
	v_pk_fma_f32 v[4:5], v[8:9], v[66:67], v[4:5] op_sel_hi:[1,0,1]
	v_xor_b32_e32 v6, 0x80000000, v45
	v_pk_fma_f32 v[4:5], v[42:43], v[30:31], v[4:5] op_sel_hi:[1,0,1]
	v_mov_b32_e32 v7, v44
	v_pk_fma_f32 v[4:5], v[42:43], v[30:31], v[4:5] op_sel:[1,1,0] op_sel_hi:[0,1,1] neg_lo:[1,0,0]
	v_pk_fma_f32 v[4:5], v[44:45], v[32:33], v[4:5] op_sel_hi:[1,0,1]
	v_xor_b32_e32 v30, 0x80000000, v49
	v_pk_fma_f32 v[4:5], v[6:7], v[58:59], v[4:5] op_sel_hi:[1,0,1]
	v_mov_b32_e32 v31, v48
	v_pk_fma_f32 v[22:23], v[12:13], v[0:1], v[4:5] op_sel_hi:[1,0,1]
	global_load_dword v4, v[40:41], off offset:16
	v_xor_b32_e32 v20, 0x80000000, v13
	v_mov_b32_e32 v21, v12
	v_xor_b32_e32 v12, 0x80000000, v15
	v_mov_b32_e32 v13, v14
	v_lshl_add_u64 v[40:41], v[40:41], 0, 64
	s_waitcnt vmcnt(0)
	v_subrev_u32_e32 v4, s16, v4
	v_lshlrev_b32_e32 v4, 2, v4
	v_ashrrev_i32_e32 v5, 31, v4
	v_lshl_add_u64 v[26:27], v[4:5], 3, s[2:3]
	global_load_dwordx4 v[4:7], v[26:27], off offset:16
	global_load_dwordx4 v[8:11], v[26:27], off
	v_pk_fma_f32 v[26:27], v[84:85], v[0:1], v[86:87] op_sel:[0,1,0]
	s_waitcnt vmcnt(0)
	v_mov_b32_e32 v64, v11
	v_pk_fma_f32 v[32:33], v[48:49], v[2:3], v[26:27] op_sel_hi:[1,0,1]
	v_mov_b32_e32 v26, v3
	v_pk_fma_f32 v[58:59], v[30:31], v[26:27], v[32:33] op_sel_hi:[1,0,1]
	global_load_dwordx4 v[30:33], v[36:37], off offset:1584
	global_load_dwordx4 v[42:45], v[36:37], off offset:1568
	global_load_dwordx4 v[46:49], v[36:37], off offset:1552
	global_load_dwordx4 v[50:53], v[36:37], off offset:1536
	v_pk_fma_f32 v[16:17], v[24:25], v[26:27], v[16:17] op_sel_hi:[1,0,1]
	s_waitcnt vmcnt(2)
	v_xor_b32_e32 v18, 0x80000000, v45
	v_pk_fma_f32 v[16:17], v[42:43], v[8:9], v[16:17] op_sel_hi:[1,0,1]
	s_waitcnt vmcnt(0)
	v_pk_fma_f32 v[58:59], v[50:51], v[8:9], v[58:59] op_sel_hi:[1,0,1]
	v_pk_fma_f32 v[16:17], v[42:43], v[8:9], v[16:17] op_sel:[1,1,0] op_sel_hi:[0,1,1] neg_lo:[1,0,0]
	v_pk_fma_f32 v[16:17], v[44:45], v[10:11], v[16:17] op_sel_hi:[1,0,1]
	v_mov_b32_e32 v19, v44
	v_pk_fma_f32 v[50:51], v[50:51], v[8:9], v[58:59] op_sel:[1,1,0] op_sel_hi:[0,1,1] neg_lo:[1,0,0]
	v_pk_fma_f32 v[16:17], v[18:19], v[64:65], v[16:17] op_sel_hi:[1,0,1]
	v_xor_b32_e32 v58, 0x80000000, v53
	v_pk_fma_f32 v[50:51], v[52:53], v[10:11], v[50:51] op_sel_hi:[1,0,1]
	v_mov_b32_e32 v59, v52
	v_pk_fma_f32 v[16:17], v[30:31], v[4:5], v[16:17] op_sel_hi:[1,0,1]
	v_pk_fma_f32 v[50:51], v[58:59], v[64:65], v[50:51] op_sel_hi:[1,0,1]
	v_pk_fma_f32 v[16:17], v[30:31], v[4:5], v[16:17] op_sel:[1,1,0] op_sel_hi:[0,1,1] neg_lo:[1,0,0]
	v_pk_fma_f32 v[50:51], v[46:47], v[4:5], v[50:51] op_sel_hi:[1,0,1]
	v_mov_b32_e32 v58, v7
	v_xor_b32_e32 v18, 0x80000000, v33
	v_pk_fma_f32 v[16:17], v[32:33], v[6:7], v[16:17] op_sel_hi:[1,0,1]
	v_mov_b32_e32 v19, v32
	v_pk_fma_f32 v[46:47], v[46:47], v[4:5], v[50:51] op_sel:[1,1,0] op_sel_hi:[0,1,1] neg_lo:[1,0,0]
	v_pk_fma_f32 v[44:45], v[18:19], v[58:59], v[16:17] op_sel_hi:[1,0,1]
	v_pk_fma_f32 v[16:17], v[60:61], v[0:1], v[62:63] op_sel:[0,1,0]
	v_xor_b32_e32 v50, 0x80000000, v49
	v_pk_fma_f32 v[46:47], v[48:49], v[6:7], v[46:47] op_sel_hi:[1,0,1]
	v_mov_b32_e32 v51, v48
	v_xor_b32_e32 v18, 0x80000000, v57
	v_pk_fma_f32 v[16:17], v[56:57], v[2:3], v[16:17] op_sel_hi:[1,0,1]
	v_mov_b32_e32 v19, v56
	v_pk_fma_f32 v[52:53], v[50:51], v[58:59], v[46:47] op_sel_hi:[1,0,1]
	v_pk_fma_f32 v[24:25], v[18:19], v[26:27], v[16:17] op_sel_hi:[1,0,1]
	global_load_dwordx4 v[16:19], v[36:37], off offset:1648
	global_load_dwordx4 v[28:31], v[36:37], off offset:1632
	;; [unrolled: 1-line block ×4, first 2 shown]
	v_pk_fma_f32 v[0:1], v[20:21], v[0:1], v[22:23] op_sel:[0,1,0]
	v_lshl_add_u64 v[36:37], v[36:37], 0, s[18:19]
	v_pk_fma_f32 v[0:1], v[14:15], v[2:3], v[0:1] op_sel_hi:[1,0,1]
	s_waitcnt vmcnt(2)
	v_xor_b32_e32 v2, 0x80000000, v31
	v_pk_fma_f32 v[0:1], v[12:13], v[26:27], v[0:1] op_sel_hi:[1,0,1]
	s_waitcnt vmcnt(0)
	v_pk_fma_f32 v[24:25], v[54:55], v[8:9], v[24:25] op_sel_hi:[1,0,1]
	v_pk_fma_f32 v[0:1], v[28:29], v[8:9], v[0:1] op_sel_hi:[1,0,1]
	v_pk_fma_f32 v[24:25], v[54:55], v[8:9], v[24:25] op_sel:[1,1,0] op_sel_hi:[0,1,1] neg_lo:[1,0,0]
	v_pk_fma_f32 v[0:1], v[28:29], v[8:9], v[0:1] op_sel:[1,1,0] op_sel_hi:[0,1,1] neg_lo:[1,0,0]
	v_xor_b32_e32 v32, 0x80000000, v57
	v_pk_fma_f32 v[24:25], v[56:57], v[10:11], v[24:25] op_sel_hi:[1,0,1]
	v_mov_b32_e32 v33, v56
	v_pk_fma_f32 v[0:1], v[30:31], v[10:11], v[0:1] op_sel_hi:[1,0,1]
	v_mov_b32_e32 v3, v30
	v_pk_fma_f32 v[24:25], v[32:33], v[64:65], v[24:25] op_sel_hi:[1,0,1]
	v_pk_fma_f32 v[0:1], v[2:3], v[64:65], v[0:1] op_sel_hi:[1,0,1]
	;; [unrolled: 1-line block ×4, first 2 shown]
	v_pk_fma_f32 v[24:25], v[46:47], v[4:5], v[24:25] op_sel:[1,1,0] op_sel_hi:[0,1,1] neg_lo:[1,0,0]
	v_pk_fma_f32 v[0:1], v[16:17], v[4:5], v[0:1] op_sel:[1,1,0] op_sel_hi:[0,1,1] neg_lo:[1,0,0]
	v_xor_b32_e32 v32, 0x80000000, v49
	v_pk_fma_f32 v[24:25], v[48:49], v[6:7], v[24:25] op_sel_hi:[1,0,1]
	v_mov_b32_e32 v33, v48
	v_xor_b32_e32 v2, 0x80000000, v19
	v_pk_fma_f32 v[0:1], v[18:19], v[6:7], v[0:1] op_sel_hi:[1,0,1]
	v_mov_b32_e32 v3, v18
	v_pk_fma_f32 v[54:55], v[32:33], v[58:59], v[24:25] op_sel_hi:[1,0,1]
	v_pk_fma_f32 v[46:47], v[2:3], v[58:59], v[0:1] op_sel_hi:[1,0,1]
	s_andn2_b64 exec, exec, s[14:15]
	s_cbranch_execnz .LBB30_17
; %bb.18:
	s_or_b64 exec, exec, s[14:15]
.LBB30_19:
	s_or_b64 exec, exec, s[10:11]
	v_mov_b32_e32 v75, v53
.LBB30_20:
	s_or_b64 exec, exec, s[8:9]
	s_cbranch_execz .LBB30_22
	s_branch .LBB30_33
.LBB30_21:
                                        ; implicit-def: $vgpr52
                                        ; implicit-def: $vgpr47
                                        ; implicit-def: $vgpr55
                                        ; implicit-def: $vgpr45
.LBB30_22:
	v_mov_b32_e32 v75, 0
	v_mov_b32_e32 v52, 0
	;; [unrolled: 1-line block ×8, first 2 shown]
	s_and_saveexec_b64 s[8:9], s[4:5]
	s_cbranch_execz .LBB30_32
; %bb.23:
	v_or_b32_e32 v0, 4, v74
	v_subrev_co_u32_e32 v0, vcc, s16, v0
	v_not_b32_e32 v3, v35
	s_nop 0
	v_subb_co_u32_e64 v1, s[4:5], 0, 0, vcc
	v_lshl_add_u64 v[0:1], v[0:1], 0, v[34:35]
	v_cmp_gt_i64_e32 vcc, v[0:1], v[78:79]
	v_not_b32_e32 v2, v34
	v_mov_b32_e32 v45, 0
	v_cndmask_b32_e32 v1, v79, v1, vcc
	v_cndmask_b32_e32 v0, v78, v0, vcc
	v_sub_co_u32_e32 v4, vcc, s16, v74
	v_mov_b32_e32 v55, v45
	s_nop 0
	v_subb_co_u32_e64 v5, s[4:5], 0, 0, vcc
	v_lshl_add_u64 v[2:3], v[4:5], 0, v[2:3]
	v_lshl_add_u64 v[0:1], v[2:3], 0, v[0:1]
	v_and_b32_e32 v44, 12, v0
	v_cmp_ne_u64_e32 vcc, 12, v[44:45]
	v_mov_b32_e32 v44, v45
	v_mov_b32_e32 v54, v45
	;; [unrolled: 1-line block ×6, first 2 shown]
	s_and_saveexec_b64 s[4:5], vcc
	s_cbranch_execz .LBB30_27
; %bb.24:
	v_lshrrev_b32_e32 v2, 2, v0
	v_add_u32_e32 v2, 1, v2
	v_and_b32_e32 v4, 3, v2
	v_sub_co_u32_e32 v4, vcc, 0, v4
	v_mov_b32_e32 v44, 0
	s_nop 0
	v_subb_co_u32_e64 v5, s[14:15], 0, 0, vcc
	v_lshl_add_u64 v[2:3], v[76:77], 2, s[12:13]
	s_mov_b64 s[10:11], 0
	s_mov_b64 s[14:15], 0x200
	v_mov_b32_e32 v45, v44
	v_mov_b32_e32 v54, v44
	;; [unrolled: 1-line block ×7, first 2 shown]
.LBB30_25:                              ; =>This Inner Loop Header: Depth=1
	global_load_dword v34, v[2:3], off
	global_load_dwordx4 v[6:9], v[80:81], off
	global_load_dwordx4 v[10:13], v[80:81], off offset:32
	global_load_dwordx4 v[14:17], v[80:81], off offset:48
	;; [unrolled: 1-line block ×6, first 2 shown]
	v_lshl_add_u64 v[4:5], v[4:5], 0, 1
	v_cmp_eq_u64_e32 vcc, 0, v[4:5]
	v_lshl_add_u64 v[76:77], v[76:77], 0, 4
	v_lshl_add_u64 v[2:3], v[2:3], 0, 16
	s_or_b64 s[10:11], vcc, s[10:11]
	s_waitcnt vmcnt(7)
	v_subrev_u32_e32 v34, s16, v34
	v_lshlrev_b32_e32 v34, 2, v34
	v_ashrrev_i32_e32 v35, 31, v34
	v_lshl_add_u64 v[42:43], v[34:35], 3, s[2:3]
	global_load_dwordx4 v[34:37], v[42:43], off offset:16
	global_load_dwordx4 v[38:41], v[42:43], off
	global_load_dwordx4 v[48:51], v[80:81], off offset:112
	s_waitcnt vmcnt(9)
	v_xor_b32_e32 v42, 0x80000000, v9
	v_mov_b32_e32 v43, v8
	s_waitcnt vmcnt(5)
	v_xor_b32_e32 v62, 0x80000000, v25
	v_mov_b32_e32 v63, v24
	v_xor_b32_e32 v56, 0x80000000, v13
	v_mov_b32_e32 v57, v12
	;; [unrolled: 2-line block ×4, first 2 shown]
	s_waitcnt vmcnt(3)
	v_xor_b32_e32 v66, 0x80000000, v33
	v_mov_b32_e32 v67, v32
	v_xor_b32_e32 v60, 0x80000000, v29
	v_mov_b32_e32 v61, v28
	v_lshl_add_u64 v[80:81], v[80:81], 0, s[14:15]
	s_waitcnt vmcnt(2)
	v_mov_b32_e32 v86, v37
	s_waitcnt vmcnt(1)
	v_pk_fma_f32 v[52:53], v[6:7], v[38:39], v[52:53] op_sel_hi:[1,0,1]
	v_pk_fma_f32 v[8:9], v[8:9], v[38:39], v[44:45] op_sel_hi:[1,0,1]
	;; [unrolled: 1-line block ×4, first 2 shown]
	v_pk_fma_f32 v[6:7], v[6:7], v[38:39], v[52:53] op_sel:[1,1,0] op_sel_hi:[0,1,1] neg_lo:[1,0,0]
	v_pk_fma_f32 v[8:9], v[42:43], v[38:39], v[8:9] op_sel:[0,1,0]
	v_pk_fma_f32 v[22:23], v[22:23], v[38:39], v[44:45] op_sel:[1,1,0] op_sel_hi:[0,1,1] neg_lo:[1,0,0]
	v_pk_fma_f32 v[24:25], v[62:63], v[38:39], v[24:25] op_sel:[0,1,0]
	v_mov_b32_e32 v84, v41
	v_pk_fma_f32 v[6:7], v[10:11], v[40:41], v[6:7] op_sel_hi:[1,0,1]
	v_pk_fma_f32 v[8:9], v[12:13], v[40:41], v[8:9] op_sel_hi:[1,0,1]
	;; [unrolled: 1-line block ×4, first 2 shown]
	v_pk_fma_f32 v[6:7], v[10:11], v[84:85], v[6:7] op_sel:[1,0,0] op_sel_hi:[0,0,1] neg_lo:[1,0,0]
	v_pk_fma_f32 v[8:9], v[56:57], v[84:85], v[8:9] op_sel_hi:[1,0,1]
	v_pk_fma_f32 v[10:11], v[14:15], v[84:85], v[12:13] op_sel:[1,0,0] op_sel_hi:[0,0,1] neg_lo:[1,0,0]
	v_pk_fma_f32 v[12:13], v[64:65], v[84:85], v[16:17] op_sel_hi:[1,0,1]
	v_pk_fma_f32 v[6:7], v[18:19], v[34:35], v[6:7] op_sel_hi:[1,0,1]
	;; [unrolled: 1-line block ×5, first 2 shown]
	v_pk_fma_f32 v[6:7], v[18:19], v[34:35], v[6:7] op_sel:[1,1,0] op_sel_hi:[0,1,1] neg_lo:[1,0,0]
	v_pk_fma_f32 v[8:9], v[58:59], v[34:35], v[8:9] op_sel:[0,1,0]
	v_pk_fma_f32 v[10:11], v[30:31], v[34:35], v[10:11] op_sel:[1,1,0] op_sel_hi:[0,1,1] neg_lo:[1,0,0]
	v_pk_fma_f32 v[12:13], v[66:67], v[34:35], v[12:13] op_sel:[0,1,0]
	s_waitcnt vmcnt(0)
	v_xor_b32_e32 v82, 0x80000000, v51
	v_mov_b32_e32 v83, v50
	v_pk_fma_f32 v[6:7], v[26:27], v[36:37], v[6:7] op_sel_hi:[1,0,1]
	v_pk_fma_f32 v[8:9], v[28:29], v[36:37], v[8:9] op_sel_hi:[1,0,1]
	;; [unrolled: 1-line block ×4, first 2 shown]
	v_pk_fma_f32 v[52:53], v[26:27], v[86:87], v[6:7] op_sel:[1,0,0] op_sel_hi:[0,0,1] neg_lo:[1,0,0]
	v_pk_fma_f32 v[44:45], v[60:61], v[86:87], v[8:9] op_sel_hi:[1,0,1]
	v_pk_fma_f32 v[54:55], v[48:49], v[86:87], v[10:11] op_sel:[1,0,0] op_sel_hi:[0,0,1] neg_lo:[1,0,0]
	v_pk_fma_f32 v[46:47], v[82:83], v[86:87], v[12:13] op_sel_hi:[1,0,1]
	s_andn2_b64 exec, exec, s[10:11]
	s_cbranch_execnz .LBB30_25
; %bb.26:
	s_or_b64 exec, exec, s[10:11]
.LBB30_27:
	s_or_b64 exec, exec, s[4:5]
	v_cmp_lt_u64_e32 vcc, 11, v[0:1]
	s_and_saveexec_b64 s[4:5], vcc
	s_cbranch_execz .LBB30_31
; %bb.28:
	v_lshl_add_u64 v[0:1], v[76:77], 2, s[12:13]
	v_lshl_add_u64 v[82:83], v[0:1], 0, 32
	s_mov_b64 s[10:11], 0
	s_mov_b64 s[12:13], 0x800
.LBB30_29:                              ; =>This Inner Loop Header: Depth=1
	global_load_dword v73, v[82:83], off offset:-32
	global_load_dwordx4 v[36:39], v[80:81], off
	global_load_dwordx4 v[24:27], v[80:81], off offset:16
	global_load_dwordx4 v[8:11], v[80:81], off offset:48
	;; [unrolled: 1-line block ×14, first 2 shown]
	global_load_dword v75, v[82:83], off offset:-16
	global_load_dword v102, v[82:83], off
	global_load_dword v103, v[82:83], off offset:16
	v_lshl_add_u64 v[76:77], v[76:77], 0, 16
	v_cmp_ge_i64_e32 vcc, v[76:77], v[78:79]
	v_lshl_add_u64 v[82:83], v[82:83], 0, 64
	s_or_b64 s[10:11], vcc, s[10:11]
	s_waitcnt vmcnt(18)
	v_subrev_u32_e32 v73, s16, v73
	v_lshlrev_b32_e32 v84, 2, v73
	v_ashrrev_i32_e32 v85, 31, v84
	v_lshl_add_u64 v[92:93], v[84:85], 3, s[2:3]
	global_load_dwordx4 v[84:87], v[92:93], off
	global_load_dwordx4 v[88:91], v[92:93], off offset:16
	s_waitcnt vmcnt(19)
	v_xor_b32_e32 v96, 0x80000000, v39
	v_mov_b32_e32 v97, v38
	global_load_dwordx4 v[92:95], v[80:81], off offset:576
	s_waitcnt vmcnt(3)
	v_subrev_u32_e32 v73, s16, v103
	s_waitcnt vmcnt(2)
	v_pk_fma_f32 v[52:53], v[36:37], v[84:85], v[52:53] op_sel_hi:[1,0,1]
	v_pk_fma_f32 v[38:39], v[38:39], v[84:85], v[44:45] op_sel_hi:[1,0,1]
	v_pk_fma_f32 v[44:45], v[36:37], v[84:85], v[52:53] op_sel:[1,1,0] op_sel_hi:[0,1,1] neg_lo:[1,0,0]
	v_xor_b32_e32 v36, 0x80000000, v27
	v_mov_b32_e32 v37, v26
	v_pk_fma_f32 v[52:53], v[24:25], v[84:85], v[54:55] op_sel_hi:[1,0,1]
	v_pk_fma_f32 v[46:47], v[26:27], v[84:85], v[46:47] op_sel_hi:[1,0,1]
	v_pk_fma_f32 v[52:53], v[24:25], v[84:85], v[52:53] op_sel:[1,1,0] op_sel_hi:[0,1,1] neg_lo:[1,0,0]
	v_pk_fma_f32 v[54:55], v[96:97], v[84:85], v[38:39] op_sel:[0,1,0]
	v_pk_fma_f32 v[46:47], v[36:37], v[84:85], v[46:47] op_sel:[0,1,0]
	v_pk_fma_f32 v[44:45], v[40:41], v[86:87], v[44:45] op_sel_hi:[1,0,1]
	v_pk_fma_f32 v[54:55], v[42:43], v[86:87], v[54:55] op_sel_hi:[1,0,1]
	;; [unrolled: 1-line block ×4, first 2 shown]
	v_mov_b32_e32 v86, v87
	v_xor_b32_e32 v96, 0x80000000, v43
	v_mov_b32_e32 v97, v42
	v_xor_b32_e32 v42, 0x80000000, v11
	v_mov_b32_e32 v43, v10
	v_pk_fma_f32 v[40:41], v[40:41], v[86:87], v[44:45] op_sel:[1,0,0] op_sel_hi:[0,0,1] neg_lo:[1,0,0]
	v_pk_fma_f32 v[98:99], v[8:9], v[86:87], v[52:53] op_sel:[1,0,0] op_sel_hi:[0,0,1] neg_lo:[1,0,0]
	v_pk_fma_f32 v[8:9], v[96:97], v[86:87], v[54:55] op_sel_hi:[1,0,1]
	v_pk_fma_f32 v[42:43], v[42:43], v[86:87], v[84:85] op_sel_hi:[1,0,1]
	v_xor_b32_e32 v84, 0x80000000, v67
	v_mov_b32_e32 v85, v66
	s_waitcnt vmcnt(1)
	v_pk_fma_f32 v[10:11], v[64:65], v[88:89], v[40:41] op_sel_hi:[1,0,1]
	v_pk_fma_f32 v[40:41], v[66:67], v[88:89], v[8:9] op_sel_hi:[1,0,1]
	v_xor_b32_e32 v66, 0x80000000, v15
	v_mov_b32_e32 v67, v14
	v_pk_fma_f32 v[86:87], v[12:13], v[88:89], v[98:99] op_sel_hi:[1,0,1]
	v_pk_fma_f32 v[42:43], v[14:15], v[88:89], v[42:43] op_sel_hi:[1,0,1]
	v_pk_fma_f32 v[64:65], v[64:65], v[88:89], v[10:11] op_sel:[1,1,0] op_sel_hi:[0,1,1] neg_lo:[1,0,0]
	v_pk_fma_f32 v[86:87], v[12:13], v[88:89], v[86:87] op_sel:[1,1,0] op_sel_hi:[0,1,1] neg_lo:[1,0,0]
	v_pk_fma_f32 v[84:85], v[84:85], v[88:89], v[40:41] op_sel:[0,1,0]
	v_pk_fma_f32 v[66:67], v[66:67], v[88:89], v[42:43] op_sel:[0,1,0]
	v_pk_fma_f32 v[64:65], v[60:61], v[90:91], v[64:65] op_sel_hi:[1,0,1]
	v_pk_fma_f32 v[84:85], v[62:63], v[90:91], v[84:85] op_sel_hi:[1,0,1]
	v_pk_fma_f32 v[86:87], v[56:57], v[90:91], v[86:87] op_sel_hi:[1,0,1]
	v_pk_fma_f32 v[66:67], v[58:59], v[90:91], v[66:67] op_sel_hi:[1,0,1]
	v_mov_b32_e32 v88, v91
	v_mov_b32_e32 v91, v62
	v_subrev_u32_e32 v62, s16, v75
	v_lshlrev_b32_e32 v62, 2, v62
	v_xor_b32_e32 v90, 0x80000000, v63
	v_ashrrev_i32_e32 v63, 31, v62
	v_pk_fma_f32 v[64:65], v[60:61], v[88:89], v[64:65] op_sel:[1,0,0] op_sel_hi:[0,0,1] neg_lo:[1,0,0]
	v_xor_b32_e32 v60, 0x80000000, v59
	v_mov_b32_e32 v61, v58
	v_lshl_add_u64 v[100:101], v[62:63], 3, s[2:3]
	global_load_dwordx4 v[24:27], v[80:81], off offset:1072
	global_load_dwordx4 v[36:39], v[80:81], off offset:1056
	;; [unrolled: 1-line block ×7, first 2 shown]
	v_pk_fma_f32 v[96:97], v[56:57], v[88:89], v[86:87] op_sel:[1,0,0] op_sel_hi:[0,0,1] neg_lo:[1,0,0]
	global_load_dwordx4 v[56:59], v[80:81], off offset:1088
	v_pk_fma_f32 v[90:91], v[90:91], v[88:89], v[84:85] op_sel_hi:[1,0,1]
	v_pk_fma_f32 v[66:67], v[60:61], v[88:89], v[66:67] op_sel_hi:[1,0,1]
	global_load_dwordx4 v[60:63], v[100:101], off
	global_load_dwordx4 v[84:87], v[100:101], off offset:16
	v_xor_b32_e32 v98, 0x80000000, v35
	v_mov_b32_e32 v99, v34
	v_xor_b32_e32 v88, 0x80000000, v31
	v_mov_b32_e32 v89, v30
	;; [unrolled: 2-line block ×3, first 2 shown]
	s_waitcnt vmcnt(1)
	v_pk_fma_f32 v[64:65], v[32:33], v[60:61], v[64:65] op_sel_hi:[1,0,1]
	v_pk_fma_f32 v[34:35], v[34:35], v[60:61], v[90:91] op_sel_hi:[1,0,1]
	v_pk_fma_f32 v[64:65], v[32:33], v[60:61], v[64:65] op_sel:[1,1,0] op_sel_hi:[0,1,1] neg_lo:[1,0,0]
	v_pk_fma_f32 v[32:33], v[28:29], v[60:61], v[96:97] op_sel_hi:[1,0,1]
	v_pk_fma_f32 v[66:67], v[30:31], v[60:61], v[66:67] op_sel_hi:[1,0,1]
	v_pk_fma_f32 v[96:97], v[98:99], v[60:61], v[34:35] op_sel:[0,1,0]
	v_pk_fma_f32 v[90:91], v[28:29], v[60:61], v[32:33] op_sel:[1,1,0] op_sel_hi:[0,1,1] neg_lo:[1,0,0]
	v_pk_fma_f32 v[60:61], v[88:89], v[60:61], v[66:67] op_sel:[0,1,0]
	v_xor_b32_e32 v66, 0x80000000, v23
	v_mov_b32_e32 v67, v22
	v_pk_fma_f32 v[88:89], v[22:23], v[62:63], v[96:97] op_sel_hi:[1,0,1]
	v_mov_b32_e32 v98, v63
	v_pk_fma_f32 v[64:65], v[20:21], v[62:63], v[64:65] op_sel_hi:[1,0,1]
	v_pk_fma_f32 v[90:91], v[16:17], v[62:63], v[90:91] op_sel_hi:[1,0,1]
	;; [unrolled: 1-line block ×4, first 2 shown]
	v_pk_fma_f32 v[64:65], v[20:21], v[98:99], v[64:65] op_sel:[1,0,0] op_sel_hi:[0,0,1] neg_lo:[1,0,0]
	v_pk_fma_f32 v[90:91], v[16:17], v[98:99], v[90:91] op_sel:[1,0,0] op_sel_hi:[0,0,1] neg_lo:[1,0,0]
	v_pk_fma_f32 v[88:89], v[100:101], v[98:99], v[96:97] op_sel_hi:[1,0,1]
	v_xor_b32_e32 v96, 0x80000000, v95
	v_mov_b32_e32 v97, v94
	s_waitcnt vmcnt(0)
	v_pk_fma_f32 v[94:95], v[94:95], v[84:85], v[66:67] op_sel_hi:[1,0,1]
	v_pk_fma_f32 v[64:65], v[92:93], v[84:85], v[64:65] op_sel_hi:[1,0,1]
	v_pk_fma_f32 v[94:95], v[96:97], v[84:85], v[94:95] op_sel:[0,1,0]
	v_xor_b32_e32 v96, 0x80000000, v51
	v_mov_b32_e32 v97, v50
	v_pk_fma_f32 v[90:91], v[48:49], v[84:85], v[90:91] op_sel_hi:[1,0,1]
	v_pk_fma_f32 v[88:89], v[50:51], v[84:85], v[88:89] op_sel_hi:[1,0,1]
	v_pk_fma_f32 v[92:93], v[92:93], v[84:85], v[64:65] op_sel:[1,1,0] op_sel_hi:[0,1,1] neg_lo:[1,0,0]
	v_pk_fma_f32 v[90:91], v[48:49], v[84:85], v[90:91] op_sel:[1,1,0] op_sel_hi:[0,1,1] neg_lo:[1,0,0]
	v_pk_fma_f32 v[84:85], v[96:97], v[84:85], v[88:89] op_sel:[0,1,0]
	v_pk_fma_f32 v[92:93], v[4:5], v[86:87], v[92:93] op_sel_hi:[1,0,1]
	v_pk_fma_f32 v[94:95], v[6:7], v[86:87], v[94:95] op_sel_hi:[1,0,1]
	;; [unrolled: 1-line block ×4, first 2 shown]
	v_mov_b32_e32 v86, v87
	v_mov_b32_e32 v97, v2
	v_subrev_u32_e32 v2, s16, v102
	v_pk_fma_f32 v[90:91], v[0:1], v[86:87], v[90:91] op_sel:[1,0,0] op_sel_hi:[0,0,1] neg_lo:[1,0,0]
	v_lshlrev_b32_e32 v0, 2, v2
	v_ashrrev_i32_e32 v1, 31, v0
	v_xor_b32_e32 v88, 0x80000000, v7
	v_mov_b32_e32 v89, v6
	v_xor_b32_e32 v96, 0x80000000, v3
	v_lshl_add_u64 v[100:101], v[0:1], 3, s[2:3]
	global_load_dwordx4 v[28:31], v[80:81], off offset:1584
	global_load_dwordx4 v[32:35], v[80:81], off offset:1568
	;; [unrolled: 1-line block ×7, first 2 shown]
	v_pk_fma_f32 v[92:93], v[4:5], v[86:87], v[92:93] op_sel:[1,0,0] op_sel_hi:[0,0,1] neg_lo:[1,0,0]
	global_load_dwordx4 v[4:7], v[80:81], off offset:1600
	v_pk_fma_f32 v[88:89], v[88:89], v[86:87], v[94:95] op_sel_hi:[1,0,1]
	v_pk_fma_f32 v[94:95], v[96:97], v[86:87], v[84:85] op_sel_hi:[1,0,1]
	global_load_dwordx4 v[0:3], v[100:101], off
	global_load_dwordx4 v[84:87], v[100:101], off offset:16
	v_xor_b32_e32 v98, 0x80000000, v55
	v_mov_b32_e32 v99, v54
	v_xor_b32_e32 v96, 0x80000000, v27
	v_mov_b32_e32 v97, v26
	v_lshl_add_u64 v[80:81], v[80:81], 0, s[12:13]
	s_waitcnt vmcnt(1)
	v_pk_fma_f32 v[90:91], v[44:45], v[0:1], v[90:91] op_sel_hi:[1,0,1]
	s_nop 0
	v_pk_fma_f32 v[90:91], v[44:45], v[0:1], v[90:91] op_sel:[1,1,0] op_sel_hi:[0,1,1] neg_lo:[1,0,0]
	v_lshlrev_b32_e32 v44, 2, v73
	v_ashrrev_i32_e32 v45, 31, v44
	v_pk_fma_f32 v[92:93], v[52:53], v[0:1], v[92:93] op_sel_hi:[1,0,1]
	v_lshl_add_u64 v[100:101], v[44:45], 3, s[2:3]
	v_pk_fma_f32 v[54:55], v[54:55], v[0:1], v[88:89] op_sel_hi:[1,0,1]
	v_pk_fma_f32 v[88:89], v[52:53], v[0:1], v[92:93] op_sel:[1,1,0] op_sel_hi:[0,1,1] neg_lo:[1,0,0]
	v_xor_b32_e32 v52, 0x80000000, v47
	v_mov_b32_e32 v53, v46
	v_pk_fma_f32 v[94:95], v[46:47], v[0:1], v[94:95] op_sel_hi:[1,0,1]
	global_load_dwordx4 v[44:47], v[100:101], off
	v_pk_fma_f32 v[98:99], v[98:99], v[0:1], v[54:55] op_sel:[0,1,0]
	v_pk_fma_f32 v[0:1], v[52:53], v[0:1], v[94:95] op_sel:[0,1,0]
	global_load_dwordx4 v[52:55], v[100:101], off offset:16
	v_xor_b32_e32 v92, 0x80000000, v39
	v_mov_b32_e32 v93, v38
	v_pk_fma_f32 v[88:89], v[36:37], v[2:3], v[88:89] op_sel_hi:[1,0,1]
	v_pk_fma_f32 v[38:39], v[38:39], v[2:3], v[98:99] op_sel_hi:[1,0,1]
	v_pk_fma_f32 v[90:91], v[24:25], v[2:3], v[90:91] op_sel_hi:[1,0,1]
	v_pk_fma_f32 v[0:1], v[26:27], v[2:3], v[0:1] op_sel_hi:[1,0,1]
	v_mov_b32_e32 v2, v3
	v_pk_fma_f32 v[36:37], v[36:37], v[2:3], v[88:89] op_sel:[1,0,0] op_sel_hi:[0,0,1] neg_lo:[1,0,0]
	v_pk_fma_f32 v[24:25], v[24:25], v[2:3], v[90:91] op_sel:[1,0,0] op_sel_hi:[0,0,1] neg_lo:[1,0,0]
	v_pk_fma_f32 v[38:39], v[92:93], v[2:3], v[38:39] op_sel_hi:[1,0,1]
	v_pk_fma_f32 v[0:1], v[96:97], v[2:3], v[0:1] op_sel_hi:[1,0,1]
	v_xor_b32_e32 v26, 0x80000000, v57
	v_xor_b32_e32 v88, 0x80000000, v59
	v_xor_b32_e32 v94, 0x80000000, v41
	v_xor_b32_e32 v90, 0x80000000, v43
	v_mov_b32_e32 v27, v56
	v_mov_b32_e32 v89, v58
	;; [unrolled: 1-line block ×4, first 2 shown]
	s_waitcnt vmcnt(2)
	v_pk_fma_f32 v[36:37], v[56:57], v[84:85], v[36:37] op_sel_hi:[1,0,1]
	v_pk_fma_f32 v[38:39], v[58:59], v[84:85], v[38:39] op_sel_hi:[1,0,1]
	;; [unrolled: 1-line block ×4, first 2 shown]
	v_pk_fma_f32 v[26:27], v[26:27], v[84:85], v[36:37] op_sel:[0,1,0]
	v_pk_fma_f32 v[38:39], v[88:89], v[84:85], v[38:39] op_sel:[0,1,0]
	;; [unrolled: 1-line block ×4, first 2 shown]
	v_xor_b32_e32 v98, 0x80000000, v15
	v_mov_b32_e32 v99, v14
	v_xor_b32_e32 v58, 0x80000000, v11
	v_mov_b32_e32 v59, v10
	v_mov_b32_e32 v94, v87
	v_pk_fma_f32 v[26:27], v[12:13], v[86:87], v[26:27] op_sel_hi:[1,0,1]
	v_pk_fma_f32 v[14:15], v[14:15], v[86:87], v[38:39] op_sel_hi:[1,0,1]
	;; [unrolled: 1-line block ×4, first 2 shown]
	v_pk_fma_f32 v[12:13], v[12:13], v[94:95], v[26:27] op_sel:[1,0,0] op_sel_hi:[0,0,1] neg_lo:[1,0,0]
	v_pk_fma_f32 v[14:15], v[98:99], v[94:95], v[14:15] op_sel_hi:[1,0,1]
	v_pk_fma_f32 v[8:9], v[8:9], v[94:95], v[24:25] op_sel:[1,0,0] op_sel_hi:[0,0,1] neg_lo:[1,0,0]
	v_pk_fma_f32 v[0:1], v[58:59], v[94:95], v[0:1] op_sel_hi:[1,0,1]
	v_xor_b32_e32 v92, 0x80000000, v63
	v_mov_b32_e32 v93, v62
	v_xor_b32_e32 v40, 0x80000000, v23
	v_mov_b32_e32 v41, v22
	v_xor_b32_e32 v2, 0x80000000, v35
	v_mov_b32_e32 v3, v34
	v_xor_b32_e32 v42, 0x80000000, v31
	v_mov_b32_e32 v43, v30
	v_xor_b32_e32 v96, 0x80000000, v7
	v_mov_b32_e32 v97, v6
	v_xor_b32_e32 v36, 0x80000000, v51
	v_mov_b32_e32 v37, v50
	v_xor_b32_e32 v56, 0x80000000, v67
	v_mov_b32_e32 v57, v66
	v_xor_b32_e32 v88, 0x80000000, v19
	v_mov_b32_e32 v89, v18
	s_waitcnt vmcnt(1)
	v_pk_fma_f32 v[12:13], v[60:61], v[44:45], v[12:13] op_sel_hi:[1,0,1]
	v_pk_fma_f32 v[14:15], v[62:63], v[44:45], v[14:15] op_sel_hi:[1,0,1]
	;; [unrolled: 1-line block ×4, first 2 shown]
	v_pk_fma_f32 v[12:13], v[60:61], v[44:45], v[12:13] op_sel:[1,1,0] op_sel_hi:[0,1,1] neg_lo:[1,0,0]
	v_pk_fma_f32 v[14:15], v[92:93], v[44:45], v[14:15] op_sel:[0,1,0]
	v_pk_fma_f32 v[8:9], v[20:21], v[44:45], v[8:9] op_sel:[1,1,0] op_sel_hi:[0,1,1] neg_lo:[1,0,0]
	v_pk_fma_f32 v[0:1], v[40:41], v[44:45], v[0:1] op_sel:[0,1,0]
	v_mov_b32_e32 v84, v47
	v_pk_fma_f32 v[12:13], v[32:33], v[46:47], v[12:13] op_sel_hi:[1,0,1]
	v_pk_fma_f32 v[14:15], v[34:35], v[46:47], v[14:15] op_sel_hi:[1,0,1]
	;; [unrolled: 1-line block ×4, first 2 shown]
	v_pk_fma_f32 v[12:13], v[32:33], v[84:85], v[12:13] op_sel:[1,0,0] op_sel_hi:[0,0,1] neg_lo:[1,0,0]
	v_pk_fma_f32 v[2:3], v[2:3], v[84:85], v[14:15] op_sel_hi:[1,0,1]
	v_pk_fma_f32 v[8:9], v[28:29], v[84:85], v[8:9] op_sel:[1,0,0] op_sel_hi:[0,0,1] neg_lo:[1,0,0]
	v_pk_fma_f32 v[0:1], v[42:43], v[84:85], v[0:1] op_sel_hi:[1,0,1]
	s_waitcnt vmcnt(0)
	v_pk_fma_f32 v[12:13], v[4:5], v[52:53], v[12:13] op_sel_hi:[1,0,1]
	v_pk_fma_f32 v[2:3], v[6:7], v[52:53], v[2:3] op_sel_hi:[1,0,1]
	;; [unrolled: 1-line block ×4, first 2 shown]
	v_pk_fma_f32 v[4:5], v[4:5], v[52:53], v[12:13] op_sel:[1,1,0] op_sel_hi:[0,1,1] neg_lo:[1,0,0]
	v_pk_fma_f32 v[2:3], v[96:97], v[52:53], v[2:3] op_sel:[0,1,0]
	v_pk_fma_f32 v[6:7], v[48:49], v[52:53], v[6:7] op_sel:[1,1,0] op_sel_hi:[0,1,1] neg_lo:[1,0,0]
	v_pk_fma_f32 v[0:1], v[36:37], v[52:53], v[0:1] op_sel:[0,1,0]
	v_mov_b32_e32 v10, v55
	v_pk_fma_f32 v[4:5], v[64:65], v[54:55], v[4:5] op_sel_hi:[1,0,1]
	v_pk_fma_f32 v[2:3], v[66:67], v[54:55], v[2:3] op_sel_hi:[1,0,1]
	;; [unrolled: 1-line block ×4, first 2 shown]
	v_pk_fma_f32 v[52:53], v[64:65], v[10:11], v[4:5] op_sel:[1,0,0] op_sel_hi:[0,0,1] neg_lo:[1,0,0]
	v_pk_fma_f32 v[44:45], v[56:57], v[10:11], v[2:3] op_sel_hi:[1,0,1]
	v_pk_fma_f32 v[54:55], v[16:17], v[10:11], v[6:7] op_sel:[1,0,0] op_sel_hi:[0,0,1] neg_lo:[1,0,0]
	v_pk_fma_f32 v[46:47], v[88:89], v[10:11], v[0:1] op_sel_hi:[1,0,1]
	s_andn2_b64 exec, exec, s[10:11]
	s_cbranch_execnz .LBB30_29
; %bb.30:
	s_or_b64 exec, exec, s[10:11]
.LBB30_31:
	s_or_b64 exec, exec, s[4:5]
	v_mov_b32_e32 v75, v53
.LBB30_32:
	s_or_b64 exec, exec, s[8:9]
.LBB30_33:
	v_mov_b32_dpp v6, v45 row_shr:1 row_mask:0xf bank_mask:0xf
	v_add_f32_e32 v7, v45, v6
	v_mov_b32_dpp v0, v52 row_shr:1 row_mask:0xf bank_mask:0xf
	v_mov_b32_dpp v6, v54 row_shr:1 row_mask:0xf bank_mask:0xf
	v_add_f32_e32 v9, v54, v6
	v_mov_b32_dpp v2, v75 row_shr:1 row_mask:0xf bank_mask:0xf
	;; [unrolled: 3-line block ×3, first 2 shown]
	v_mov_b32_dpp v6, v46 row_shr:1 row_mask:0xf bank_mask:0xf
	v_add_f32_e32 v15, v46, v6
	v_add_f32_e32 v0, v52, v0
	v_mov_b32_dpp v6, v47 row_shr:1 row_mask:0xf bank_mask:0xf
	v_add_f32_e32 v2, v75, v2
	v_add_f32_e32 v4, v44, v4
	;; [unrolled: 1-line block ×3, first 2 shown]
	v_mov_b32_dpp v1, v0 row_shr:2 row_mask:0xf bank_mask:0xf
	v_mov_b32_dpp v3, v2 row_shr:2 row_mask:0xf bank_mask:0xf
	;; [unrolled: 1-line block ×8, first 2 shown]
	v_cmp_eq_u32_e32 vcc, 3, v74
	s_and_b64 exec, exec, vcc
	s_cbranch_execz .LBB30_6
; %bb.34:
	s_load_dwordx2 s[0:1], s[0:1], 0x50
	v_cmp_eq_f32_e32 vcc, 0, v70
	s_xor_b64 s[2:3], s[6:7], -1
	v_add_f32_e32 v6, v0, v1
	v_add_f32_e32 v14, v2, v3
	;; [unrolled: 1-line block ×8, first 2 shown]
	s_and_b64 s[2:3], vcc, s[2:3]
	v_lshlrev_b32_e32 v16, 2, v72
	s_and_saveexec_b64 s[4:5], s[2:3]
	s_xor_b64 s[2:3], exec, s[4:5]
	s_cbranch_execz .LBB30_36
; %bb.35:
	v_xor_b32_e32 v18, 0x80000000, v69
	v_mov_b32_e32 v19, v68
	v_pk_mul_f32 v[14:15], v[14:15], v[18:19] op_sel_hi:[0,1]
	v_ashrrev_i32_e32 v17, 31, v16
	v_pk_fma_f32 v[14:15], v[68:69], v[6:7], v[14:15] op_sel_hi:[1,0,1]
	v_pk_mul_f32 v[6:7], v[12:13], v[18:19] op_sel_hi:[0,1]
	s_waitcnt lgkmcnt(0)
	v_lshl_add_u64 v[20:21], v[16:17], 3, s[0:1]
	v_pk_fma_f32 v[16:17], v[68:69], v[4:5], v[6:7] op_sel_hi:[1,0,1]
	v_pk_mul_f32 v[4:5], v[10:11], v[18:19] op_sel_hi:[0,1]
	v_pk_fma_f32 v[2:3], v[68:69], v[2:3], v[4:5] op_sel_hi:[1,0,1]
	v_pk_mul_f32 v[4:5], v[8:9], v[18:19] op_sel_hi:[0,1]
	v_pk_fma_f32 v[4:5], v[68:69], v[0:1], v[4:5] op_sel_hi:[1,0,1]
	global_store_dwordx4 v[20:21], v[14:17], off
	global_store_dwordx4 v[20:21], v[2:5], off offset:16
                                        ; implicit-def: $vgpr6
                                        ; implicit-def: $vgpr14
                                        ; implicit-def: $vgpr4
                                        ; implicit-def: $vgpr12
                                        ; implicit-def: $vgpr2
                                        ; implicit-def: $vgpr10
                                        ; implicit-def: $vgpr0
                                        ; implicit-def: $vgpr8
                                        ; implicit-def: $vgpr68_vgpr69
                                        ; implicit-def: $vgpr70_vgpr71
                                        ; implicit-def: $vgpr16
.LBB30_36:
	s_andn2_saveexec_b64 s[2:3], s[2:3]
	s_cbranch_execz .LBB30_6
; %bb.37:
	v_ashrrev_i32_e32 v17, 31, v16
	s_waitcnt lgkmcnt(0)
	v_lshl_add_u64 v[24:25], v[16:17], 3, s[0:1]
	global_load_dwordx4 v[16:19], v[24:25], off
	global_load_dwordx4 v[20:23], v[24:25], off offset:16
	v_xor_b32_e32 v26, 0x80000000, v69
	v_mov_b32_e32 v27, v68
	v_pk_mul_f32 v[14:15], v[14:15], v[26:27] op_sel_hi:[0,1]
	v_pk_mul_f32 v[12:13], v[12:13], v[26:27] op_sel_hi:[0,1]
	v_pk_mul_f32 v[10:11], v[10:11], v[26:27] op_sel_hi:[0,1]
	v_pk_mul_f32 v[8:9], v[8:9], v[26:27] op_sel_hi:[0,1]
	v_pk_fma_f32 v[6:7], v[68:69], v[6:7], v[14:15] op_sel_hi:[1,0,1]
	v_pk_fma_f32 v[4:5], v[68:69], v[4:5], v[12:13] op_sel_hi:[1,0,1]
	v_xor_b32_e32 v28, 0x80000000, v71
	v_mov_b32_e32 v29, v70
	v_pk_fma_f32 v[2:3], v[68:69], v[2:3], v[10:11] op_sel_hi:[1,0,1]
	v_pk_fma_f32 v[0:1], v[68:69], v[0:1], v[8:9] op_sel_hi:[1,0,1]
	s_waitcnt vmcnt(1)
	v_pk_fma_f32 v[6:7], v[70:71], v[16:17], v[6:7] op_sel_hi:[1,0,1]
	v_pk_fma_f32 v[4:5], v[70:71], v[18:19], v[4:5] op_sel_hi:[1,0,1]
	v_mov_b32_e32 v8, v19
	s_waitcnt vmcnt(0)
	v_pk_fma_f32 v[10:11], v[70:71], v[20:21], v[2:3] op_sel_hi:[1,0,1]
	v_pk_fma_f32 v[12:13], v[70:71], v[22:23], v[0:1] op_sel_hi:[1,0,1]
	v_mov_b32_e32 v14, v23
	v_pk_fma_f32 v[0:1], v[28:29], v[16:17], v[6:7] op_sel:[0,1,0]
	v_pk_fma_f32 v[2:3], v[28:29], v[8:9], v[4:5] op_sel_hi:[1,0,1]
	v_pk_fma_f32 v[4:5], v[28:29], v[20:21], v[10:11] op_sel:[0,1,0]
	v_pk_fma_f32 v[6:7], v[28:29], v[14:15], v[12:13] op_sel_hi:[1,0,1]
	global_store_dwordx4 v[24:25], v[0:3], off
	global_store_dwordx4 v[24:25], v[4:7], off offset:16
	s_endpgm
	.section	.rodata,"a",@progbits
	.p2align	6, 0x0
	.amdhsa_kernel _ZN9rocsparseL18bsrxmvn_4x4_kernelILj128ELj4E21rocsparse_complex_numIfEliS2_S2_S2_EEvT3_20rocsparse_direction_NS_24const_host_device_scalarIT1_EES3_PKS3_PKT2_SC_S9_PKT4_PKT5_S7_PT6_21rocsparse_index_base_b
		.amdhsa_group_segment_fixed_size 0
		.amdhsa_private_segment_fixed_size 0
		.amdhsa_kernarg_size 96
		.amdhsa_user_sgpr_count 2
		.amdhsa_user_sgpr_dispatch_ptr 0
		.amdhsa_user_sgpr_queue_ptr 0
		.amdhsa_user_sgpr_kernarg_segment_ptr 1
		.amdhsa_user_sgpr_dispatch_id 0
		.amdhsa_user_sgpr_kernarg_preload_length 0
		.amdhsa_user_sgpr_kernarg_preload_offset 0
		.amdhsa_user_sgpr_private_segment_size 0
		.amdhsa_uses_dynamic_stack 0
		.amdhsa_enable_private_segment 0
		.amdhsa_system_sgpr_workgroup_id_x 1
		.amdhsa_system_sgpr_workgroup_id_y 0
		.amdhsa_system_sgpr_workgroup_id_z 0
		.amdhsa_system_sgpr_workgroup_info 0
		.amdhsa_system_vgpr_workitem_id 0
		.amdhsa_next_free_vgpr 104
		.amdhsa_next_free_sgpr 20
		.amdhsa_accum_offset 104
		.amdhsa_reserve_vcc 1
		.amdhsa_float_round_mode_32 0
		.amdhsa_float_round_mode_16_64 0
		.amdhsa_float_denorm_mode_32 3
		.amdhsa_float_denorm_mode_16_64 3
		.amdhsa_dx10_clamp 1
		.amdhsa_ieee_mode 1
		.amdhsa_fp16_overflow 0
		.amdhsa_tg_split 0
		.amdhsa_exception_fp_ieee_invalid_op 0
		.amdhsa_exception_fp_denorm_src 0
		.amdhsa_exception_fp_ieee_div_zero 0
		.amdhsa_exception_fp_ieee_overflow 0
		.amdhsa_exception_fp_ieee_underflow 0
		.amdhsa_exception_fp_ieee_inexact 0
		.amdhsa_exception_int_div_zero 0
	.end_amdhsa_kernel
	.section	.text._ZN9rocsparseL18bsrxmvn_4x4_kernelILj128ELj4E21rocsparse_complex_numIfEliS2_S2_S2_EEvT3_20rocsparse_direction_NS_24const_host_device_scalarIT1_EES3_PKS3_PKT2_SC_S9_PKT4_PKT5_S7_PT6_21rocsparse_index_base_b,"axG",@progbits,_ZN9rocsparseL18bsrxmvn_4x4_kernelILj128ELj4E21rocsparse_complex_numIfEliS2_S2_S2_EEvT3_20rocsparse_direction_NS_24const_host_device_scalarIT1_EES3_PKS3_PKT2_SC_S9_PKT4_PKT5_S7_PT6_21rocsparse_index_base_b,comdat
.Lfunc_end30:
	.size	_ZN9rocsparseL18bsrxmvn_4x4_kernelILj128ELj4E21rocsparse_complex_numIfEliS2_S2_S2_EEvT3_20rocsparse_direction_NS_24const_host_device_scalarIT1_EES3_PKS3_PKT2_SC_S9_PKT4_PKT5_S7_PT6_21rocsparse_index_base_b, .Lfunc_end30-_ZN9rocsparseL18bsrxmvn_4x4_kernelILj128ELj4E21rocsparse_complex_numIfEliS2_S2_S2_EEvT3_20rocsparse_direction_NS_24const_host_device_scalarIT1_EES3_PKS3_PKT2_SC_S9_PKT4_PKT5_S7_PT6_21rocsparse_index_base_b
                                        ; -- End function
	.set _ZN9rocsparseL18bsrxmvn_4x4_kernelILj128ELj4E21rocsparse_complex_numIfEliS2_S2_S2_EEvT3_20rocsparse_direction_NS_24const_host_device_scalarIT1_EES3_PKS3_PKT2_SC_S9_PKT4_PKT5_S7_PT6_21rocsparse_index_base_b.num_vgpr, 104
	.set _ZN9rocsparseL18bsrxmvn_4x4_kernelILj128ELj4E21rocsparse_complex_numIfEliS2_S2_S2_EEvT3_20rocsparse_direction_NS_24const_host_device_scalarIT1_EES3_PKS3_PKT2_SC_S9_PKT4_PKT5_S7_PT6_21rocsparse_index_base_b.num_agpr, 0
	.set _ZN9rocsparseL18bsrxmvn_4x4_kernelILj128ELj4E21rocsparse_complex_numIfEliS2_S2_S2_EEvT3_20rocsparse_direction_NS_24const_host_device_scalarIT1_EES3_PKS3_PKT2_SC_S9_PKT4_PKT5_S7_PT6_21rocsparse_index_base_b.numbered_sgpr, 20
	.set _ZN9rocsparseL18bsrxmvn_4x4_kernelILj128ELj4E21rocsparse_complex_numIfEliS2_S2_S2_EEvT3_20rocsparse_direction_NS_24const_host_device_scalarIT1_EES3_PKS3_PKT2_SC_S9_PKT4_PKT5_S7_PT6_21rocsparse_index_base_b.num_named_barrier, 0
	.set _ZN9rocsparseL18bsrxmvn_4x4_kernelILj128ELj4E21rocsparse_complex_numIfEliS2_S2_S2_EEvT3_20rocsparse_direction_NS_24const_host_device_scalarIT1_EES3_PKS3_PKT2_SC_S9_PKT4_PKT5_S7_PT6_21rocsparse_index_base_b.private_seg_size, 0
	.set _ZN9rocsparseL18bsrxmvn_4x4_kernelILj128ELj4E21rocsparse_complex_numIfEliS2_S2_S2_EEvT3_20rocsparse_direction_NS_24const_host_device_scalarIT1_EES3_PKS3_PKT2_SC_S9_PKT4_PKT5_S7_PT6_21rocsparse_index_base_b.uses_vcc, 1
	.set _ZN9rocsparseL18bsrxmvn_4x4_kernelILj128ELj4E21rocsparse_complex_numIfEliS2_S2_S2_EEvT3_20rocsparse_direction_NS_24const_host_device_scalarIT1_EES3_PKS3_PKT2_SC_S9_PKT4_PKT5_S7_PT6_21rocsparse_index_base_b.uses_flat_scratch, 0
	.set _ZN9rocsparseL18bsrxmvn_4x4_kernelILj128ELj4E21rocsparse_complex_numIfEliS2_S2_S2_EEvT3_20rocsparse_direction_NS_24const_host_device_scalarIT1_EES3_PKS3_PKT2_SC_S9_PKT4_PKT5_S7_PT6_21rocsparse_index_base_b.has_dyn_sized_stack, 0
	.set _ZN9rocsparseL18bsrxmvn_4x4_kernelILj128ELj4E21rocsparse_complex_numIfEliS2_S2_S2_EEvT3_20rocsparse_direction_NS_24const_host_device_scalarIT1_EES3_PKS3_PKT2_SC_S9_PKT4_PKT5_S7_PT6_21rocsparse_index_base_b.has_recursion, 0
	.set _ZN9rocsparseL18bsrxmvn_4x4_kernelILj128ELj4E21rocsparse_complex_numIfEliS2_S2_S2_EEvT3_20rocsparse_direction_NS_24const_host_device_scalarIT1_EES3_PKS3_PKT2_SC_S9_PKT4_PKT5_S7_PT6_21rocsparse_index_base_b.has_indirect_call, 0
	.section	.AMDGPU.csdata,"",@progbits
; Kernel info:
; codeLenInByte = 6868
; TotalNumSgprs: 26
; NumVgprs: 104
; NumAgprs: 0
; TotalNumVgprs: 104
; ScratchSize: 0
; MemoryBound: 0
; FloatMode: 240
; IeeeMode: 1
; LDSByteSize: 0 bytes/workgroup (compile time only)
; SGPRBlocks: 3
; VGPRBlocks: 12
; NumSGPRsForWavesPerEU: 26
; NumVGPRsForWavesPerEU: 104
; AccumOffset: 104
; Occupancy: 4
; WaveLimiterHint : 1
; COMPUTE_PGM_RSRC2:SCRATCH_EN: 0
; COMPUTE_PGM_RSRC2:USER_SGPR: 2
; COMPUTE_PGM_RSRC2:TRAP_HANDLER: 0
; COMPUTE_PGM_RSRC2:TGID_X_EN: 1
; COMPUTE_PGM_RSRC2:TGID_Y_EN: 0
; COMPUTE_PGM_RSRC2:TGID_Z_EN: 0
; COMPUTE_PGM_RSRC2:TIDIG_COMP_CNT: 0
; COMPUTE_PGM_RSRC3_GFX90A:ACCUM_OFFSET: 25
; COMPUTE_PGM_RSRC3_GFX90A:TG_SPLIT: 0
	.section	.text._ZN9rocsparseL18bsrxmvn_4x4_kernelILj128ELj8E21rocsparse_complex_numIfEliS2_S2_S2_EEvT3_20rocsparse_direction_NS_24const_host_device_scalarIT1_EES3_PKS3_PKT2_SC_S9_PKT4_PKT5_S7_PT6_21rocsparse_index_base_b,"axG",@progbits,_ZN9rocsparseL18bsrxmvn_4x4_kernelILj128ELj8E21rocsparse_complex_numIfEliS2_S2_S2_EEvT3_20rocsparse_direction_NS_24const_host_device_scalarIT1_EES3_PKS3_PKT2_SC_S9_PKT4_PKT5_S7_PT6_21rocsparse_index_base_b,comdat
	.globl	_ZN9rocsparseL18bsrxmvn_4x4_kernelILj128ELj8E21rocsparse_complex_numIfEliS2_S2_S2_EEvT3_20rocsparse_direction_NS_24const_host_device_scalarIT1_EES3_PKS3_PKT2_SC_S9_PKT4_PKT5_S7_PT6_21rocsparse_index_base_b ; -- Begin function _ZN9rocsparseL18bsrxmvn_4x4_kernelILj128ELj8E21rocsparse_complex_numIfEliS2_S2_S2_EEvT3_20rocsparse_direction_NS_24const_host_device_scalarIT1_EES3_PKS3_PKT2_SC_S9_PKT4_PKT5_S7_PT6_21rocsparse_index_base_b
	.p2align	8
	.type	_ZN9rocsparseL18bsrxmvn_4x4_kernelILj128ELj8E21rocsparse_complex_numIfEliS2_S2_S2_EEvT3_20rocsparse_direction_NS_24const_host_device_scalarIT1_EES3_PKS3_PKT2_SC_S9_PKT4_PKT5_S7_PT6_21rocsparse_index_base_b,@function
_ZN9rocsparseL18bsrxmvn_4x4_kernelILj128ELj8E21rocsparse_complex_numIfEliS2_S2_S2_EEvT3_20rocsparse_direction_NS_24const_host_device_scalarIT1_EES3_PKS3_PKT2_SC_S9_PKT4_PKT5_S7_PT6_21rocsparse_index_base_b: ; @_ZN9rocsparseL18bsrxmvn_4x4_kernelILj128ELj8E21rocsparse_complex_numIfEliS2_S2_S2_EEvT3_20rocsparse_direction_NS_24const_host_device_scalarIT1_EES3_PKS3_PKT2_SC_S9_PKT4_PKT5_S7_PT6_21rocsparse_index_base_b
; %bb.0:
	s_load_dwordx2 s[4:5], s[0:1], 0x8
	s_load_dwordx2 s[16:17], s[0:1], 0x58
	s_add_u32 s3, s0, 8
	s_addc_u32 s8, s1, 0
	s_load_dwordx2 s[6:7], s[0:1], 0x48
	s_add_u32 s9, s0, 0x48
	s_addc_u32 s10, s1, 0
	s_waitcnt lgkmcnt(0)
	s_bitcmp1_b32 s17, 0
	s_cselect_b32 s3, s3, s4
	s_cselect_b32 s5, s8, s5
	v_mov_b32_e32 v2, s3
	s_cselect_b32 s3, s10, s7
	s_cselect_b32 s4, s9, s6
	v_mov_b32_e32 v3, s5
	v_mov_b32_e32 v4, s4
	;; [unrolled: 1-line block ×3, first 2 shown]
	flat_load_dwordx2 v[68:69], v[2:3]
	flat_load_dwordx2 v[70:71], v[4:5]
	s_waitcnt vmcnt(0) lgkmcnt(0)
	v_cmp_neq_f32_e32 vcc, 0, v68
	v_cmp_neq_f32_e64 s[4:5], 0, v69
	v_cmp_neq_f32_e64 s[8:9], 1.0, v70
	v_cmp_neq_f32_e64 s[6:7], 0, v71
	s_or_b64 s[4:5], vcc, s[4:5]
	s_or_b64 s[8:9], s[8:9], s[6:7]
	s_or_b64 s[4:5], s[4:5], s[8:9]
	s_and_saveexec_b64 s[8:9], s[4:5]
	s_cbranch_execz .LBB31_6
; %bb.1:
	s_load_dwordx2 s[8:9], s[0:1], 0x18
	s_load_dwordx2 s[4:5], s[0:1], 0x0
	v_lshrrev_b32_e32 v1, 3, v0
	v_lshl_or_b32 v72, s2, 4, v1
	s_mov_b64 s[2:3], 0
	s_waitcnt lgkmcnt(0)
	s_cmp_lg_u64 s[8:9], 0
	s_cbranch_scc0 .LBB31_7
; %bb.2:
	s_load_dword s10, s[0:1], 0x10
                                        ; implicit-def: $vgpr1
	s_waitcnt lgkmcnt(0)
	v_cmp_gt_i32_e32 vcc, s10, v72
	s_and_saveexec_b64 s[10:11], vcc
	s_xor_b64 s[10:11], exec, s[10:11]
	s_cbranch_execz .LBB31_4
; %bb.3:
	v_ashrrev_i32_e32 v73, 31, v72
	v_lshl_add_u64 v[2:3], v[72:73], 2, s[8:9]
	global_load_dword v1, v[2:3], off
	s_mov_b64 s[2:3], exec
	s_waitcnt vmcnt(0)
	v_subrev_u32_e32 v1, s16, v1
.LBB31_4:
	s_or_b64 exec, exec, s[10:11]
	s_branch .LBB31_8
.LBB31_5:
	v_cmp_gt_i32_e32 vcc, s4, v72
	s_andn2_b64 s[2:3], s[2:3], exec
	s_and_b64 s[8:9], vcc, exec
	s_or_b64 s[2:3], s[2:3], s[8:9]
	s_and_b64 exec, exec, s[2:3]
	s_cbranch_execnz .LBB31_9
.LBB31_6:
	s_endpgm
.LBB31_7:
                                        ; implicit-def: $vgpr1
	s_cbranch_execnz .LBB31_5
.LBB31_8:
	v_mov_b32_e32 v72, v1
	s_and_b64 exec, exec, s[2:3]
	s_cbranch_execz .LBB31_6
.LBB31_9:
	s_load_dwordx8 s[8:15], s[0:1], 0x20
	v_ashrrev_i32_e32 v73, 31, v72
	v_lshlrev_b64 v[2:3], 3, v[72:73]
	s_load_dwordx2 s[2:3], s[0:1], 0x40
	v_and_b32_e32 v74, 7, v0
	s_waitcnt lgkmcnt(0)
	v_lshl_add_u64 v[4:5], s[8:9], 0, v[2:3]
	s_cmp_eq_u64 s[10:11], 0
	v_lshl_add_u64 v[2:3], s[10:11], 0, v[2:3]
	global_load_dwordx2 v[34:35], v[4:5], off
	v_lshl_add_u64 v[4:5], v[4:5], 0, 8
	s_cselect_b64 vcc, -1, 0
	v_cndmask_b32_e32 v3, v3, v5, vcc
	v_cndmask_b32_e32 v2, v2, v4, vcc
	global_load_dwordx2 v[2:3], v[2:3], off
	v_mov_b32_e32 v75, 0
	s_cmp_eq_u32 s5, 1
	s_waitcnt vmcnt(1)
	v_subrev_co_u32_e32 v0, vcc, s16, v34
	s_nop 1
	v_subbrev_co_u32_e32 v1, vcc, 0, v35, vcc
	v_lshl_add_u64 v[76:77], v[0:1], 0, v[74:75]
	s_waitcnt vmcnt(0)
	v_subrev_co_u32_e32 v78, vcc, s16, v2
	v_lshlrev_b64 v[0:1], 7, v[76:77]
	s_nop 0
	v_subbrev_co_u32_e32 v79, vcc, 0, v3, vcc
	v_lshl_add_u64 v[80:81], s[14:15], 0, v[0:1]
	v_cmp_lt_i64_e64 s[4:5], v[76:77], v[78:79]
	s_cbranch_scc1 .LBB31_21
; %bb.10:
	v_mov_b32_e32 v52, v75
	v_mov_b32_e32 v47, v75
	;; [unrolled: 1-line block ×7, first 2 shown]
	s_and_saveexec_b64 s[8:9], s[4:5]
	s_cbranch_execz .LBB31_20
; %bb.11:
	v_or_b32_e32 v0, 8, v74
	v_subrev_co_u32_e32 v0, vcc, s16, v0
	v_not_b32_e32 v3, v35
	s_nop 0
	v_subb_co_u32_e64 v1, s[10:11], 0, 0, vcc
	v_lshl_add_u64 v[0:1], v[0:1], 0, v[34:35]
	v_cmp_gt_i64_e32 vcc, v[0:1], v[78:79]
	v_not_b32_e32 v2, v34
	v_mov_b32_e32 v45, 0
	v_cndmask_b32_e32 v1, v79, v1, vcc
	v_cndmask_b32_e32 v0, v78, v0, vcc
	v_sub_co_u32_e32 v4, vcc, s16, v74
	v_mov_b32_e32 v55, v45
	s_nop 0
	v_subb_co_u32_e64 v5, s[10:11], 0, 0, vcc
	v_lshl_add_u64 v[2:3], v[4:5], 0, v[2:3]
	v_lshl_add_u64 v[0:1], v[2:3], 0, v[0:1]
	v_and_b32_e32 v44, 24, v0
	v_cmp_ne_u64_e32 vcc, 24, v[44:45]
	v_mov_b32_e32 v44, v45
	v_mov_b32_e32 v54, v45
	;; [unrolled: 1-line block ×6, first 2 shown]
	v_mov_b64_e32 v[36:37], v[80:81]
	v_mov_b64_e32 v[38:39], v[76:77]
	s_and_saveexec_b64 s[10:11], vcc
	s_cbranch_execz .LBB31_15
; %bb.12:
	v_lshrrev_b32_e32 v2, 3, v0
	v_add_u32_e32 v2, 1, v2
	v_and_b32_e32 v4, 3, v2
	v_sub_co_u32_e32 v4, vcc, 0, v4
	v_mov_b32_e32 v44, 0
	s_nop 0
	v_subb_co_u32_e64 v5, s[18:19], 0, 0, vcc
	v_lshl_add_u64 v[2:3], v[76:77], 2, s[12:13]
	s_mov_b64 s[14:15], 0
	s_mov_b64 s[18:19], 0x400
	v_mov_b64_e32 v[38:39], v[76:77]
	v_mov_b64_e32 v[36:37], v[80:81]
	v_mov_b32_e32 v45, v44
	v_mov_b32_e32 v54, v44
	;; [unrolled: 1-line block ×7, first 2 shown]
.LBB31_13:                              ; =>This Inner Loop Header: Depth=1
	global_load_dword v48, v[2:3], off
	global_load_dwordx4 v[6:9], v[36:37], off
	global_load_dwordx4 v[10:13], v[36:37], off offset:16
	global_load_dwordx4 v[14:17], v[36:37], off offset:32
	;; [unrolled: 1-line block ×7, first 2 shown]
	v_lshl_add_u64 v[4:5], v[4:5], 0, 1
	v_cmp_eq_u64_e32 vcc, 0, v[4:5]
	v_lshl_add_u64 v[36:37], v[36:37], 0, s[18:19]
	v_lshl_add_u64 v[38:39], v[38:39], 0, 8
	;; [unrolled: 1-line block ×3, first 2 shown]
	s_or_b64 s[14:15], vcc, s[14:15]
	s_waitcnt vmcnt(8)
	v_subrev_u32_e32 v48, s16, v48
	v_lshlrev_b32_e32 v48, 2, v48
	v_ashrrev_i32_e32 v49, 31, v48
	v_lshl_add_u64 v[60:61], v[48:49], 3, s[2:3]
	global_load_dwordx4 v[48:51], v[60:61], off
	global_load_dwordx4 v[56:59], v[60:61], off offset:16
	s_waitcnt vmcnt(9)
	v_xor_b32_e32 v60, 0x80000000, v9
	v_mov_b32_e32 v61, v8
	s_waitcnt vmcnt(7)
	v_xor_b32_e32 v64, 0x80000000, v17
	v_mov_b32_e32 v65, v16
	;; [unrolled: 3-line block ×4, first 2 shown]
	v_xor_b32_e32 v62, 0x80000000, v13
	v_mov_b32_e32 v63, v12
	v_xor_b32_e32 v66, 0x80000000, v21
	v_mov_b32_e32 v67, v20
	;; [unrolled: 2-line block ×4, first 2 shown]
	s_waitcnt vmcnt(1)
	v_pk_fma_f32 v[52:53], v[6:7], v[48:49], v[52:53] op_sel_hi:[1,0,1]
	v_pk_fma_f32 v[44:45], v[14:15], v[48:49], v[44:45] op_sel_hi:[1,0,1]
	;; [unrolled: 1-line block ×4, first 2 shown]
	v_pk_fma_f32 v[6:7], v[6:7], v[48:49], v[52:53] op_sel:[1,1,0] op_sel_hi:[0,1,1] neg_lo:[1,0,0]
	v_pk_fma_f32 v[14:15], v[14:15], v[48:49], v[44:45] op_sel:[1,1,0] op_sel_hi:[0,1,1] neg_lo:[1,0,0]
	;; [unrolled: 1-line block ×4, first 2 shown]
	v_mov_b32_e32 v90, v51
	v_pk_fma_f32 v[6:7], v[8:9], v[50:51], v[6:7] op_sel_hi:[1,0,1]
	v_pk_fma_f32 v[8:9], v[16:17], v[50:51], v[14:15] op_sel_hi:[1,0,1]
	;; [unrolled: 1-line block ×8, first 2 shown]
	s_waitcnt vmcnt(0)
	v_pk_fma_f32 v[6:7], v[10:11], v[56:57], v[6:7] op_sel_hi:[1,0,1]
	v_pk_fma_f32 v[8:9], v[18:19], v[56:57], v[8:9] op_sel_hi:[1,0,1]
	;; [unrolled: 1-line block ×4, first 2 shown]
	v_pk_fma_f32 v[6:7], v[10:11], v[56:57], v[6:7] op_sel:[1,1,0] op_sel_hi:[0,1,1] neg_lo:[1,0,0]
	v_pk_fma_f32 v[8:9], v[18:19], v[56:57], v[8:9] op_sel:[1,1,0] op_sel_hi:[0,1,1] neg_lo:[1,0,0]
	;; [unrolled: 1-line block ×4, first 2 shown]
	v_mov_b32_e32 v92, v59
	v_pk_fma_f32 v[6:7], v[12:13], v[58:59], v[6:7] op_sel_hi:[1,0,1]
	v_pk_fma_f32 v[8:9], v[20:21], v[58:59], v[8:9] op_sel_hi:[1,0,1]
	;; [unrolled: 1-line block ×8, first 2 shown]
	s_andn2_b64 exec, exec, s[14:15]
	s_cbranch_execnz .LBB31_13
; %bb.14:
	s_or_b64 exec, exec, s[14:15]
.LBB31_15:
	s_or_b64 exec, exec, s[10:11]
	v_cmp_lt_u64_e32 vcc, 23, v[0:1]
	s_and_saveexec_b64 s[10:11], vcc
	s_cbranch_execz .LBB31_19
; %bb.16:
	v_lshl_add_u64 v[0:1], v[38:39], 2, s[12:13]
	v_lshl_add_u64 v[40:41], v[0:1], 0, 64
	s_mov_b64 s[14:15], 0
	s_mov_b64 s[18:19], 0x80
	;; [unrolled: 1-line block ×3, first 2 shown]
.LBB31_17:                              ; =>This Inner Loop Header: Depth=1
	global_load_dword v0, v[40:41], off offset:-64
	v_lshl_add_u64 v[38:39], v[38:39], 0, 32
	v_cmp_ge_i64_e32 vcc, v[38:39], v[78:79]
	s_or_b64 s[14:15], vcc, s[14:15]
	s_waitcnt vmcnt(0)
	v_subrev_u32_e32 v0, s16, v0
	v_lshlrev_b32_e32 v0, 2, v0
	v_ashrrev_i32_e32 v1, 31, v0
	v_lshl_add_u64 v[4:5], v[0:1], 3, s[2:3]
	global_load_dwordx4 v[0:3], v[4:5], off offset:16
	global_load_dwordx4 v[16:19], v[4:5], off
	global_load_dword v6, v[40:41], off offset:-32
	s_waitcnt vmcnt(2)
	v_mov_b32_e32 v66, v3
	s_waitcnt vmcnt(1)
	v_mov_b32_e32 v64, v19
	s_waitcnt vmcnt(0)
	v_subrev_u32_e32 v4, s16, v6
	v_lshlrev_b32_e32 v4, 2, v4
	v_ashrrev_i32_e32 v5, 31, v4
	v_lshl_add_u64 v[28:29], v[4:5], 3, s[2:3]
	global_load_dwordx4 v[4:7], v[28:29], off offset:16
	global_load_dwordx4 v[8:11], v[28:29], off
	global_load_dwordx4 v[20:23], v[36:37], off offset:48
	global_load_dwordx4 v[30:33], v[36:37], off offset:32
	;; [unrolled: 1-line block ×3, first 2 shown]
	global_load_dwordx4 v[24:27], v[36:37], off
	s_waitcnt vmcnt(0)
	v_pk_fma_f32 v[28:29], v[24:25], v[16:17], v[52:53] op_sel_hi:[1,0,1]
	s_nop 0
	v_pk_fma_f32 v[24:25], v[24:25], v[16:17], v[28:29] op_sel:[1,1,0] op_sel_hi:[0,1,1] neg_lo:[1,0,0]
	v_xor_b32_e32 v28, 0x80000000, v27
	v_pk_fma_f32 v[24:25], v[26:27], v[18:19], v[24:25] op_sel_hi:[1,0,1]
	v_mov_b32_e32 v29, v26
	v_pk_fma_f32 v[24:25], v[28:29], v[64:65], v[24:25] op_sel_hi:[1,0,1]
	s_nop 0
	v_pk_fma_f32 v[24:25], v[12:13], v[0:1], v[24:25] op_sel_hi:[1,0,1]
	s_nop 0
	v_pk_fma_f32 v[12:13], v[12:13], v[0:1], v[24:25] op_sel:[1,1,0] op_sel_hi:[0,1,1] neg_lo:[1,0,0]
	v_xor_b32_e32 v24, 0x80000000, v15
	v_pk_fma_f32 v[12:13], v[14:15], v[2:3], v[12:13] op_sel_hi:[1,0,1]
	v_mov_b32_e32 v25, v14
	v_pk_fma_f32 v[24:25], v[24:25], v[66:67], v[12:13] op_sel_hi:[1,0,1]
	global_load_dwordx4 v[12:15], v[36:37], off offset:1072
	global_load_dwordx4 v[26:29], v[36:37], off offset:1056
	;; [unrolled: 1-line block ×4, first 2 shown]
	s_waitcnt vmcnt(0)
	v_pk_fma_f32 v[24:25], v[56:57], v[8:9], v[24:25] op_sel_hi:[1,0,1]
	s_nop 0
	v_pk_fma_f32 v[56:57], v[56:57], v[8:9], v[24:25] op_sel:[1,1,0] op_sel_hi:[0,1,1] neg_lo:[1,0,0]
	v_pk_fma_f32 v[24:25], v[30:31], v[16:17], v[44:45] op_sel_hi:[1,0,1]
	s_nop 0
	v_pk_fma_f32 v[24:25], v[30:31], v[16:17], v[24:25] op_sel:[1,1,0] op_sel_hi:[0,1,1] neg_lo:[1,0,0]
	v_xor_b32_e32 v30, 0x80000000, v33
	v_pk_fma_f32 v[24:25], v[32:33], v[18:19], v[24:25] op_sel_hi:[1,0,1]
	v_mov_b32_e32 v31, v32
	v_pk_fma_f32 v[24:25], v[30:31], v[64:65], v[24:25] op_sel_hi:[1,0,1]
	s_nop 0
	v_pk_fma_f32 v[24:25], v[20:21], v[0:1], v[24:25] op_sel_hi:[1,0,1]
	s_nop 0
	v_pk_fma_f32 v[20:21], v[20:21], v[0:1], v[24:25] op_sel:[1,1,0] op_sel_hi:[0,1,1] neg_lo:[1,0,0]
	v_xor_b32_e32 v24, 0x80000000, v23
	v_pk_fma_f32 v[20:21], v[22:23], v[2:3], v[20:21] op_sel_hi:[1,0,1]
	v_mov_b32_e32 v25, v22
	v_pk_fma_f32 v[20:21], v[24:25], v[66:67], v[20:21] op_sel_hi:[1,0,1]
	s_nop 0
	v_pk_fma_f32 v[20:21], v[26:27], v[8:9], v[20:21] op_sel_hi:[1,0,1]
	s_nop 0
	v_pk_fma_f32 v[82:83], v[26:27], v[8:9], v[20:21] op_sel:[1,1,0] op_sel_hi:[0,1,1] neg_lo:[1,0,0]
	global_load_dwordx4 v[30:33], v[36:37], off offset:112
	global_load_dwordx4 v[42:45], v[36:37], off offset:96
	;; [unrolled: 1-line block ×4, first 2 shown]
	s_waitcnt vmcnt(2)
	v_pk_fma_f32 v[46:47], v[42:43], v[16:17], v[46:47] op_sel_hi:[1,0,1]
	s_waitcnt vmcnt(0)
	v_pk_fma_f32 v[52:53], v[24:25], v[16:17], v[54:55] op_sel_hi:[1,0,1]
	s_nop 0
	v_pk_fma_f32 v[24:25], v[24:25], v[16:17], v[52:53] op_sel:[1,1,0] op_sel_hi:[0,1,1] neg_lo:[1,0,0]
	v_xor_b32_e32 v52, 0x80000000, v27
	v_pk_fma_f32 v[24:25], v[26:27], v[18:19], v[24:25] op_sel_hi:[1,0,1]
	v_mov_b32_e32 v53, v26
	v_pk_fma_f32 v[24:25], v[52:53], v[64:65], v[24:25] op_sel_hi:[1,0,1]
	v_pk_fma_f32 v[16:17], v[42:43], v[16:17], v[46:47] op_sel:[1,1,0] op_sel_hi:[0,1,1] neg_lo:[1,0,0]
	v_pk_fma_f32 v[24:25], v[20:21], v[0:1], v[24:25] op_sel_hi:[1,0,1]
	v_xor_b32_e32 v42, 0x80000000, v45
	v_pk_fma_f32 v[20:21], v[20:21], v[0:1], v[24:25] op_sel:[1,1,0] op_sel_hi:[0,1,1] neg_lo:[1,0,0]
	v_xor_b32_e32 v24, 0x80000000, v23
	v_pk_fma_f32 v[20:21], v[22:23], v[2:3], v[20:21] op_sel_hi:[1,0,1]
	v_mov_b32_e32 v25, v22
	v_pk_fma_f32 v[84:85], v[24:25], v[66:67], v[20:21] op_sel_hi:[1,0,1]
	global_load_dwordx4 v[20:23], v[36:37], off offset:1136
	global_load_dwordx4 v[24:27], v[36:37], off offset:1120
	;; [unrolled: 1-line block ×4, first 2 shown]
	v_pk_fma_f32 v[16:17], v[44:45], v[18:19], v[16:17] op_sel_hi:[1,0,1]
	v_mov_b32_e32 v43, v44
	v_pk_fma_f32 v[16:17], v[42:43], v[64:65], v[16:17] op_sel_hi:[1,0,1]
	v_pk_fma_f32 v[18:19], v[58:59], v[10:11], v[56:57] op_sel_hi:[1,0,1]
	;; [unrolled: 1-line block ×3, first 2 shown]
	v_mov_b32_e32 v64, v11
	v_pk_fma_f32 v[0:1], v[30:31], v[0:1], v[16:17] op_sel:[1,1,0] op_sel_hi:[0,1,1] neg_lo:[1,0,0]
	v_xor_b32_e32 v16, 0x80000000, v33
	v_pk_fma_f32 v[0:1], v[32:33], v[2:3], v[0:1] op_sel_hi:[1,0,1]
	v_mov_b32_e32 v17, v32
	v_pk_fma_f32 v[0:1], v[16:17], v[66:67], v[0:1] op_sel_hi:[1,0,1]
	v_mov_b32_e32 v66, v7
	s_waitcnt vmcnt(2)
	v_pk_fma_f32 v[0:1], v[24:25], v[8:9], v[0:1] op_sel_hi:[1,0,1]
	s_waitcnt vmcnt(0)
	v_pk_fma_f32 v[84:85], v[60:61], v[8:9], v[84:85] op_sel_hi:[1,0,1]
	s_nop 0
	v_pk_fma_f32 v[60:61], v[60:61], v[8:9], v[84:85] op_sel:[1,1,0] op_sel_hi:[0,1,1] neg_lo:[1,0,0]
	v_pk_fma_f32 v[8:9], v[24:25], v[8:9], v[0:1] op_sel:[1,1,0] op_sel_hi:[0,1,1] neg_lo:[1,0,0]
	global_load_dword v0, v[40:41], off
	v_pk_fma_f32 v[8:9], v[26:27], v[10:11], v[8:9] op_sel_hi:[1,0,1]
	s_waitcnt vmcnt(0)
	v_subrev_u32_e32 v0, s16, v0
	v_lshlrev_b32_e32 v0, 2, v0
	v_ashrrev_i32_e32 v1, 31, v0
	v_lshl_add_u64 v[16:17], v[0:1], 3, s[2:3]
	global_load_dwordx4 v[0:3], v[16:17], off offset:16
	global_load_dwordx4 v[30:33], v[16:17], off
	v_xor_b32_e32 v16, 0x80000000, v59
	v_mov_b32_e32 v17, v58
	v_pk_fma_f32 v[16:17], v[16:17], v[64:65], v[18:19] op_sel_hi:[1,0,1]
	v_xor_b32_e32 v18, 0x80000000, v51
	v_pk_fma_f32 v[16:17], v[48:49], v[4:5], v[16:17] op_sel_hi:[1,0,1]
	v_mov_b32_e32 v19, v50
	v_pk_fma_f32 v[16:17], v[48:49], v[4:5], v[16:17] op_sel:[1,1,0] op_sel_hi:[0,1,1] neg_lo:[1,0,0]
	v_pk_fma_f32 v[16:17], v[50:51], v[6:7], v[16:17] op_sel_hi:[1,0,1]
	s_nop 0
	v_pk_fma_f32 v[24:25], v[18:19], v[66:67], v[16:17] op_sel_hi:[1,0,1]
	global_load_dwordx4 v[16:19], v[36:37], off offset:2096
	global_load_dwordx4 v[42:45], v[36:37], off offset:2080
	;; [unrolled: 1-line block ×4, first 2 shown]
	s_waitcnt vmcnt(1)
	v_xor_b32_e32 v84, 0x80000000, v47
	s_waitcnt vmcnt(0)
	v_pk_fma_f32 v[24:25], v[56:57], v[30:31], v[24:25] op_sel_hi:[1,0,1]
	v_xor_b32_e32 v50, 0x80000000, v59
	v_pk_fma_f32 v[24:25], v[56:57], v[30:31], v[24:25] op_sel:[1,1,0] op_sel_hi:[0,1,1] neg_lo:[1,0,0]
	v_pk_fma_f32 v[24:25], v[58:59], v[32:33], v[24:25] op_sel_hi:[1,0,1]
	v_mov_b32_e32 v51, v58
	v_mov_b32_e32 v58, v33
	v_pk_fma_f32 v[24:25], v[50:51], v[58:59], v[24:25] op_sel_hi:[1,0,1]
	v_pk_fma_f32 v[50:51], v[28:29], v[10:11], v[82:83] op_sel_hi:[1,0,1]
	;; [unrolled: 1-line block ×3, first 2 shown]
	v_xor_b32_e32 v24, 0x80000000, v29
	v_mov_b32_e32 v25, v28
	v_pk_fma_f32 v[24:25], v[24:25], v[64:65], v[50:51] op_sel_hi:[1,0,1]
	v_mov_b32_e32 v85, v46
	v_pk_fma_f32 v[24:25], v[12:13], v[4:5], v[24:25] op_sel_hi:[1,0,1]
	s_nop 0
	v_pk_fma_f32 v[12:13], v[12:13], v[4:5], v[24:25] op_sel:[1,1,0] op_sel_hi:[0,1,1] neg_lo:[1,0,0]
	v_xor_b32_e32 v24, 0x80000000, v15
	v_pk_fma_f32 v[12:13], v[14:15], v[6:7], v[12:13] op_sel_hi:[1,0,1]
	v_mov_b32_e32 v25, v14
	v_pk_fma_f32 v[12:13], v[24:25], v[66:67], v[12:13] op_sel_hi:[1,0,1]
	v_xor_b32_e32 v14, 0x80000000, v45
	v_pk_fma_f32 v[12:13], v[42:43], v[30:31], v[12:13] op_sel_hi:[1,0,1]
	v_mov_b32_e32 v15, v44
	v_pk_fma_f32 v[12:13], v[42:43], v[30:31], v[12:13] op_sel:[1,1,0] op_sel_hi:[0,1,1] neg_lo:[1,0,0]
	v_pk_fma_f32 v[12:13], v[44:45], v[32:33], v[12:13] op_sel_hi:[1,0,1]
	v_xor_b32_e32 v24, 0x80000000, v17
	v_pk_fma_f32 v[12:13], v[14:15], v[58:59], v[12:13] op_sel_hi:[1,0,1]
	v_pk_fma_f32 v[14:15], v[62:63], v[10:11], v[60:61] op_sel_hi:[1,0,1]
	;; [unrolled: 1-line block ×3, first 2 shown]
	v_xor_b32_e32 v12, 0x80000000, v63
	v_mov_b32_e32 v13, v62
	v_pk_fma_f32 v[12:13], v[12:13], v[64:65], v[14:15] op_sel_hi:[1,0,1]
	v_xor_b32_e32 v14, 0x80000000, v55
	v_pk_fma_f32 v[12:13], v[52:53], v[4:5], v[12:13] op_sel_hi:[1,0,1]
	v_mov_b32_e32 v15, v54
	v_pk_fma_f32 v[12:13], v[52:53], v[4:5], v[12:13] op_sel:[1,1,0] op_sel_hi:[0,1,1] neg_lo:[1,0,0]
	v_pk_fma_f32 v[12:13], v[54:55], v[6:7], v[12:13] op_sel_hi:[1,0,1]
	v_mov_b32_e32 v25, v16
	v_pk_fma_f32 v[60:61], v[14:15], v[66:67], v[12:13] op_sel_hi:[1,0,1]
	global_load_dwordx4 v[12:15], v[36:37], off offset:2160
	global_load_dwordx4 v[42:45], v[36:37], off offset:2144
	;; [unrolled: 1-line block ×4, first 2 shown]
	v_pk_fma_f32 v[16:17], v[24:25], v[0:1], v[28:29] op_sel:[0,1,0]
	v_xor_b32_e32 v24, 0x80000000, v19
	v_pk_fma_f32 v[16:17], v[18:19], v[2:3], v[16:17] op_sel_hi:[1,0,1]
	v_mov_b32_e32 v25, v18
	s_waitcnt vmcnt(0)
	v_pk_fma_f32 v[60:61], v[50:51], v[30:31], v[60:61] op_sel_hi:[1,0,1]
	s_nop 0
	v_pk_fma_f32 v[50:51], v[50:51], v[30:31], v[60:61] op_sel:[1,1,0] op_sel_hi:[0,1,1] neg_lo:[1,0,0]
	v_xor_b32_e32 v60, 0x80000000, v53
	v_pk_fma_f32 v[50:51], v[52:53], v[32:33], v[50:51] op_sel_hi:[1,0,1]
	v_mov_b32_e32 v61, v52
	v_pk_fma_f32 v[50:51], v[60:61], v[58:59], v[50:51] op_sel_hi:[1,0,1]
	v_xor_b32_e32 v60, 0x80000000, v55
	v_pk_fma_f32 v[62:63], v[54:55], v[0:1], v[50:51] op_sel_hi:[1,0,1]
	v_xor_b32_e32 v50, 0x80000000, v27
	v_mov_b32_e32 v51, v26
	v_pk_fma_f32 v[8:9], v[50:51], v[64:65], v[8:9] op_sel_hi:[1,0,1]
	v_mov_b32_e32 v61, v54
	v_pk_fma_f32 v[8:9], v[20:21], v[4:5], v[8:9] op_sel_hi:[1,0,1]
	s_nop 0
	v_pk_fma_f32 v[4:5], v[20:21], v[4:5], v[8:9] op_sel:[1,1,0] op_sel_hi:[0,1,1] neg_lo:[1,0,0]
	v_xor_b32_e32 v8, 0x80000000, v23
	v_pk_fma_f32 v[4:5], v[22:23], v[6:7], v[4:5] op_sel_hi:[1,0,1]
	v_mov_b32_e32 v9, v22
	v_pk_fma_f32 v[4:5], v[8:9], v[66:67], v[4:5] op_sel_hi:[1,0,1]
	v_xor_b32_e32 v6, 0x80000000, v45
	v_pk_fma_f32 v[4:5], v[42:43], v[30:31], v[4:5] op_sel_hi:[1,0,1]
	v_mov_b32_e32 v7, v44
	v_pk_fma_f32 v[4:5], v[42:43], v[30:31], v[4:5] op_sel:[1,1,0] op_sel_hi:[0,1,1] neg_lo:[1,0,0]
	v_pk_fma_f32 v[4:5], v[44:45], v[32:33], v[4:5] op_sel_hi:[1,0,1]
	v_xor_b32_e32 v30, 0x80000000, v49
	v_pk_fma_f32 v[4:5], v[6:7], v[58:59], v[4:5] op_sel_hi:[1,0,1]
	v_mov_b32_e32 v31, v48
	v_pk_fma_f32 v[22:23], v[12:13], v[0:1], v[4:5] op_sel_hi:[1,0,1]
	global_load_dword v4, v[40:41], off offset:32
	v_xor_b32_e32 v20, 0x80000000, v13
	v_mov_b32_e32 v21, v12
	v_xor_b32_e32 v12, 0x80000000, v15
	v_mov_b32_e32 v13, v14
	v_lshl_add_u64 v[40:41], v[40:41], 0, s[18:19]
	s_waitcnt vmcnt(0)
	v_subrev_u32_e32 v4, s16, v4
	v_lshlrev_b32_e32 v4, 2, v4
	v_ashrrev_i32_e32 v5, 31, v4
	v_lshl_add_u64 v[26:27], v[4:5], 3, s[2:3]
	global_load_dwordx4 v[4:7], v[26:27], off offset:16
	global_load_dwordx4 v[8:11], v[26:27], off
	v_pk_fma_f32 v[26:27], v[84:85], v[0:1], v[86:87] op_sel:[0,1,0]
	s_waitcnt vmcnt(0)
	v_mov_b32_e32 v64, v11
	v_pk_fma_f32 v[32:33], v[48:49], v[2:3], v[26:27] op_sel_hi:[1,0,1]
	v_mov_b32_e32 v26, v3
	v_pk_fma_f32 v[58:59], v[30:31], v[26:27], v[32:33] op_sel_hi:[1,0,1]
	global_load_dwordx4 v[30:33], v[36:37], off offset:3120
	global_load_dwordx4 v[42:45], v[36:37], off offset:3104
	global_load_dwordx4 v[46:49], v[36:37], off offset:3088
	global_load_dwordx4 v[50:53], v[36:37], off offset:3072
	v_pk_fma_f32 v[16:17], v[24:25], v[26:27], v[16:17] op_sel_hi:[1,0,1]
	s_waitcnt vmcnt(2)
	v_xor_b32_e32 v18, 0x80000000, v45
	v_pk_fma_f32 v[16:17], v[42:43], v[8:9], v[16:17] op_sel_hi:[1,0,1]
	s_waitcnt vmcnt(0)
	v_pk_fma_f32 v[58:59], v[50:51], v[8:9], v[58:59] op_sel_hi:[1,0,1]
	v_pk_fma_f32 v[16:17], v[42:43], v[8:9], v[16:17] op_sel:[1,1,0] op_sel_hi:[0,1,1] neg_lo:[1,0,0]
	v_pk_fma_f32 v[16:17], v[44:45], v[10:11], v[16:17] op_sel_hi:[1,0,1]
	v_mov_b32_e32 v19, v44
	v_pk_fma_f32 v[50:51], v[50:51], v[8:9], v[58:59] op_sel:[1,1,0] op_sel_hi:[0,1,1] neg_lo:[1,0,0]
	v_pk_fma_f32 v[16:17], v[18:19], v[64:65], v[16:17] op_sel_hi:[1,0,1]
	v_xor_b32_e32 v58, 0x80000000, v53
	v_pk_fma_f32 v[50:51], v[52:53], v[10:11], v[50:51] op_sel_hi:[1,0,1]
	v_mov_b32_e32 v59, v52
	v_pk_fma_f32 v[16:17], v[30:31], v[4:5], v[16:17] op_sel_hi:[1,0,1]
	v_pk_fma_f32 v[50:51], v[58:59], v[64:65], v[50:51] op_sel_hi:[1,0,1]
	v_pk_fma_f32 v[16:17], v[30:31], v[4:5], v[16:17] op_sel:[1,1,0] op_sel_hi:[0,1,1] neg_lo:[1,0,0]
	v_pk_fma_f32 v[50:51], v[46:47], v[4:5], v[50:51] op_sel_hi:[1,0,1]
	v_mov_b32_e32 v58, v7
	v_xor_b32_e32 v18, 0x80000000, v33
	v_pk_fma_f32 v[16:17], v[32:33], v[6:7], v[16:17] op_sel_hi:[1,0,1]
	v_mov_b32_e32 v19, v32
	v_pk_fma_f32 v[46:47], v[46:47], v[4:5], v[50:51] op_sel:[1,1,0] op_sel_hi:[0,1,1] neg_lo:[1,0,0]
	v_pk_fma_f32 v[44:45], v[18:19], v[58:59], v[16:17] op_sel_hi:[1,0,1]
	v_pk_fma_f32 v[16:17], v[60:61], v[0:1], v[62:63] op_sel:[0,1,0]
	v_xor_b32_e32 v50, 0x80000000, v49
	v_pk_fma_f32 v[46:47], v[48:49], v[6:7], v[46:47] op_sel_hi:[1,0,1]
	v_mov_b32_e32 v51, v48
	v_xor_b32_e32 v18, 0x80000000, v57
	v_pk_fma_f32 v[16:17], v[56:57], v[2:3], v[16:17] op_sel_hi:[1,0,1]
	v_mov_b32_e32 v19, v56
	v_pk_fma_f32 v[52:53], v[50:51], v[58:59], v[46:47] op_sel_hi:[1,0,1]
	v_pk_fma_f32 v[24:25], v[18:19], v[26:27], v[16:17] op_sel_hi:[1,0,1]
	global_load_dwordx4 v[16:19], v[36:37], off offset:3184
	global_load_dwordx4 v[28:31], v[36:37], off offset:3168
	;; [unrolled: 1-line block ×4, first 2 shown]
	v_pk_fma_f32 v[0:1], v[20:21], v[0:1], v[22:23] op_sel:[0,1,0]
	v_lshl_add_u64 v[36:37], v[36:37], 0, s[20:21]
	v_pk_fma_f32 v[0:1], v[14:15], v[2:3], v[0:1] op_sel_hi:[1,0,1]
	s_waitcnt vmcnt(2)
	v_xor_b32_e32 v2, 0x80000000, v31
	v_pk_fma_f32 v[0:1], v[12:13], v[26:27], v[0:1] op_sel_hi:[1,0,1]
	s_waitcnt vmcnt(0)
	v_pk_fma_f32 v[24:25], v[54:55], v[8:9], v[24:25] op_sel_hi:[1,0,1]
	v_pk_fma_f32 v[0:1], v[28:29], v[8:9], v[0:1] op_sel_hi:[1,0,1]
	v_pk_fma_f32 v[24:25], v[54:55], v[8:9], v[24:25] op_sel:[1,1,0] op_sel_hi:[0,1,1] neg_lo:[1,0,0]
	v_pk_fma_f32 v[0:1], v[28:29], v[8:9], v[0:1] op_sel:[1,1,0] op_sel_hi:[0,1,1] neg_lo:[1,0,0]
	v_xor_b32_e32 v32, 0x80000000, v57
	v_pk_fma_f32 v[24:25], v[56:57], v[10:11], v[24:25] op_sel_hi:[1,0,1]
	v_mov_b32_e32 v33, v56
	v_pk_fma_f32 v[0:1], v[30:31], v[10:11], v[0:1] op_sel_hi:[1,0,1]
	v_mov_b32_e32 v3, v30
	v_pk_fma_f32 v[24:25], v[32:33], v[64:65], v[24:25] op_sel_hi:[1,0,1]
	v_pk_fma_f32 v[0:1], v[2:3], v[64:65], v[0:1] op_sel_hi:[1,0,1]
	;; [unrolled: 1-line block ×4, first 2 shown]
	v_pk_fma_f32 v[24:25], v[46:47], v[4:5], v[24:25] op_sel:[1,1,0] op_sel_hi:[0,1,1] neg_lo:[1,0,0]
	v_pk_fma_f32 v[0:1], v[16:17], v[4:5], v[0:1] op_sel:[1,1,0] op_sel_hi:[0,1,1] neg_lo:[1,0,0]
	v_xor_b32_e32 v32, 0x80000000, v49
	v_pk_fma_f32 v[24:25], v[48:49], v[6:7], v[24:25] op_sel_hi:[1,0,1]
	v_mov_b32_e32 v33, v48
	v_xor_b32_e32 v2, 0x80000000, v19
	v_pk_fma_f32 v[0:1], v[18:19], v[6:7], v[0:1] op_sel_hi:[1,0,1]
	v_mov_b32_e32 v3, v18
	v_pk_fma_f32 v[54:55], v[32:33], v[58:59], v[24:25] op_sel_hi:[1,0,1]
	v_pk_fma_f32 v[46:47], v[2:3], v[58:59], v[0:1] op_sel_hi:[1,0,1]
	s_andn2_b64 exec, exec, s[14:15]
	s_cbranch_execnz .LBB31_17
; %bb.18:
	s_or_b64 exec, exec, s[14:15]
.LBB31_19:
	s_or_b64 exec, exec, s[10:11]
	v_mov_b32_e32 v75, v53
.LBB31_20:
	s_or_b64 exec, exec, s[8:9]
	s_cbranch_execz .LBB31_22
	s_branch .LBB31_33
.LBB31_21:
                                        ; implicit-def: $vgpr52
                                        ; implicit-def: $vgpr47
                                        ; implicit-def: $vgpr55
                                        ; implicit-def: $vgpr45
.LBB31_22:
	v_mov_b32_e32 v75, 0
	v_mov_b32_e32 v52, 0
	;; [unrolled: 1-line block ×8, first 2 shown]
	s_and_saveexec_b64 s[8:9], s[4:5]
	s_cbranch_execz .LBB31_32
; %bb.23:
	v_or_b32_e32 v0, 8, v74
	v_subrev_co_u32_e32 v0, vcc, s16, v0
	v_not_b32_e32 v3, v35
	s_nop 0
	v_subb_co_u32_e64 v1, s[4:5], 0, 0, vcc
	v_lshl_add_u64 v[0:1], v[0:1], 0, v[34:35]
	v_cmp_gt_i64_e32 vcc, v[0:1], v[78:79]
	v_not_b32_e32 v2, v34
	v_mov_b32_e32 v45, 0
	v_cndmask_b32_e32 v1, v79, v1, vcc
	v_cndmask_b32_e32 v0, v78, v0, vcc
	v_sub_co_u32_e32 v4, vcc, s16, v74
	v_mov_b32_e32 v55, v45
	s_nop 0
	v_subb_co_u32_e64 v5, s[4:5], 0, 0, vcc
	v_lshl_add_u64 v[2:3], v[4:5], 0, v[2:3]
	v_lshl_add_u64 v[0:1], v[2:3], 0, v[0:1]
	v_and_b32_e32 v44, 24, v0
	v_cmp_ne_u64_e32 vcc, 24, v[44:45]
	v_mov_b32_e32 v44, v45
	v_mov_b32_e32 v54, v45
	;; [unrolled: 1-line block ×6, first 2 shown]
	s_and_saveexec_b64 s[4:5], vcc
	s_cbranch_execz .LBB31_27
; %bb.24:
	v_lshrrev_b32_e32 v2, 3, v0
	v_add_u32_e32 v2, 1, v2
	v_and_b32_e32 v4, 3, v2
	v_sub_co_u32_e32 v4, vcc, 0, v4
	v_mov_b32_e32 v44, 0
	s_nop 0
	v_subb_co_u32_e64 v5, s[14:15], 0, 0, vcc
	v_lshl_add_u64 v[2:3], v[76:77], 2, s[12:13]
	s_mov_b64 s[10:11], 0
	s_mov_b64 s[14:15], 0x400
	v_mov_b32_e32 v45, v44
	v_mov_b32_e32 v54, v44
	;; [unrolled: 1-line block ×7, first 2 shown]
.LBB31_25:                              ; =>This Inner Loop Header: Depth=1
	global_load_dword v34, v[2:3], off
	global_load_dwordx4 v[6:9], v[80:81], off
	global_load_dwordx4 v[10:13], v[80:81], off offset:32
	global_load_dwordx4 v[14:17], v[80:81], off offset:48
	;; [unrolled: 1-line block ×6, first 2 shown]
	v_lshl_add_u64 v[4:5], v[4:5], 0, 1
	v_cmp_eq_u64_e32 vcc, 0, v[4:5]
	v_lshl_add_u64 v[76:77], v[76:77], 0, 8
	v_lshl_add_u64 v[2:3], v[2:3], 0, 32
	s_or_b64 s[10:11], vcc, s[10:11]
	s_waitcnt vmcnt(7)
	v_subrev_u32_e32 v34, s16, v34
	v_lshlrev_b32_e32 v34, 2, v34
	v_ashrrev_i32_e32 v35, 31, v34
	v_lshl_add_u64 v[42:43], v[34:35], 3, s[2:3]
	global_load_dwordx4 v[34:37], v[42:43], off offset:16
	global_load_dwordx4 v[38:41], v[42:43], off
	global_load_dwordx4 v[48:51], v[80:81], off offset:112
	s_waitcnt vmcnt(9)
	v_xor_b32_e32 v42, 0x80000000, v9
	v_mov_b32_e32 v43, v8
	s_waitcnt vmcnt(5)
	v_xor_b32_e32 v62, 0x80000000, v25
	v_mov_b32_e32 v63, v24
	v_xor_b32_e32 v56, 0x80000000, v13
	v_mov_b32_e32 v57, v12
	;; [unrolled: 2-line block ×4, first 2 shown]
	s_waitcnt vmcnt(3)
	v_xor_b32_e32 v66, 0x80000000, v33
	v_mov_b32_e32 v67, v32
	v_xor_b32_e32 v60, 0x80000000, v29
	v_mov_b32_e32 v61, v28
	v_lshl_add_u64 v[80:81], v[80:81], 0, s[14:15]
	s_waitcnt vmcnt(2)
	v_mov_b32_e32 v86, v37
	s_waitcnt vmcnt(1)
	v_pk_fma_f32 v[52:53], v[6:7], v[38:39], v[52:53] op_sel_hi:[1,0,1]
	v_pk_fma_f32 v[8:9], v[8:9], v[38:39], v[44:45] op_sel_hi:[1,0,1]
	;; [unrolled: 1-line block ×4, first 2 shown]
	v_pk_fma_f32 v[6:7], v[6:7], v[38:39], v[52:53] op_sel:[1,1,0] op_sel_hi:[0,1,1] neg_lo:[1,0,0]
	v_pk_fma_f32 v[8:9], v[42:43], v[38:39], v[8:9] op_sel:[0,1,0]
	v_pk_fma_f32 v[22:23], v[22:23], v[38:39], v[44:45] op_sel:[1,1,0] op_sel_hi:[0,1,1] neg_lo:[1,0,0]
	v_pk_fma_f32 v[24:25], v[62:63], v[38:39], v[24:25] op_sel:[0,1,0]
	v_mov_b32_e32 v84, v41
	v_pk_fma_f32 v[6:7], v[10:11], v[40:41], v[6:7] op_sel_hi:[1,0,1]
	v_pk_fma_f32 v[8:9], v[12:13], v[40:41], v[8:9] op_sel_hi:[1,0,1]
	;; [unrolled: 1-line block ×4, first 2 shown]
	v_pk_fma_f32 v[6:7], v[10:11], v[84:85], v[6:7] op_sel:[1,0,0] op_sel_hi:[0,0,1] neg_lo:[1,0,0]
	v_pk_fma_f32 v[8:9], v[56:57], v[84:85], v[8:9] op_sel_hi:[1,0,1]
	v_pk_fma_f32 v[10:11], v[14:15], v[84:85], v[12:13] op_sel:[1,0,0] op_sel_hi:[0,0,1] neg_lo:[1,0,0]
	v_pk_fma_f32 v[12:13], v[64:65], v[84:85], v[16:17] op_sel_hi:[1,0,1]
	v_pk_fma_f32 v[6:7], v[18:19], v[34:35], v[6:7] op_sel_hi:[1,0,1]
	;; [unrolled: 1-line block ×5, first 2 shown]
	v_pk_fma_f32 v[6:7], v[18:19], v[34:35], v[6:7] op_sel:[1,1,0] op_sel_hi:[0,1,1] neg_lo:[1,0,0]
	v_pk_fma_f32 v[8:9], v[58:59], v[34:35], v[8:9] op_sel:[0,1,0]
	v_pk_fma_f32 v[10:11], v[30:31], v[34:35], v[10:11] op_sel:[1,1,0] op_sel_hi:[0,1,1] neg_lo:[1,0,0]
	v_pk_fma_f32 v[12:13], v[66:67], v[34:35], v[12:13] op_sel:[0,1,0]
	s_waitcnt vmcnt(0)
	v_xor_b32_e32 v82, 0x80000000, v51
	v_mov_b32_e32 v83, v50
	v_pk_fma_f32 v[6:7], v[26:27], v[36:37], v[6:7] op_sel_hi:[1,0,1]
	v_pk_fma_f32 v[8:9], v[28:29], v[36:37], v[8:9] op_sel_hi:[1,0,1]
	;; [unrolled: 1-line block ×4, first 2 shown]
	v_pk_fma_f32 v[52:53], v[26:27], v[86:87], v[6:7] op_sel:[1,0,0] op_sel_hi:[0,0,1] neg_lo:[1,0,0]
	v_pk_fma_f32 v[44:45], v[60:61], v[86:87], v[8:9] op_sel_hi:[1,0,1]
	v_pk_fma_f32 v[54:55], v[48:49], v[86:87], v[10:11] op_sel:[1,0,0] op_sel_hi:[0,0,1] neg_lo:[1,0,0]
	v_pk_fma_f32 v[46:47], v[82:83], v[86:87], v[12:13] op_sel_hi:[1,0,1]
	s_andn2_b64 exec, exec, s[10:11]
	s_cbranch_execnz .LBB31_25
; %bb.26:
	s_or_b64 exec, exec, s[10:11]
.LBB31_27:
	s_or_b64 exec, exec, s[4:5]
	v_cmp_lt_u64_e32 vcc, 23, v[0:1]
	s_and_saveexec_b64 s[4:5], vcc
	s_cbranch_execz .LBB31_31
; %bb.28:
	v_lshl_add_u64 v[0:1], v[76:77], 2, s[12:13]
	v_lshl_add_u64 v[82:83], v[0:1], 0, 64
	s_mov_b64 s[10:11], 0
	s_mov_b64 s[12:13], 0x80
	;; [unrolled: 1-line block ×3, first 2 shown]
.LBB31_29:                              ; =>This Inner Loop Header: Depth=1
	global_load_dword v73, v[82:83], off offset:-64
	global_load_dwordx4 v[36:39], v[80:81], off
	global_load_dwordx4 v[24:27], v[80:81], off offset:16
	global_load_dwordx4 v[8:11], v[80:81], off offset:48
	;; [unrolled: 1-line block ×14, first 2 shown]
	global_load_dword v75, v[82:83], off offset:-32
	global_load_dword v102, v[82:83], off
	global_load_dword v103, v[82:83], off offset:32
	v_lshl_add_u64 v[76:77], v[76:77], 0, 32
	v_cmp_ge_i64_e32 vcc, v[76:77], v[78:79]
	v_lshl_add_u64 v[82:83], v[82:83], 0, s[12:13]
	s_or_b64 s[10:11], vcc, s[10:11]
	s_waitcnt vmcnt(18)
	v_subrev_u32_e32 v73, s16, v73
	v_lshlrev_b32_e32 v84, 2, v73
	v_ashrrev_i32_e32 v85, 31, v84
	v_lshl_add_u64 v[92:93], v[84:85], 3, s[2:3]
	global_load_dwordx4 v[84:87], v[92:93], off
	global_load_dwordx4 v[88:91], v[92:93], off offset:16
	s_waitcnt vmcnt(19)
	v_xor_b32_e32 v96, 0x80000000, v39
	v_mov_b32_e32 v97, v38
	global_load_dwordx4 v[92:95], v[80:81], off offset:1088
	s_waitcnt vmcnt(3)
	v_subrev_u32_e32 v73, s16, v103
	s_waitcnt vmcnt(2)
	v_pk_fma_f32 v[52:53], v[36:37], v[84:85], v[52:53] op_sel_hi:[1,0,1]
	v_pk_fma_f32 v[38:39], v[38:39], v[84:85], v[44:45] op_sel_hi:[1,0,1]
	v_pk_fma_f32 v[44:45], v[36:37], v[84:85], v[52:53] op_sel:[1,1,0] op_sel_hi:[0,1,1] neg_lo:[1,0,0]
	v_xor_b32_e32 v36, 0x80000000, v27
	v_mov_b32_e32 v37, v26
	v_pk_fma_f32 v[52:53], v[24:25], v[84:85], v[54:55] op_sel_hi:[1,0,1]
	v_pk_fma_f32 v[46:47], v[26:27], v[84:85], v[46:47] op_sel_hi:[1,0,1]
	v_pk_fma_f32 v[52:53], v[24:25], v[84:85], v[52:53] op_sel:[1,1,0] op_sel_hi:[0,1,1] neg_lo:[1,0,0]
	v_pk_fma_f32 v[54:55], v[96:97], v[84:85], v[38:39] op_sel:[0,1,0]
	v_pk_fma_f32 v[46:47], v[36:37], v[84:85], v[46:47] op_sel:[0,1,0]
	v_pk_fma_f32 v[44:45], v[40:41], v[86:87], v[44:45] op_sel_hi:[1,0,1]
	v_pk_fma_f32 v[54:55], v[42:43], v[86:87], v[54:55] op_sel_hi:[1,0,1]
	;; [unrolled: 1-line block ×4, first 2 shown]
	v_mov_b32_e32 v86, v87
	v_xor_b32_e32 v96, 0x80000000, v43
	v_mov_b32_e32 v97, v42
	v_xor_b32_e32 v42, 0x80000000, v11
	v_mov_b32_e32 v43, v10
	v_pk_fma_f32 v[40:41], v[40:41], v[86:87], v[44:45] op_sel:[1,0,0] op_sel_hi:[0,0,1] neg_lo:[1,0,0]
	v_pk_fma_f32 v[98:99], v[8:9], v[86:87], v[52:53] op_sel:[1,0,0] op_sel_hi:[0,0,1] neg_lo:[1,0,0]
	v_pk_fma_f32 v[8:9], v[96:97], v[86:87], v[54:55] op_sel_hi:[1,0,1]
	v_pk_fma_f32 v[42:43], v[42:43], v[86:87], v[84:85] op_sel_hi:[1,0,1]
	v_xor_b32_e32 v84, 0x80000000, v67
	v_mov_b32_e32 v85, v66
	s_waitcnt vmcnt(1)
	v_pk_fma_f32 v[10:11], v[64:65], v[88:89], v[40:41] op_sel_hi:[1,0,1]
	v_pk_fma_f32 v[40:41], v[66:67], v[88:89], v[8:9] op_sel_hi:[1,0,1]
	v_xor_b32_e32 v66, 0x80000000, v15
	v_mov_b32_e32 v67, v14
	v_pk_fma_f32 v[86:87], v[12:13], v[88:89], v[98:99] op_sel_hi:[1,0,1]
	v_pk_fma_f32 v[42:43], v[14:15], v[88:89], v[42:43] op_sel_hi:[1,0,1]
	v_pk_fma_f32 v[64:65], v[64:65], v[88:89], v[10:11] op_sel:[1,1,0] op_sel_hi:[0,1,1] neg_lo:[1,0,0]
	v_pk_fma_f32 v[86:87], v[12:13], v[88:89], v[86:87] op_sel:[1,1,0] op_sel_hi:[0,1,1] neg_lo:[1,0,0]
	v_pk_fma_f32 v[84:85], v[84:85], v[88:89], v[40:41] op_sel:[0,1,0]
	v_pk_fma_f32 v[66:67], v[66:67], v[88:89], v[42:43] op_sel:[0,1,0]
	v_pk_fma_f32 v[64:65], v[60:61], v[90:91], v[64:65] op_sel_hi:[1,0,1]
	v_pk_fma_f32 v[84:85], v[62:63], v[90:91], v[84:85] op_sel_hi:[1,0,1]
	;; [unrolled: 1-line block ×4, first 2 shown]
	v_mov_b32_e32 v88, v91
	v_mov_b32_e32 v91, v62
	v_subrev_u32_e32 v62, s16, v75
	v_lshlrev_b32_e32 v62, 2, v62
	v_xor_b32_e32 v90, 0x80000000, v63
	v_ashrrev_i32_e32 v63, 31, v62
	v_pk_fma_f32 v[64:65], v[60:61], v[88:89], v[64:65] op_sel:[1,0,0] op_sel_hi:[0,0,1] neg_lo:[1,0,0]
	v_xor_b32_e32 v60, 0x80000000, v59
	v_mov_b32_e32 v61, v58
	v_lshl_add_u64 v[100:101], v[62:63], 3, s[2:3]
	global_load_dwordx4 v[24:27], v[80:81], off offset:2096
	global_load_dwordx4 v[36:39], v[80:81], off offset:2080
	;; [unrolled: 1-line block ×7, first 2 shown]
	v_pk_fma_f32 v[96:97], v[56:57], v[88:89], v[86:87] op_sel:[1,0,0] op_sel_hi:[0,0,1] neg_lo:[1,0,0]
	global_load_dwordx4 v[56:59], v[80:81], off offset:2112
	v_pk_fma_f32 v[90:91], v[90:91], v[88:89], v[84:85] op_sel_hi:[1,0,1]
	v_pk_fma_f32 v[66:67], v[60:61], v[88:89], v[66:67] op_sel_hi:[1,0,1]
	global_load_dwordx4 v[60:63], v[100:101], off
	global_load_dwordx4 v[84:87], v[100:101], off offset:16
	v_xor_b32_e32 v98, 0x80000000, v35
	v_mov_b32_e32 v99, v34
	v_xor_b32_e32 v88, 0x80000000, v31
	v_mov_b32_e32 v89, v30
	;; [unrolled: 2-line block ×3, first 2 shown]
	s_waitcnt vmcnt(1)
	v_pk_fma_f32 v[64:65], v[32:33], v[60:61], v[64:65] op_sel_hi:[1,0,1]
	v_pk_fma_f32 v[34:35], v[34:35], v[60:61], v[90:91] op_sel_hi:[1,0,1]
	v_pk_fma_f32 v[64:65], v[32:33], v[60:61], v[64:65] op_sel:[1,1,0] op_sel_hi:[0,1,1] neg_lo:[1,0,0]
	v_pk_fma_f32 v[32:33], v[28:29], v[60:61], v[96:97] op_sel_hi:[1,0,1]
	v_pk_fma_f32 v[66:67], v[30:31], v[60:61], v[66:67] op_sel_hi:[1,0,1]
	v_pk_fma_f32 v[96:97], v[98:99], v[60:61], v[34:35] op_sel:[0,1,0]
	v_pk_fma_f32 v[90:91], v[28:29], v[60:61], v[32:33] op_sel:[1,1,0] op_sel_hi:[0,1,1] neg_lo:[1,0,0]
	v_pk_fma_f32 v[60:61], v[88:89], v[60:61], v[66:67] op_sel:[0,1,0]
	v_xor_b32_e32 v66, 0x80000000, v23
	v_mov_b32_e32 v67, v22
	v_pk_fma_f32 v[88:89], v[22:23], v[62:63], v[96:97] op_sel_hi:[1,0,1]
	v_mov_b32_e32 v98, v63
	v_pk_fma_f32 v[64:65], v[20:21], v[62:63], v[64:65] op_sel_hi:[1,0,1]
	v_pk_fma_f32 v[90:91], v[16:17], v[62:63], v[90:91] op_sel_hi:[1,0,1]
	;; [unrolled: 1-line block ×4, first 2 shown]
	v_pk_fma_f32 v[64:65], v[20:21], v[98:99], v[64:65] op_sel:[1,0,0] op_sel_hi:[0,0,1] neg_lo:[1,0,0]
	v_pk_fma_f32 v[90:91], v[16:17], v[98:99], v[90:91] op_sel:[1,0,0] op_sel_hi:[0,0,1] neg_lo:[1,0,0]
	v_pk_fma_f32 v[88:89], v[100:101], v[98:99], v[96:97] op_sel_hi:[1,0,1]
	v_xor_b32_e32 v96, 0x80000000, v95
	v_mov_b32_e32 v97, v94
	s_waitcnt vmcnt(0)
	v_pk_fma_f32 v[94:95], v[94:95], v[84:85], v[66:67] op_sel_hi:[1,0,1]
	v_pk_fma_f32 v[64:65], v[92:93], v[84:85], v[64:65] op_sel_hi:[1,0,1]
	v_pk_fma_f32 v[94:95], v[96:97], v[84:85], v[94:95] op_sel:[0,1,0]
	v_xor_b32_e32 v96, 0x80000000, v51
	v_mov_b32_e32 v97, v50
	v_pk_fma_f32 v[90:91], v[48:49], v[84:85], v[90:91] op_sel_hi:[1,0,1]
	v_pk_fma_f32 v[88:89], v[50:51], v[84:85], v[88:89] op_sel_hi:[1,0,1]
	v_pk_fma_f32 v[92:93], v[92:93], v[84:85], v[64:65] op_sel:[1,1,0] op_sel_hi:[0,1,1] neg_lo:[1,0,0]
	v_pk_fma_f32 v[90:91], v[48:49], v[84:85], v[90:91] op_sel:[1,1,0] op_sel_hi:[0,1,1] neg_lo:[1,0,0]
	v_pk_fma_f32 v[84:85], v[96:97], v[84:85], v[88:89] op_sel:[0,1,0]
	v_pk_fma_f32 v[92:93], v[4:5], v[86:87], v[92:93] op_sel_hi:[1,0,1]
	v_pk_fma_f32 v[94:95], v[6:7], v[86:87], v[94:95] op_sel_hi:[1,0,1]
	;; [unrolled: 1-line block ×4, first 2 shown]
	v_mov_b32_e32 v86, v87
	v_mov_b32_e32 v97, v2
	v_subrev_u32_e32 v2, s16, v102
	v_pk_fma_f32 v[90:91], v[0:1], v[86:87], v[90:91] op_sel:[1,0,0] op_sel_hi:[0,0,1] neg_lo:[1,0,0]
	v_lshlrev_b32_e32 v0, 2, v2
	v_ashrrev_i32_e32 v1, 31, v0
	v_xor_b32_e32 v88, 0x80000000, v7
	v_mov_b32_e32 v89, v6
	v_xor_b32_e32 v96, 0x80000000, v3
	v_lshl_add_u64 v[100:101], v[0:1], 3, s[2:3]
	global_load_dwordx4 v[28:31], v[80:81], off offset:3120
	global_load_dwordx4 v[32:35], v[80:81], off offset:3104
	;; [unrolled: 1-line block ×7, first 2 shown]
	v_pk_fma_f32 v[92:93], v[4:5], v[86:87], v[92:93] op_sel:[1,0,0] op_sel_hi:[0,0,1] neg_lo:[1,0,0]
	global_load_dwordx4 v[4:7], v[80:81], off offset:3136
	v_pk_fma_f32 v[88:89], v[88:89], v[86:87], v[94:95] op_sel_hi:[1,0,1]
	v_pk_fma_f32 v[94:95], v[96:97], v[86:87], v[84:85] op_sel_hi:[1,0,1]
	global_load_dwordx4 v[0:3], v[100:101], off
	global_load_dwordx4 v[84:87], v[100:101], off offset:16
	v_xor_b32_e32 v98, 0x80000000, v55
	v_mov_b32_e32 v99, v54
	v_xor_b32_e32 v96, 0x80000000, v27
	v_mov_b32_e32 v97, v26
	v_lshl_add_u64 v[80:81], v[80:81], 0, s[14:15]
	s_waitcnt vmcnt(1)
	v_pk_fma_f32 v[90:91], v[44:45], v[0:1], v[90:91] op_sel_hi:[1,0,1]
	s_nop 0
	v_pk_fma_f32 v[90:91], v[44:45], v[0:1], v[90:91] op_sel:[1,1,0] op_sel_hi:[0,1,1] neg_lo:[1,0,0]
	v_lshlrev_b32_e32 v44, 2, v73
	v_ashrrev_i32_e32 v45, 31, v44
	v_pk_fma_f32 v[92:93], v[52:53], v[0:1], v[92:93] op_sel_hi:[1,0,1]
	v_lshl_add_u64 v[100:101], v[44:45], 3, s[2:3]
	v_pk_fma_f32 v[54:55], v[54:55], v[0:1], v[88:89] op_sel_hi:[1,0,1]
	v_pk_fma_f32 v[88:89], v[52:53], v[0:1], v[92:93] op_sel:[1,1,0] op_sel_hi:[0,1,1] neg_lo:[1,0,0]
	v_xor_b32_e32 v52, 0x80000000, v47
	v_mov_b32_e32 v53, v46
	v_pk_fma_f32 v[94:95], v[46:47], v[0:1], v[94:95] op_sel_hi:[1,0,1]
	global_load_dwordx4 v[44:47], v[100:101], off
	v_pk_fma_f32 v[98:99], v[98:99], v[0:1], v[54:55] op_sel:[0,1,0]
	v_pk_fma_f32 v[0:1], v[52:53], v[0:1], v[94:95] op_sel:[0,1,0]
	global_load_dwordx4 v[52:55], v[100:101], off offset:16
	v_xor_b32_e32 v92, 0x80000000, v39
	v_mov_b32_e32 v93, v38
	v_pk_fma_f32 v[88:89], v[36:37], v[2:3], v[88:89] op_sel_hi:[1,0,1]
	v_pk_fma_f32 v[38:39], v[38:39], v[2:3], v[98:99] op_sel_hi:[1,0,1]
	;; [unrolled: 1-line block ×4, first 2 shown]
	v_mov_b32_e32 v2, v3
	v_pk_fma_f32 v[36:37], v[36:37], v[2:3], v[88:89] op_sel:[1,0,0] op_sel_hi:[0,0,1] neg_lo:[1,0,0]
	v_pk_fma_f32 v[24:25], v[24:25], v[2:3], v[90:91] op_sel:[1,0,0] op_sel_hi:[0,0,1] neg_lo:[1,0,0]
	v_pk_fma_f32 v[38:39], v[92:93], v[2:3], v[38:39] op_sel_hi:[1,0,1]
	v_pk_fma_f32 v[0:1], v[96:97], v[2:3], v[0:1] op_sel_hi:[1,0,1]
	v_xor_b32_e32 v26, 0x80000000, v57
	v_xor_b32_e32 v88, 0x80000000, v59
	;; [unrolled: 1-line block ×4, first 2 shown]
	v_mov_b32_e32 v27, v56
	v_mov_b32_e32 v89, v58
	;; [unrolled: 1-line block ×4, first 2 shown]
	s_waitcnt vmcnt(2)
	v_pk_fma_f32 v[36:37], v[56:57], v[84:85], v[36:37] op_sel_hi:[1,0,1]
	v_pk_fma_f32 v[38:39], v[58:59], v[84:85], v[38:39] op_sel_hi:[1,0,1]
	;; [unrolled: 1-line block ×4, first 2 shown]
	v_pk_fma_f32 v[26:27], v[26:27], v[84:85], v[36:37] op_sel:[0,1,0]
	v_pk_fma_f32 v[38:39], v[88:89], v[84:85], v[38:39] op_sel:[0,1,0]
	v_pk_fma_f32 v[24:25], v[94:95], v[84:85], v[24:25] op_sel:[0,1,0]
	v_pk_fma_f32 v[0:1], v[90:91], v[84:85], v[0:1] op_sel:[0,1,0]
	v_xor_b32_e32 v98, 0x80000000, v15
	v_mov_b32_e32 v99, v14
	v_xor_b32_e32 v58, 0x80000000, v11
	v_mov_b32_e32 v59, v10
	v_mov_b32_e32 v94, v87
	v_pk_fma_f32 v[26:27], v[12:13], v[86:87], v[26:27] op_sel_hi:[1,0,1]
	v_pk_fma_f32 v[14:15], v[14:15], v[86:87], v[38:39] op_sel_hi:[1,0,1]
	;; [unrolled: 1-line block ×4, first 2 shown]
	v_pk_fma_f32 v[12:13], v[12:13], v[94:95], v[26:27] op_sel:[1,0,0] op_sel_hi:[0,0,1] neg_lo:[1,0,0]
	v_pk_fma_f32 v[14:15], v[98:99], v[94:95], v[14:15] op_sel_hi:[1,0,1]
	v_pk_fma_f32 v[8:9], v[8:9], v[94:95], v[24:25] op_sel:[1,0,0] op_sel_hi:[0,0,1] neg_lo:[1,0,0]
	v_pk_fma_f32 v[0:1], v[58:59], v[94:95], v[0:1] op_sel_hi:[1,0,1]
	v_xor_b32_e32 v92, 0x80000000, v63
	v_mov_b32_e32 v93, v62
	v_xor_b32_e32 v40, 0x80000000, v23
	v_mov_b32_e32 v41, v22
	;; [unrolled: 2-line block ×8, first 2 shown]
	s_waitcnt vmcnt(1)
	v_pk_fma_f32 v[12:13], v[60:61], v[44:45], v[12:13] op_sel_hi:[1,0,1]
	v_pk_fma_f32 v[14:15], v[62:63], v[44:45], v[14:15] op_sel_hi:[1,0,1]
	;; [unrolled: 1-line block ×4, first 2 shown]
	v_pk_fma_f32 v[12:13], v[60:61], v[44:45], v[12:13] op_sel:[1,1,0] op_sel_hi:[0,1,1] neg_lo:[1,0,0]
	v_pk_fma_f32 v[14:15], v[92:93], v[44:45], v[14:15] op_sel:[0,1,0]
	v_pk_fma_f32 v[8:9], v[20:21], v[44:45], v[8:9] op_sel:[1,1,0] op_sel_hi:[0,1,1] neg_lo:[1,0,0]
	v_pk_fma_f32 v[0:1], v[40:41], v[44:45], v[0:1] op_sel:[0,1,0]
	v_mov_b32_e32 v84, v47
	v_pk_fma_f32 v[12:13], v[32:33], v[46:47], v[12:13] op_sel_hi:[1,0,1]
	v_pk_fma_f32 v[14:15], v[34:35], v[46:47], v[14:15] op_sel_hi:[1,0,1]
	;; [unrolled: 1-line block ×4, first 2 shown]
	v_pk_fma_f32 v[12:13], v[32:33], v[84:85], v[12:13] op_sel:[1,0,0] op_sel_hi:[0,0,1] neg_lo:[1,0,0]
	v_pk_fma_f32 v[2:3], v[2:3], v[84:85], v[14:15] op_sel_hi:[1,0,1]
	v_pk_fma_f32 v[8:9], v[28:29], v[84:85], v[8:9] op_sel:[1,0,0] op_sel_hi:[0,0,1] neg_lo:[1,0,0]
	v_pk_fma_f32 v[0:1], v[42:43], v[84:85], v[0:1] op_sel_hi:[1,0,1]
	s_waitcnt vmcnt(0)
	v_pk_fma_f32 v[12:13], v[4:5], v[52:53], v[12:13] op_sel_hi:[1,0,1]
	v_pk_fma_f32 v[2:3], v[6:7], v[52:53], v[2:3] op_sel_hi:[1,0,1]
	;; [unrolled: 1-line block ×4, first 2 shown]
	v_pk_fma_f32 v[4:5], v[4:5], v[52:53], v[12:13] op_sel:[1,1,0] op_sel_hi:[0,1,1] neg_lo:[1,0,0]
	v_pk_fma_f32 v[2:3], v[96:97], v[52:53], v[2:3] op_sel:[0,1,0]
	v_pk_fma_f32 v[6:7], v[48:49], v[52:53], v[6:7] op_sel:[1,1,0] op_sel_hi:[0,1,1] neg_lo:[1,0,0]
	v_pk_fma_f32 v[0:1], v[36:37], v[52:53], v[0:1] op_sel:[0,1,0]
	v_mov_b32_e32 v10, v55
	v_pk_fma_f32 v[4:5], v[64:65], v[54:55], v[4:5] op_sel_hi:[1,0,1]
	v_pk_fma_f32 v[2:3], v[66:67], v[54:55], v[2:3] op_sel_hi:[1,0,1]
	;; [unrolled: 1-line block ×4, first 2 shown]
	v_pk_fma_f32 v[52:53], v[64:65], v[10:11], v[4:5] op_sel:[1,0,0] op_sel_hi:[0,0,1] neg_lo:[1,0,0]
	v_pk_fma_f32 v[44:45], v[56:57], v[10:11], v[2:3] op_sel_hi:[1,0,1]
	v_pk_fma_f32 v[54:55], v[16:17], v[10:11], v[6:7] op_sel:[1,0,0] op_sel_hi:[0,0,1] neg_lo:[1,0,0]
	v_pk_fma_f32 v[46:47], v[88:89], v[10:11], v[0:1] op_sel_hi:[1,0,1]
	s_andn2_b64 exec, exec, s[10:11]
	s_cbranch_execnz .LBB31_29
; %bb.30:
	s_or_b64 exec, exec, s[10:11]
.LBB31_31:
	s_or_b64 exec, exec, s[4:5]
	v_mov_b32_e32 v75, v53
.LBB31_32:
	s_or_b64 exec, exec, s[8:9]
.LBB31_33:
	v_mov_b32_dpp v6, v45 row_shr:1 row_mask:0xf bank_mask:0xf
	v_add_f32_e32 v6, v45, v6
	v_mov_b32_dpp v0, v52 row_shr:1 row_mask:0xf bank_mask:0xf
	v_mov_b32_dpp v2, v75 row_shr:1 row_mask:0xf bank_mask:0xf
	;; [unrolled: 1-line block ×3, first 2 shown]
	v_add_f32_e32 v7, v6, v7
	v_mov_b32_dpp v6, v54 row_shr:1 row_mask:0xf bank_mask:0xf
	v_add_f32_e32 v6, v54, v6
	v_mov_b32_dpp v4, v44 row_shr:1 row_mask:0xf bank_mask:0xf
	;; [unrolled: 2-line block ×4, first 2 shown]
	v_add_f32_e32 v6, v55, v6
	v_add_f32_e32 v2, v75, v2
	;; [unrolled: 1-line block ×3, first 2 shown]
	v_mov_b32_dpp v11, v6 row_shr:2 row_mask:0xf bank_mask:0xf
	v_add_f32_e32 v11, v6, v11
	v_mov_b32_dpp v6, v46 row_shr:1 row_mask:0xf bank_mask:0xf
	v_add_f32_e32 v6, v46, v6
	v_mov_b32_dpp v1, v0 row_shr:2 row_mask:0xf bank_mask:0xf
	v_mov_b32_dpp v3, v2 row_shr:2 row_mask:0xf bank_mask:0xf
	;; [unrolled: 1-line block ×3, first 2 shown]
	v_add_f32_e32 v15, v6, v12
	v_mov_b32_dpp v6, v47 row_shr:1 row_mask:0xf bank_mask:0xf
	v_add_f32_e32 v6, v47, v6
	v_mov_b32_dpp v5, v4 row_shr:2 row_mask:0xf bank_mask:0xf
	;; [unrolled: 2-line block ×3, first 2 shown]
	v_add_f32_e32 v2, v2, v3
	v_add_f32_e32 v4, v4, v5
	;; [unrolled: 1-line block ×3, first 2 shown]
	v_mov_b32_dpp v1, v0 row_shr:4 row_mask:0xf bank_mask:0xe
	v_mov_b32_dpp v3, v2 row_shr:4 row_mask:0xf bank_mask:0xe
	;; [unrolled: 1-line block ×8, first 2 shown]
	v_cmp_eq_u32_e32 vcc, 7, v74
	s_and_b64 exec, exec, vcc
	s_cbranch_execz .LBB31_6
; %bb.34:
	s_load_dwordx2 s[0:1], s[0:1], 0x50
	v_cmp_eq_f32_e32 vcc, 0, v70
	s_xor_b64 s[2:3], s[6:7], -1
	v_add_f32_e32 v6, v0, v1
	v_add_f32_e32 v14, v2, v3
	;; [unrolled: 1-line block ×8, first 2 shown]
	s_and_b64 s[2:3], vcc, s[2:3]
	v_lshlrev_b32_e32 v16, 2, v72
	s_and_saveexec_b64 s[4:5], s[2:3]
	s_xor_b64 s[2:3], exec, s[4:5]
	s_cbranch_execz .LBB31_36
; %bb.35:
	v_xor_b32_e32 v18, 0x80000000, v69
	v_mov_b32_e32 v19, v68
	v_pk_mul_f32 v[14:15], v[14:15], v[18:19] op_sel_hi:[0,1]
	v_ashrrev_i32_e32 v17, 31, v16
	v_pk_fma_f32 v[14:15], v[68:69], v[6:7], v[14:15] op_sel_hi:[1,0,1]
	v_pk_mul_f32 v[6:7], v[12:13], v[18:19] op_sel_hi:[0,1]
	s_waitcnt lgkmcnt(0)
	v_lshl_add_u64 v[20:21], v[16:17], 3, s[0:1]
	v_pk_fma_f32 v[16:17], v[68:69], v[4:5], v[6:7] op_sel_hi:[1,0,1]
	v_pk_mul_f32 v[4:5], v[10:11], v[18:19] op_sel_hi:[0,1]
	v_pk_fma_f32 v[2:3], v[68:69], v[2:3], v[4:5] op_sel_hi:[1,0,1]
	v_pk_mul_f32 v[4:5], v[8:9], v[18:19] op_sel_hi:[0,1]
	v_pk_fma_f32 v[4:5], v[68:69], v[0:1], v[4:5] op_sel_hi:[1,0,1]
	global_store_dwordx4 v[20:21], v[14:17], off
	global_store_dwordx4 v[20:21], v[2:5], off offset:16
                                        ; implicit-def: $vgpr6
                                        ; implicit-def: $vgpr14
                                        ; implicit-def: $vgpr4
                                        ; implicit-def: $vgpr12
                                        ; implicit-def: $vgpr2
                                        ; implicit-def: $vgpr10
                                        ; implicit-def: $vgpr0
                                        ; implicit-def: $vgpr8
                                        ; implicit-def: $vgpr68_vgpr69
                                        ; implicit-def: $vgpr70_vgpr71
                                        ; implicit-def: $vgpr16
.LBB31_36:
	s_andn2_saveexec_b64 s[2:3], s[2:3]
	s_cbranch_execz .LBB31_6
; %bb.37:
	v_ashrrev_i32_e32 v17, 31, v16
	s_waitcnt lgkmcnt(0)
	v_lshl_add_u64 v[24:25], v[16:17], 3, s[0:1]
	global_load_dwordx4 v[16:19], v[24:25], off
	global_load_dwordx4 v[20:23], v[24:25], off offset:16
	v_xor_b32_e32 v26, 0x80000000, v69
	v_mov_b32_e32 v27, v68
	v_pk_mul_f32 v[14:15], v[14:15], v[26:27] op_sel_hi:[0,1]
	v_pk_mul_f32 v[12:13], v[12:13], v[26:27] op_sel_hi:[0,1]
	;; [unrolled: 1-line block ×4, first 2 shown]
	v_pk_fma_f32 v[6:7], v[68:69], v[6:7], v[14:15] op_sel_hi:[1,0,1]
	v_pk_fma_f32 v[4:5], v[68:69], v[4:5], v[12:13] op_sel_hi:[1,0,1]
	v_xor_b32_e32 v28, 0x80000000, v71
	v_mov_b32_e32 v29, v70
	v_pk_fma_f32 v[2:3], v[68:69], v[2:3], v[10:11] op_sel_hi:[1,0,1]
	v_pk_fma_f32 v[0:1], v[68:69], v[0:1], v[8:9] op_sel_hi:[1,0,1]
	s_waitcnt vmcnt(1)
	v_pk_fma_f32 v[6:7], v[70:71], v[16:17], v[6:7] op_sel_hi:[1,0,1]
	v_pk_fma_f32 v[4:5], v[70:71], v[18:19], v[4:5] op_sel_hi:[1,0,1]
	v_mov_b32_e32 v8, v19
	s_waitcnt vmcnt(0)
	v_pk_fma_f32 v[10:11], v[70:71], v[20:21], v[2:3] op_sel_hi:[1,0,1]
	v_pk_fma_f32 v[12:13], v[70:71], v[22:23], v[0:1] op_sel_hi:[1,0,1]
	v_mov_b32_e32 v14, v23
	v_pk_fma_f32 v[0:1], v[28:29], v[16:17], v[6:7] op_sel:[0,1,0]
	v_pk_fma_f32 v[2:3], v[28:29], v[8:9], v[4:5] op_sel_hi:[1,0,1]
	v_pk_fma_f32 v[4:5], v[28:29], v[20:21], v[10:11] op_sel:[0,1,0]
	v_pk_fma_f32 v[6:7], v[28:29], v[14:15], v[12:13] op_sel_hi:[1,0,1]
	global_store_dwordx4 v[24:25], v[0:3], off
	global_store_dwordx4 v[24:25], v[4:7], off offset:16
	s_endpgm
	.section	.rodata,"a",@progbits
	.p2align	6, 0x0
	.amdhsa_kernel _ZN9rocsparseL18bsrxmvn_4x4_kernelILj128ELj8E21rocsparse_complex_numIfEliS2_S2_S2_EEvT3_20rocsparse_direction_NS_24const_host_device_scalarIT1_EES3_PKS3_PKT2_SC_S9_PKT4_PKT5_S7_PT6_21rocsparse_index_base_b
		.amdhsa_group_segment_fixed_size 0
		.amdhsa_private_segment_fixed_size 0
		.amdhsa_kernarg_size 96
		.amdhsa_user_sgpr_count 2
		.amdhsa_user_sgpr_dispatch_ptr 0
		.amdhsa_user_sgpr_queue_ptr 0
		.amdhsa_user_sgpr_kernarg_segment_ptr 1
		.amdhsa_user_sgpr_dispatch_id 0
		.amdhsa_user_sgpr_kernarg_preload_length 0
		.amdhsa_user_sgpr_kernarg_preload_offset 0
		.amdhsa_user_sgpr_private_segment_size 0
		.amdhsa_uses_dynamic_stack 0
		.amdhsa_enable_private_segment 0
		.amdhsa_system_sgpr_workgroup_id_x 1
		.amdhsa_system_sgpr_workgroup_id_y 0
		.amdhsa_system_sgpr_workgroup_id_z 0
		.amdhsa_system_sgpr_workgroup_info 0
		.amdhsa_system_vgpr_workitem_id 0
		.amdhsa_next_free_vgpr 104
		.amdhsa_next_free_sgpr 22
		.amdhsa_accum_offset 104
		.amdhsa_reserve_vcc 1
		.amdhsa_float_round_mode_32 0
		.amdhsa_float_round_mode_16_64 0
		.amdhsa_float_denorm_mode_32 3
		.amdhsa_float_denorm_mode_16_64 3
		.amdhsa_dx10_clamp 1
		.amdhsa_ieee_mode 1
		.amdhsa_fp16_overflow 0
		.amdhsa_tg_split 0
		.amdhsa_exception_fp_ieee_invalid_op 0
		.amdhsa_exception_fp_denorm_src 0
		.amdhsa_exception_fp_ieee_div_zero 0
		.amdhsa_exception_fp_ieee_overflow 0
		.amdhsa_exception_fp_ieee_underflow 0
		.amdhsa_exception_fp_ieee_inexact 0
		.amdhsa_exception_int_div_zero 0
	.end_amdhsa_kernel
	.section	.text._ZN9rocsparseL18bsrxmvn_4x4_kernelILj128ELj8E21rocsparse_complex_numIfEliS2_S2_S2_EEvT3_20rocsparse_direction_NS_24const_host_device_scalarIT1_EES3_PKS3_PKT2_SC_S9_PKT4_PKT5_S7_PT6_21rocsparse_index_base_b,"axG",@progbits,_ZN9rocsparseL18bsrxmvn_4x4_kernelILj128ELj8E21rocsparse_complex_numIfEliS2_S2_S2_EEvT3_20rocsparse_direction_NS_24const_host_device_scalarIT1_EES3_PKS3_PKT2_SC_S9_PKT4_PKT5_S7_PT6_21rocsparse_index_base_b,comdat
.Lfunc_end31:
	.size	_ZN9rocsparseL18bsrxmvn_4x4_kernelILj128ELj8E21rocsparse_complex_numIfEliS2_S2_S2_EEvT3_20rocsparse_direction_NS_24const_host_device_scalarIT1_EES3_PKS3_PKT2_SC_S9_PKT4_PKT5_S7_PT6_21rocsparse_index_base_b, .Lfunc_end31-_ZN9rocsparseL18bsrxmvn_4x4_kernelILj128ELj8E21rocsparse_complex_numIfEliS2_S2_S2_EEvT3_20rocsparse_direction_NS_24const_host_device_scalarIT1_EES3_PKS3_PKT2_SC_S9_PKT4_PKT5_S7_PT6_21rocsparse_index_base_b
                                        ; -- End function
	.set _ZN9rocsparseL18bsrxmvn_4x4_kernelILj128ELj8E21rocsparse_complex_numIfEliS2_S2_S2_EEvT3_20rocsparse_direction_NS_24const_host_device_scalarIT1_EES3_PKS3_PKT2_SC_S9_PKT4_PKT5_S7_PT6_21rocsparse_index_base_b.num_vgpr, 104
	.set _ZN9rocsparseL18bsrxmvn_4x4_kernelILj128ELj8E21rocsparse_complex_numIfEliS2_S2_S2_EEvT3_20rocsparse_direction_NS_24const_host_device_scalarIT1_EES3_PKS3_PKT2_SC_S9_PKT4_PKT5_S7_PT6_21rocsparse_index_base_b.num_agpr, 0
	.set _ZN9rocsparseL18bsrxmvn_4x4_kernelILj128ELj8E21rocsparse_complex_numIfEliS2_S2_S2_EEvT3_20rocsparse_direction_NS_24const_host_device_scalarIT1_EES3_PKS3_PKT2_SC_S9_PKT4_PKT5_S7_PT6_21rocsparse_index_base_b.numbered_sgpr, 22
	.set _ZN9rocsparseL18bsrxmvn_4x4_kernelILj128ELj8E21rocsparse_complex_numIfEliS2_S2_S2_EEvT3_20rocsparse_direction_NS_24const_host_device_scalarIT1_EES3_PKS3_PKT2_SC_S9_PKT4_PKT5_S7_PT6_21rocsparse_index_base_b.num_named_barrier, 0
	.set _ZN9rocsparseL18bsrxmvn_4x4_kernelILj128ELj8E21rocsparse_complex_numIfEliS2_S2_S2_EEvT3_20rocsparse_direction_NS_24const_host_device_scalarIT1_EES3_PKS3_PKT2_SC_S9_PKT4_PKT5_S7_PT6_21rocsparse_index_base_b.private_seg_size, 0
	.set _ZN9rocsparseL18bsrxmvn_4x4_kernelILj128ELj8E21rocsparse_complex_numIfEliS2_S2_S2_EEvT3_20rocsparse_direction_NS_24const_host_device_scalarIT1_EES3_PKS3_PKT2_SC_S9_PKT4_PKT5_S7_PT6_21rocsparse_index_base_b.uses_vcc, 1
	.set _ZN9rocsparseL18bsrxmvn_4x4_kernelILj128ELj8E21rocsparse_complex_numIfEliS2_S2_S2_EEvT3_20rocsparse_direction_NS_24const_host_device_scalarIT1_EES3_PKS3_PKT2_SC_S9_PKT4_PKT5_S7_PT6_21rocsparse_index_base_b.uses_flat_scratch, 0
	.set _ZN9rocsparseL18bsrxmvn_4x4_kernelILj128ELj8E21rocsparse_complex_numIfEliS2_S2_S2_EEvT3_20rocsparse_direction_NS_24const_host_device_scalarIT1_EES3_PKS3_PKT2_SC_S9_PKT4_PKT5_S7_PT6_21rocsparse_index_base_b.has_dyn_sized_stack, 0
	.set _ZN9rocsparseL18bsrxmvn_4x4_kernelILj128ELj8E21rocsparse_complex_numIfEliS2_S2_S2_EEvT3_20rocsparse_direction_NS_24const_host_device_scalarIT1_EES3_PKS3_PKT2_SC_S9_PKT4_PKT5_S7_PT6_21rocsparse_index_base_b.has_recursion, 0
	.set _ZN9rocsparseL18bsrxmvn_4x4_kernelILj128ELj8E21rocsparse_complex_numIfEliS2_S2_S2_EEvT3_20rocsparse_direction_NS_24const_host_device_scalarIT1_EES3_PKS3_PKT2_SC_S9_PKT4_PKT5_S7_PT6_21rocsparse_index_base_b.has_indirect_call, 0
	.section	.AMDGPU.csdata,"",@progbits
; Kernel info:
; codeLenInByte = 6980
; TotalNumSgprs: 28
; NumVgprs: 104
; NumAgprs: 0
; TotalNumVgprs: 104
; ScratchSize: 0
; MemoryBound: 0
; FloatMode: 240
; IeeeMode: 1
; LDSByteSize: 0 bytes/workgroup (compile time only)
; SGPRBlocks: 3
; VGPRBlocks: 12
; NumSGPRsForWavesPerEU: 28
; NumVGPRsForWavesPerEU: 104
; AccumOffset: 104
; Occupancy: 4
; WaveLimiterHint : 1
; COMPUTE_PGM_RSRC2:SCRATCH_EN: 0
; COMPUTE_PGM_RSRC2:USER_SGPR: 2
; COMPUTE_PGM_RSRC2:TRAP_HANDLER: 0
; COMPUTE_PGM_RSRC2:TGID_X_EN: 1
; COMPUTE_PGM_RSRC2:TGID_Y_EN: 0
; COMPUTE_PGM_RSRC2:TGID_Z_EN: 0
; COMPUTE_PGM_RSRC2:TIDIG_COMP_CNT: 0
; COMPUTE_PGM_RSRC3_GFX90A:ACCUM_OFFSET: 25
; COMPUTE_PGM_RSRC3_GFX90A:TG_SPLIT: 0
	.section	.text._ZN9rocsparseL18bsrxmvn_4x4_kernelILj128ELj16E21rocsparse_complex_numIfEliS2_S2_S2_EEvT3_20rocsparse_direction_NS_24const_host_device_scalarIT1_EES3_PKS3_PKT2_SC_S9_PKT4_PKT5_S7_PT6_21rocsparse_index_base_b,"axG",@progbits,_ZN9rocsparseL18bsrxmvn_4x4_kernelILj128ELj16E21rocsparse_complex_numIfEliS2_S2_S2_EEvT3_20rocsparse_direction_NS_24const_host_device_scalarIT1_EES3_PKS3_PKT2_SC_S9_PKT4_PKT5_S7_PT6_21rocsparse_index_base_b,comdat
	.globl	_ZN9rocsparseL18bsrxmvn_4x4_kernelILj128ELj16E21rocsparse_complex_numIfEliS2_S2_S2_EEvT3_20rocsparse_direction_NS_24const_host_device_scalarIT1_EES3_PKS3_PKT2_SC_S9_PKT4_PKT5_S7_PT6_21rocsparse_index_base_b ; -- Begin function _ZN9rocsparseL18bsrxmvn_4x4_kernelILj128ELj16E21rocsparse_complex_numIfEliS2_S2_S2_EEvT3_20rocsparse_direction_NS_24const_host_device_scalarIT1_EES3_PKS3_PKT2_SC_S9_PKT4_PKT5_S7_PT6_21rocsparse_index_base_b
	.p2align	8
	.type	_ZN9rocsparseL18bsrxmvn_4x4_kernelILj128ELj16E21rocsparse_complex_numIfEliS2_S2_S2_EEvT3_20rocsparse_direction_NS_24const_host_device_scalarIT1_EES3_PKS3_PKT2_SC_S9_PKT4_PKT5_S7_PT6_21rocsparse_index_base_b,@function
_ZN9rocsparseL18bsrxmvn_4x4_kernelILj128ELj16E21rocsparse_complex_numIfEliS2_S2_S2_EEvT3_20rocsparse_direction_NS_24const_host_device_scalarIT1_EES3_PKS3_PKT2_SC_S9_PKT4_PKT5_S7_PT6_21rocsparse_index_base_b: ; @_ZN9rocsparseL18bsrxmvn_4x4_kernelILj128ELj16E21rocsparse_complex_numIfEliS2_S2_S2_EEvT3_20rocsparse_direction_NS_24const_host_device_scalarIT1_EES3_PKS3_PKT2_SC_S9_PKT4_PKT5_S7_PT6_21rocsparse_index_base_b
; %bb.0:
	s_load_dwordx2 s[4:5], s[0:1], 0x8
	s_load_dwordx2 s[16:17], s[0:1], 0x58
	s_add_u32 s3, s0, 8
	s_addc_u32 s8, s1, 0
	s_load_dwordx2 s[6:7], s[0:1], 0x48
	s_add_u32 s9, s0, 0x48
	s_addc_u32 s10, s1, 0
	s_waitcnt lgkmcnt(0)
	s_bitcmp1_b32 s17, 0
	s_cselect_b32 s3, s3, s4
	s_cselect_b32 s5, s8, s5
	v_mov_b32_e32 v2, s3
	s_cselect_b32 s3, s10, s7
	s_cselect_b32 s4, s9, s6
	v_mov_b32_e32 v3, s5
	v_mov_b32_e32 v4, s4
	;; [unrolled: 1-line block ×3, first 2 shown]
	flat_load_dwordx2 v[64:65], v[2:3]
	flat_load_dwordx2 v[66:67], v[4:5]
	s_waitcnt vmcnt(0) lgkmcnt(0)
	v_cmp_neq_f32_e32 vcc, 0, v64
	v_cmp_neq_f32_e64 s[4:5], 0, v65
	v_cmp_neq_f32_e64 s[8:9], 1.0, v66
	v_cmp_neq_f32_e64 s[6:7], 0, v67
	s_or_b64 s[4:5], vcc, s[4:5]
	s_or_b64 s[8:9], s[8:9], s[6:7]
	s_or_b64 s[4:5], s[4:5], s[8:9]
	s_and_saveexec_b64 s[8:9], s[4:5]
	s_cbranch_execz .LBB32_6
; %bb.1:
	s_load_dwordx2 s[8:9], s[0:1], 0x18
	s_load_dwordx2 s[4:5], s[0:1], 0x0
	v_lshrrev_b32_e32 v1, 4, v0
	v_lshl_or_b32 v68, s2, 3, v1
	s_mov_b64 s[2:3], 0
	s_waitcnt lgkmcnt(0)
	s_cmp_lg_u64 s[8:9], 0
	s_cbranch_scc0 .LBB32_7
; %bb.2:
	s_load_dword s10, s[0:1], 0x10
                                        ; implicit-def: $vgpr1
	s_waitcnt lgkmcnt(0)
	v_cmp_gt_i32_e32 vcc, s10, v68
	s_and_saveexec_b64 s[10:11], vcc
	s_xor_b64 s[10:11], exec, s[10:11]
	s_cbranch_execz .LBB32_4
; %bb.3:
	v_ashrrev_i32_e32 v69, 31, v68
	v_lshl_add_u64 v[2:3], v[68:69], 2, s[8:9]
	global_load_dword v1, v[2:3], off
	s_mov_b64 s[2:3], exec
	s_waitcnt vmcnt(0)
	v_subrev_u32_e32 v1, s16, v1
.LBB32_4:
	s_or_b64 exec, exec, s[10:11]
	s_branch .LBB32_8
.LBB32_5:
	v_cmp_gt_i32_e32 vcc, s4, v68
	s_andn2_b64 s[2:3], s[2:3], exec
	s_and_b64 s[8:9], vcc, exec
	s_or_b64 s[2:3], s[2:3], s[8:9]
	s_and_b64 exec, exec, s[2:3]
	s_cbranch_execnz .LBB32_9
.LBB32_6:
	s_endpgm
.LBB32_7:
                                        ; implicit-def: $vgpr1
	s_cbranch_execnz .LBB32_5
.LBB32_8:
	v_mov_b32_e32 v68, v1
	s_and_b64 exec, exec, s[2:3]
	s_cbranch_execz .LBB32_6
.LBB32_9:
	s_load_dwordx8 s[8:15], s[0:1], 0x20
	v_ashrrev_i32_e32 v69, 31, v68
	v_lshlrev_b64 v[2:3], 3, v[68:69]
	s_load_dwordx2 s[2:3], s[0:1], 0x40
	v_and_b32_e32 v70, 15, v0
	s_waitcnt lgkmcnt(0)
	v_lshl_add_u64 v[4:5], s[8:9], 0, v[2:3]
	s_cmp_eq_u64 s[10:11], 0
	v_lshl_add_u64 v[2:3], s[10:11], 0, v[2:3]
	global_load_dwordx2 v[28:29], v[4:5], off
	v_lshl_add_u64 v[4:5], v[4:5], 0, 8
	s_cselect_b64 vcc, -1, 0
	v_cndmask_b32_e32 v3, v3, v5, vcc
	v_cndmask_b32_e32 v2, v2, v4, vcc
	global_load_dwordx2 v[2:3], v[2:3], off
	v_mov_b32_e32 v71, 0
	s_cmp_eq_u32 s5, 1
	s_waitcnt vmcnt(1)
	v_subrev_co_u32_e32 v0, vcc, s16, v28
	s_nop 1
	v_subbrev_co_u32_e32 v1, vcc, 0, v29, vcc
	v_lshl_add_u64 v[72:73], v[0:1], 0, v[70:71]
	s_waitcnt vmcnt(0)
	v_subrev_co_u32_e32 v74, vcc, s16, v2
	v_lshlrev_b64 v[0:1], 7, v[72:73]
	s_nop 0
	v_subbrev_co_u32_e32 v75, vcc, 0, v3, vcc
	v_lshl_add_u64 v[76:77], s[14:15], 0, v[0:1]
	v_cmp_lt_i64_e64 s[4:5], v[72:73], v[74:75]
	s_cbranch_scc1 .LBB32_21
; %bb.10:
	v_mov_b32_e32 v80, v71
	v_mov_b32_e32 v61, v71
	;; [unrolled: 1-line block ×7, first 2 shown]
	s_and_saveexec_b64 s[8:9], s[4:5]
	s_cbranch_execz .LBB32_20
; %bb.11:
	v_or_b32_e32 v0, 16, v70
	v_subrev_co_u32_e32 v0, vcc, s16, v0
	v_not_b32_e32 v3, v29
	s_nop 0
	v_subb_co_u32_e64 v1, s[10:11], 0, 0, vcc
	v_lshl_add_u64 v[0:1], v[0:1], 0, v[28:29]
	v_cmp_gt_i64_e32 vcc, v[0:1], v[74:75]
	v_not_b32_e32 v2, v28
	v_mov_b32_e32 v79, 0
	v_cndmask_b32_e32 v1, v75, v1, vcc
	v_cndmask_b32_e32 v0, v74, v0, vcc
	v_sub_co_u32_e32 v4, vcc, s16, v70
	v_mov_b32_e32 v63, v79
	s_nop 0
	v_subb_co_u32_e64 v5, s[10:11], 0, 0, vcc
	v_lshl_add_u64 v[2:3], v[4:5], 0, v[2:3]
	v_lshl_add_u64 v[0:1], v[2:3], 0, v[0:1]
	v_and_b32_e32 v78, 48, v0
	v_cmp_ne_u64_e32 vcc, 48, v[78:79]
	v_mov_b32_e32 v78, v79
	v_mov_b32_e32 v62, v79
	;; [unrolled: 1-line block ×6, first 2 shown]
	v_mov_b64_e32 v[30:31], v[76:77]
	v_mov_b64_e32 v[32:33], v[72:73]
	s_and_saveexec_b64 s[10:11], vcc
	s_cbranch_execz .LBB32_15
; %bb.12:
	v_lshrrev_b32_e32 v2, 4, v0
	v_add_u32_e32 v2, 1, v2
	v_and_b32_e32 v4, 3, v2
	v_sub_co_u32_e32 v4, vcc, 0, v4
	v_mov_b32_e32 v78, 0
	s_nop 0
	v_subb_co_u32_e64 v5, s[18:19], 0, 0, vcc
	v_lshl_add_u64 v[2:3], v[72:73], 2, s[12:13]
	s_mov_b64 s[14:15], 0
	s_mov_b64 s[18:19], 0x800
	v_mov_b64_e32 v[32:33], v[72:73]
	v_mov_b64_e32 v[30:31], v[76:77]
	v_mov_b32_e32 v79, v78
	v_mov_b32_e32 v62, v78
	;; [unrolled: 1-line block ×7, first 2 shown]
.LBB32_13:                              ; =>This Inner Loop Header: Depth=1
	global_load_dword v26, v[2:3], off
	global_load_dwordx4 v[6:9], v[30:31], off
	global_load_dwordx4 v[10:13], v[30:31], off offset:16
	global_load_dwordx4 v[14:17], v[30:31], off offset:32
	;; [unrolled: 1-line block ×7, first 2 shown]
	v_lshl_add_u64 v[4:5], v[4:5], 0, 1
	v_cmp_eq_u64_e32 vcc, 0, v[4:5]
	v_lshl_add_u64 v[30:31], v[30:31], 0, s[18:19]
	v_lshl_add_u64 v[32:33], v[32:33], 0, 16
	;; [unrolled: 1-line block ×3, first 2 shown]
	s_or_b64 s[14:15], vcc, s[14:15]
	s_waitcnt vmcnt(8)
	v_subrev_u32_e32 v26, s16, v26
	v_lshlrev_b32_e32 v26, 2, v26
	v_ashrrev_i32_e32 v27, 31, v26
	v_lshl_add_u64 v[26:27], v[26:27], 3, s[2:3]
	global_load_dwordx4 v[46:49], v[26:27], off
	global_load_dwordx4 v[50:53], v[26:27], off offset:16
	s_waitcnt vmcnt(9)
	v_xor_b32_e32 v26, 0x80000000, v9
	v_mov_b32_e32 v27, v8
	s_waitcnt vmcnt(7)
	v_xor_b32_e32 v56, 0x80000000, v17
	v_mov_b32_e32 v57, v16
	;; [unrolled: 3-line block ×4, first 2 shown]
	v_xor_b32_e32 v54, 0x80000000, v13
	v_mov_b32_e32 v55, v12
	v_xor_b32_e32 v58, 0x80000000, v21
	v_mov_b32_e32 v59, v20
	v_xor_b32_e32 v84, 0x80000000, v37
	v_mov_b32_e32 v85, v36
	v_xor_b32_e32 v88, 0x80000000, v41
	v_mov_b32_e32 v89, v40
	s_waitcnt vmcnt(1)
	v_pk_fma_f32 v[80:81], v[6:7], v[46:47], v[80:81] op_sel_hi:[1,0,1]
	v_pk_fma_f32 v[78:79], v[14:15], v[46:47], v[78:79] op_sel_hi:[1,0,1]
	;; [unrolled: 1-line block ×4, first 2 shown]
	v_pk_fma_f32 v[6:7], v[6:7], v[46:47], v[80:81] op_sel:[1,1,0] op_sel_hi:[0,1,1] neg_lo:[1,0,0]
	v_pk_fma_f32 v[14:15], v[14:15], v[46:47], v[78:79] op_sel:[1,1,0] op_sel_hi:[0,1,1] neg_lo:[1,0,0]
	;; [unrolled: 1-line block ×4, first 2 shown]
	v_mov_b32_e32 v90, v49
	v_pk_fma_f32 v[6:7], v[8:9], v[48:49], v[6:7] op_sel_hi:[1,0,1]
	v_pk_fma_f32 v[8:9], v[16:17], v[48:49], v[14:15] op_sel_hi:[1,0,1]
	;; [unrolled: 1-line block ×8, first 2 shown]
	s_waitcnt vmcnt(0)
	v_pk_fma_f32 v[6:7], v[10:11], v[50:51], v[6:7] op_sel_hi:[1,0,1]
	v_pk_fma_f32 v[8:9], v[18:19], v[50:51], v[8:9] op_sel_hi:[1,0,1]
	;; [unrolled: 1-line block ×4, first 2 shown]
	v_pk_fma_f32 v[6:7], v[10:11], v[50:51], v[6:7] op_sel:[1,1,0] op_sel_hi:[0,1,1] neg_lo:[1,0,0]
	v_pk_fma_f32 v[8:9], v[18:19], v[50:51], v[8:9] op_sel:[1,1,0] op_sel_hi:[0,1,1] neg_lo:[1,0,0]
	;; [unrolled: 1-line block ×4, first 2 shown]
	v_mov_b32_e32 v92, v53
	v_pk_fma_f32 v[6:7], v[12:13], v[52:53], v[6:7] op_sel_hi:[1,0,1]
	v_pk_fma_f32 v[8:9], v[20:21], v[52:53], v[8:9] op_sel_hi:[1,0,1]
	;; [unrolled: 1-line block ×8, first 2 shown]
	s_andn2_b64 exec, exec, s[14:15]
	s_cbranch_execnz .LBB32_13
; %bb.14:
	s_or_b64 exec, exec, s[14:15]
.LBB32_15:
	s_or_b64 exec, exec, s[10:11]
	v_cmp_lt_u64_e32 vcc, 47, v[0:1]
	s_and_saveexec_b64 s[10:11], vcc
	s_cbranch_execz .LBB32_19
; %bb.16:
	v_lshl_add_u64 v[0:1], v[32:33], 2, s[12:13]
	s_mov_b64 s[14:15], 0x80
	v_lshl_add_u64 v[34:35], v[0:1], 0, s[14:15]
	s_mov_b64 s[14:15], 0
	s_mov_b64 s[18:19], 0x1000
	s_movk_i32 s17, 0x1000
	s_mov_b64 s[20:21], 0x100
	s_mov_b64 s[22:23], 0x2000
.LBB32_17:                              ; =>This Inner Loop Header: Depth=1
	global_load_dword v0, v[34:35], off offset:-128
	v_lshl_add_u64 v[32:33], v[32:33], 0, 64
	s_waitcnt vmcnt(0)
	v_subrev_u32_e32 v0, s16, v0
	v_lshlrev_b32_e32 v0, 2, v0
	v_ashrrev_i32_e32 v1, 31, v0
	v_lshl_add_u64 v[4:5], v[0:1], 3, s[2:3]
	global_load_dwordx4 v[0:3], v[4:5], off offset:16
	global_load_dwordx4 v[12:15], v[4:5], off
	global_load_dword v6, v[34:35], off offset:-64
	s_waitcnt vmcnt(2)
	v_mov_b32_e32 v84, v3
	s_waitcnt vmcnt(1)
	v_mov_b32_e32 v82, v15
	s_waitcnt vmcnt(0)
	v_subrev_u32_e32 v4, s16, v6
	v_lshlrev_b32_e32 v4, 2, v4
	v_ashrrev_i32_e32 v5, 31, v4
	v_lshl_add_u64 v[40:41], v[4:5], 3, s[2:3]
	global_load_dwordx4 v[4:7], v[40:41], off offset:16
	global_load_dwordx4 v[8:11], v[40:41], off
	global_load_dwordx4 v[24:27], v[30:31], off offset:48
	global_load_dwordx4 v[36:39], v[30:31], off offset:32
	;; [unrolled: 1-line block ×3, first 2 shown]
	global_load_dwordx4 v[20:23], v[30:31], off
	s_waitcnt vmcnt(0)
	v_pk_fma_f32 v[40:41], v[20:21], v[12:13], v[80:81] op_sel_hi:[1,0,1]
	s_nop 0
	v_pk_fma_f32 v[20:21], v[20:21], v[12:13], v[40:41] op_sel:[1,1,0] op_sel_hi:[0,1,1] neg_lo:[1,0,0]
	v_xor_b32_e32 v40, 0x80000000, v23
	v_pk_fma_f32 v[20:21], v[22:23], v[14:15], v[20:21] op_sel_hi:[1,0,1]
	v_mov_b32_e32 v41, v22
	v_pk_fma_f32 v[20:21], v[40:41], v[82:83], v[20:21] op_sel_hi:[1,0,1]
	s_nop 0
	v_pk_fma_f32 v[20:21], v[16:17], v[0:1], v[20:21] op_sel_hi:[1,0,1]
	s_nop 0
	v_pk_fma_f32 v[16:17], v[16:17], v[0:1], v[20:21] op_sel:[1,1,0] op_sel_hi:[0,1,1] neg_lo:[1,0,0]
	v_xor_b32_e32 v20, 0x80000000, v19
	v_pk_fma_f32 v[16:17], v[18:19], v[2:3], v[16:17] op_sel_hi:[1,0,1]
	v_mov_b32_e32 v21, v18
	v_pk_fma_f32 v[48:49], v[20:21], v[84:85], v[16:17] op_sel_hi:[1,0,1]
	global_load_dwordx4 v[16:19], v[30:31], off offset:2096
	global_load_dwordx4 v[20:23], v[30:31], off offset:2080
	;; [unrolled: 1-line block ×4, first 2 shown]
	s_waitcnt vmcnt(0)
	v_pk_fma_f32 v[48:49], v[44:45], v[8:9], v[48:49] op_sel_hi:[1,0,1]
	s_nop 0
	v_pk_fma_f32 v[44:45], v[44:45], v[8:9], v[48:49] op_sel:[1,1,0] op_sel_hi:[0,1,1] neg_lo:[1,0,0]
	v_pk_fma_f32 v[48:49], v[36:37], v[12:13], v[78:79] op_sel_hi:[1,0,1]
	s_nop 0
	v_pk_fma_f32 v[36:37], v[36:37], v[12:13], v[48:49] op_sel:[1,1,0] op_sel_hi:[0,1,1] neg_lo:[1,0,0]
	v_xor_b32_e32 v48, 0x80000000, v39
	v_pk_fma_f32 v[36:37], v[38:39], v[14:15], v[36:37] op_sel_hi:[1,0,1]
	v_mov_b32_e32 v49, v38
	v_pk_fma_f32 v[36:37], v[48:49], v[82:83], v[36:37] op_sel_hi:[1,0,1]
	s_nop 0
	v_pk_fma_f32 v[36:37], v[24:25], v[0:1], v[36:37] op_sel_hi:[1,0,1]
	s_nop 0
	v_pk_fma_f32 v[24:25], v[24:25], v[0:1], v[36:37] op_sel:[1,1,0] op_sel_hi:[0,1,1] neg_lo:[1,0,0]
	v_xor_b32_e32 v36, 0x80000000, v27
	v_pk_fma_f32 v[24:25], v[26:27], v[2:3], v[24:25] op_sel_hi:[1,0,1]
	v_mov_b32_e32 v37, v26
	v_pk_fma_f32 v[24:25], v[36:37], v[84:85], v[24:25] op_sel_hi:[1,0,1]
	s_nop 0
	v_pk_fma_f32 v[24:25], v[20:21], v[8:9], v[24:25] op_sel_hi:[1,0,1]
	s_nop 0
	v_pk_fma_f32 v[20:21], v[20:21], v[8:9], v[24:25] op_sel:[1,1,0] op_sel_hi:[0,1,1] neg_lo:[1,0,0]
	global_load_dwordx4 v[24:27], v[30:31], off offset:112
	global_load_dwordx4 v[36:39], v[30:31], off offset:96
	;; [unrolled: 1-line block ×4, first 2 shown]
	v_pk_fma_f32 v[20:21], v[22:23], v[10:11], v[20:21] op_sel_hi:[1,0,1]
	s_waitcnt vmcnt(2)
	v_pk_fma_f32 v[60:61], v[36:37], v[12:13], v[60:61] op_sel_hi:[1,0,1]
	s_waitcnt vmcnt(0)
	v_pk_fma_f32 v[56:57], v[52:53], v[12:13], v[62:63] op_sel_hi:[1,0,1]
	s_nop 0
	v_pk_fma_f32 v[52:53], v[52:53], v[12:13], v[56:57] op_sel:[1,1,0] op_sel_hi:[0,1,1] neg_lo:[1,0,0]
	v_xor_b32_e32 v56, 0x80000000, v55
	v_pk_fma_f32 v[52:53], v[54:55], v[14:15], v[52:53] op_sel_hi:[1,0,1]
	v_mov_b32_e32 v57, v54
	v_pk_fma_f32 v[52:53], v[56:57], v[82:83], v[52:53] op_sel_hi:[1,0,1]
	v_pk_fma_f32 v[12:13], v[36:37], v[12:13], v[60:61] op_sel:[1,1,0] op_sel_hi:[0,1,1] neg_lo:[1,0,0]
	v_pk_fma_f32 v[52:53], v[48:49], v[0:1], v[52:53] op_sel_hi:[1,0,1]
	v_xor_b32_e32 v36, 0x80000000, v39
	v_pk_fma_f32 v[48:49], v[48:49], v[0:1], v[52:53] op_sel:[1,1,0] op_sel_hi:[0,1,1] neg_lo:[1,0,0]
	v_xor_b32_e32 v52, 0x80000000, v51
	v_pk_fma_f32 v[48:49], v[50:51], v[2:3], v[48:49] op_sel_hi:[1,0,1]
	v_mov_b32_e32 v53, v50
	v_pk_fma_f32 v[62:63], v[52:53], v[84:85], v[48:49] op_sel_hi:[1,0,1]
	global_load_dwordx4 v[48:51], v[30:31], off offset:2160
	global_load_dwordx4 v[52:55], v[30:31], off offset:2144
	;; [unrolled: 1-line block ×4, first 2 shown]
	v_pk_fma_f32 v[12:13], v[38:39], v[14:15], v[12:13] op_sel_hi:[1,0,1]
	v_mov_b32_e32 v37, v38
	v_pk_fma_f32 v[12:13], v[36:37], v[82:83], v[12:13] op_sel_hi:[1,0,1]
	v_mov_b32_e32 v82, v11
	v_pk_fma_f32 v[12:13], v[24:25], v[0:1], v[12:13] op_sel_hi:[1,0,1]
	s_waitcnt vmcnt(0)
	v_pk_fma_f32 v[62:63], v[78:79], v[8:9], v[62:63] op_sel_hi:[1,0,1]
	v_pk_fma_f32 v[0:1], v[24:25], v[0:1], v[12:13] op_sel:[1,1,0] op_sel_hi:[0,1,1] neg_lo:[1,0,0]
	v_xor_b32_e32 v12, 0x80000000, v27
	v_pk_fma_f32 v[0:1], v[26:27], v[2:3], v[0:1] op_sel_hi:[1,0,1]
	v_mov_b32_e32 v13, v26
	v_pk_fma_f32 v[0:1], v[12:13], v[84:85], v[0:1] op_sel_hi:[1,0,1]
	v_pk_fma_f32 v[78:79], v[78:79], v[8:9], v[62:63] op_sel:[1,1,0] op_sel_hi:[0,1,1] neg_lo:[1,0,0]
	v_pk_fma_f32 v[0:1], v[52:53], v[8:9], v[0:1] op_sel_hi:[1,0,1]
	v_pk_fma_f32 v[12:13], v[46:47], v[10:11], v[44:45] op_sel_hi:[1,0,1]
	v_pk_fma_f32 v[52:53], v[52:53], v[8:9], v[0:1] op_sel:[1,1,0] op_sel_hi:[0,1,1] neg_lo:[1,0,0]
	global_load_dword v0, v[34:35], off
	v_mov_b32_e32 v84, v7
	s_waitcnt vmcnt(0)
	v_subrev_u32_e32 v0, s16, v0
	v_lshlrev_b32_e32 v0, 2, v0
	v_ashrrev_i32_e32 v1, 31, v0
	v_lshl_add_u64 v[8:9], v[0:1], 3, s[2:3]
	global_load_dwordx4 v[0:3], v[8:9], off offset:16
	global_load_dwordx4 v[60:63], v[8:9], off
	v_xor_b32_e32 v8, 0x80000000, v47
	v_mov_b32_e32 v9, v46
	v_pk_fma_f32 v[8:9], v[8:9], v[82:83], v[12:13] op_sel_hi:[1,0,1]
	v_add_co_u32_e32 v46, vcc, s17, v30
	v_pk_fma_f32 v[8:9], v[40:41], v[4:5], v[8:9] op_sel_hi:[1,0,1]
	v_xor_b32_e32 v12, 0x80000000, v43
	v_pk_fma_f32 v[8:9], v[40:41], v[4:5], v[8:9] op_sel:[1,1,0] op_sel_hi:[0,1,1] neg_lo:[1,0,0]
	v_pk_fma_f32 v[8:9], v[42:43], v[6:7], v[8:9] op_sel_hi:[1,0,1]
	v_mov_b32_e32 v13, v42
	v_addc_co_u32_e32 v47, vcc, 0, v31, vcc
	v_pk_fma_f32 v[44:45], v[12:13], v[84:85], v[8:9] op_sel_hi:[1,0,1]
	v_lshl_add_u64 v[8:9], v[30:31], 0, s[18:19]
	global_load_dwordx4 v[36:39], v[46:47], off
	global_load_dwordx4 v[12:15], v[8:9], off offset:48
	global_load_dwordx4 v[40:43], v[8:9], off offset:32
	;; [unrolled: 1-line block ×3, first 2 shown]
	v_cmp_ge_i64_e32 vcc, v[32:33], v[74:75]
	v_lshl_add_u64 v[30:31], v[30:31], 0, s[22:23]
	s_or_b64 s[14:15], vcc, s[14:15]
	s_waitcnt vmcnt(4)
	v_mov_b32_e32 v86, v63
	s_waitcnt vmcnt(3)
	v_pk_fma_f32 v[44:45], v[36:37], v[60:61], v[44:45] op_sel_hi:[1,0,1]
	s_nop 0
	v_pk_fma_f32 v[36:37], v[36:37], v[60:61], v[44:45] op_sel:[1,1,0] op_sel_hi:[0,1,1] neg_lo:[1,0,0]
	v_xor_b32_e32 v44, 0x80000000, v39
	v_pk_fma_f32 v[36:37], v[38:39], v[62:63], v[36:37] op_sel_hi:[1,0,1]
	v_mov_b32_e32 v45, v38
	v_pk_fma_f32 v[36:37], v[44:45], v[86:87], v[36:37] op_sel_hi:[1,0,1]
	s_waitcnt vmcnt(0)
	v_xor_b32_e32 v88, 0x80000000, v25
	v_pk_fma_f32 v[90:91], v[24:25], v[0:1], v[36:37] op_sel_hi:[1,0,1]
	v_xor_b32_e32 v36, 0x80000000, v23
	v_mov_b32_e32 v37, v22
	v_pk_fma_f32 v[20:21], v[36:37], v[82:83], v[20:21] op_sel_hi:[1,0,1]
	v_mov_b32_e32 v89, v24
	v_pk_fma_f32 v[20:21], v[16:17], v[4:5], v[20:21] op_sel_hi:[1,0,1]
	v_xor_b32_e32 v24, 0x80000000, v27
	v_pk_fma_f32 v[16:17], v[16:17], v[4:5], v[20:21] op_sel:[1,1,0] op_sel_hi:[0,1,1] neg_lo:[1,0,0]
	v_xor_b32_e32 v20, 0x80000000, v19
	v_pk_fma_f32 v[16:17], v[18:19], v[6:7], v[16:17] op_sel_hi:[1,0,1]
	v_mov_b32_e32 v21, v18
	v_pk_fma_f32 v[16:17], v[20:21], v[84:85], v[16:17] op_sel_hi:[1,0,1]
	v_xor_b32_e32 v18, 0x80000000, v43
	v_pk_fma_f32 v[16:17], v[40:41], v[60:61], v[16:17] op_sel_hi:[1,0,1]
	v_mov_b32_e32 v19, v42
	v_pk_fma_f32 v[16:17], v[40:41], v[60:61], v[16:17] op_sel:[1,1,0] op_sel_hi:[0,1,1] neg_lo:[1,0,0]
	v_pk_fma_f32 v[16:17], v[42:43], v[62:63], v[16:17] op_sel_hi:[1,0,1]
	v_mov_b32_e32 v25, v26
	v_pk_fma_f32 v[16:17], v[18:19], v[86:87], v[16:17] op_sel_hi:[1,0,1]
	v_pk_fma_f32 v[18:19], v[80:81], v[10:11], v[78:79] op_sel_hi:[1,0,1]
	;; [unrolled: 1-line block ×3, first 2 shown]
	v_xor_b32_e32 v16, 0x80000000, v81
	v_mov_b32_e32 v17, v80
	v_pk_fma_f32 v[16:17], v[16:17], v[82:83], v[18:19] op_sel_hi:[1,0,1]
	v_xor_b32_e32 v18, 0x80000000, v59
	v_pk_fma_f32 v[16:17], v[56:57], v[4:5], v[16:17] op_sel_hi:[1,0,1]
	v_mov_b32_e32 v19, v58
	v_pk_fma_f32 v[16:17], v[56:57], v[4:5], v[16:17] op_sel:[1,1,0] op_sel_hi:[0,1,1] neg_lo:[1,0,0]
	v_pk_fma_f32 v[16:17], v[58:59], v[6:7], v[16:17] op_sel_hi:[1,0,1]
	v_pk_fma_f32 v[10:11], v[54:55], v[10:11], v[52:53] op_sel_hi:[1,0,1]
	;; [unrolled: 1-line block ×3, first 2 shown]
	global_load_dwordx4 v[16:19], v[8:9], off offset:112
	global_load_dwordx4 v[40:43], v[8:9], off offset:96
	;; [unrolled: 1-line block ×4, first 2 shown]
	v_xor_b32_e32 v36, 0x80000000, v13
	v_mov_b32_e32 v37, v12
	v_xor_b32_e32 v12, 0x80000000, v15
	v_mov_b32_e32 v13, v14
	s_waitcnt vmcnt(1)
	v_xor_b32_e32 v92, 0x80000000, v21
	s_waitcnt vmcnt(0)
	v_pk_fma_f32 v[56:57], v[44:45], v[60:61], v[56:57] op_sel_hi:[1,0,1]
	v_mov_b32_e32 v93, v20
	v_pk_fma_f32 v[44:45], v[44:45], v[60:61], v[56:57] op_sel:[1,1,0] op_sel_hi:[0,1,1] neg_lo:[1,0,0]
	v_xor_b32_e32 v56, 0x80000000, v47
	v_pk_fma_f32 v[44:45], v[46:47], v[62:63], v[44:45] op_sel_hi:[1,0,1]
	v_mov_b32_e32 v57, v46
	v_pk_fma_f32 v[44:45], v[56:57], v[86:87], v[44:45] op_sel_hi:[1,0,1]
	s_nop 0
	v_pk_fma_f32 v[94:95], v[20:21], v[0:1], v[44:45] op_sel_hi:[1,0,1]
	v_xor_b32_e32 v44, 0x80000000, v55
	v_mov_b32_e32 v45, v54
	v_pk_fma_f32 v[10:11], v[44:45], v[82:83], v[10:11] op_sel_hi:[1,0,1]
	s_nop 0
	v_pk_fma_f32 v[10:11], v[48:49], v[4:5], v[10:11] op_sel_hi:[1,0,1]
	s_nop 0
	v_pk_fma_f32 v[4:5], v[48:49], v[4:5], v[10:11] op_sel:[1,1,0] op_sel_hi:[0,1,1] neg_lo:[1,0,0]
	v_xor_b32_e32 v10, 0x80000000, v51
	v_pk_fma_f32 v[4:5], v[50:51], v[6:7], v[4:5] op_sel_hi:[1,0,1]
	v_mov_b32_e32 v11, v50
	v_pk_fma_f32 v[4:5], v[10:11], v[84:85], v[4:5] op_sel_hi:[1,0,1]
	v_xor_b32_e32 v6, 0x80000000, v43
	v_pk_fma_f32 v[4:5], v[40:41], v[60:61], v[4:5] op_sel_hi:[1,0,1]
	v_mov_b32_e32 v7, v42
	v_pk_fma_f32 v[4:5], v[40:41], v[60:61], v[4:5] op_sel:[1,1,0] op_sel_hi:[0,1,1] neg_lo:[1,0,0]
	v_pk_fma_f32 v[4:5], v[42:43], v[62:63], v[4:5] op_sel_hi:[1,0,1]
	v_mov_b32_e32 v60, v3
	v_pk_fma_f32 v[6:7], v[6:7], v[86:87], v[4:5] op_sel_hi:[1,0,1]
	global_load_dword v5, v[34:35], off offset:64
	v_xor_b32_e32 v4, 0x80000000, v17
	v_pk_fma_f32 v[6:7], v[16:17], v[0:1], v[6:7] op_sel_hi:[1,0,1]
	v_lshl_add_u64 v[34:35], v[34:35], 0, s[20:21]
	s_waitcnt vmcnt(0)
	v_subrev_u32_e32 v5, s16, v5
	v_lshlrev_b32_e32 v10, 2, v5
	v_ashrrev_i32_e32 v11, 31, v10
	v_lshl_add_u64 v[10:11], v[10:11], 3, s[2:3]
	global_load_dwordx4 v[40:43], v[10:11], off offset:16
	global_load_dwordx4 v[44:47], v[10:11], off
	v_pk_fma_f32 v[10:11], v[88:89], v[0:1], v[90:91] op_sel:[0,1,0]
	v_mov_b32_e32 v5, v16
	v_pk_fma_f32 v[10:11], v[26:27], v[2:3], v[10:11] op_sel_hi:[1,0,1]
	s_nop 0
	v_pk_fma_f32 v[10:11], v[24:25], v[60:61], v[10:11] op_sel_hi:[1,0,1]
	global_load_dwordx4 v[24:27], v[8:9], off offset:2096
	global_load_dwordx4 v[48:51], v[8:9], off offset:2080
	;; [unrolled: 1-line block ×4, first 2 shown]
	s_waitcnt vmcnt(0)
	v_pk_fma_f32 v[10:11], v[56:57], v[44:45], v[10:11] op_sel_hi:[1,0,1]
	s_nop 0
	v_pk_fma_f32 v[10:11], v[56:57], v[44:45], v[10:11] op_sel:[1,1,0] op_sel_hi:[0,1,1] neg_lo:[1,0,0]
	v_xor_b32_e32 v56, 0x80000000, v59
	v_pk_fma_f32 v[10:11], v[58:59], v[46:47], v[10:11] op_sel_hi:[1,0,1]
	v_mov_b32_e32 v57, v58
	v_mov_b32_e32 v58, v47
	v_pk_fma_f32 v[10:11], v[56:57], v[58:59], v[10:11] op_sel_hi:[1,0,1]
	s_nop 0
	v_pk_fma_f32 v[10:11], v[52:53], v[40:41], v[10:11] op_sel_hi:[1,0,1]
	s_nop 0
	v_pk_fma_f32 v[10:11], v[52:53], v[40:41], v[10:11] op_sel:[1,1,0] op_sel_hi:[0,1,1] neg_lo:[1,0,0]
	v_xor_b32_e32 v52, 0x80000000, v55
	v_pk_fma_f32 v[10:11], v[54:55], v[42:43], v[10:11] op_sel_hi:[1,0,1]
	v_mov_b32_e32 v53, v54
	v_mov_b32_e32 v54, v43
	v_pk_fma_f32 v[80:81], v[52:53], v[54:55], v[10:11] op_sel_hi:[1,0,1]
	v_pk_fma_f32 v[10:11], v[36:37], v[0:1], v[38:39] op_sel:[0,1,0]
	s_nop 0
	v_pk_fma_f32 v[10:11], v[14:15], v[2:3], v[10:11] op_sel_hi:[1,0,1]
	s_nop 0
	v_pk_fma_f32 v[10:11], v[12:13], v[60:61], v[10:11] op_sel_hi:[1,0,1]
	v_xor_b32_e32 v12, 0x80000000, v51
	v_pk_fma_f32 v[10:11], v[48:49], v[44:45], v[10:11] op_sel_hi:[1,0,1]
	v_mov_b32_e32 v13, v50
	v_pk_fma_f32 v[10:11], v[48:49], v[44:45], v[10:11] op_sel:[1,1,0] op_sel_hi:[0,1,1] neg_lo:[1,0,0]
	v_pk_fma_f32 v[10:11], v[50:51], v[46:47], v[10:11] op_sel_hi:[1,0,1]
	s_nop 0
	v_pk_fma_f32 v[10:11], v[12:13], v[58:59], v[10:11] op_sel_hi:[1,0,1]
	v_xor_b32_e32 v12, 0x80000000, v27
	v_pk_fma_f32 v[10:11], v[24:25], v[40:41], v[10:11] op_sel_hi:[1,0,1]
	v_mov_b32_e32 v13, v26
	v_pk_fma_f32 v[10:11], v[24:25], v[40:41], v[10:11] op_sel:[1,1,0] op_sel_hi:[0,1,1] neg_lo:[1,0,0]
	v_pk_fma_f32 v[10:11], v[26:27], v[42:43], v[10:11] op_sel_hi:[1,0,1]
	s_nop 0
	v_pk_fma_f32 v[78:79], v[12:13], v[54:55], v[10:11] op_sel_hi:[1,0,1]
	v_pk_fma_f32 v[10:11], v[92:93], v[0:1], v[94:95] op_sel:[0,1,0]
	v_xor_b32_e32 v12, 0x80000000, v23
	v_pk_fma_f32 v[10:11], v[22:23], v[2:3], v[10:11] op_sel_hi:[1,0,1]
	v_mov_b32_e32 v13, v22
	v_pk_fma_f32 v[14:15], v[12:13], v[60:61], v[10:11] op_sel_hi:[1,0,1]
	global_load_dwordx4 v[10:13], v[8:9], off offset:2160
	global_load_dwordx4 v[20:23], v[8:9], off offset:2144
	;; [unrolled: 1-line block ×4, first 2 shown]
	v_pk_fma_f32 v[0:1], v[4:5], v[0:1], v[6:7] op_sel:[0,1,0]
	v_xor_b32_e32 v4, 0x80000000, v19
	v_pk_fma_f32 v[0:1], v[18:19], v[2:3], v[0:1] op_sel_hi:[1,0,1]
	v_mov_b32_e32 v5, v18
	v_pk_fma_f32 v[0:1], v[4:5], v[60:61], v[0:1] op_sel_hi:[1,0,1]
	s_waitcnt vmcnt(2)
	v_xor_b32_e32 v2, 0x80000000, v23
	v_pk_fma_f32 v[0:1], v[20:21], v[44:45], v[0:1] op_sel_hi:[1,0,1]
	s_waitcnt vmcnt(0)
	v_pk_fma_f32 v[8:9], v[36:37], v[44:45], v[14:15] op_sel_hi:[1,0,1]
	v_pk_fma_f32 v[0:1], v[20:21], v[44:45], v[0:1] op_sel:[1,1,0] op_sel_hi:[0,1,1] neg_lo:[1,0,0]
	v_pk_fma_f32 v[8:9], v[36:37], v[44:45], v[8:9] op_sel:[1,1,0] op_sel_hi:[0,1,1] neg_lo:[1,0,0]
	v_xor_b32_e32 v14, 0x80000000, v39
	v_pk_fma_f32 v[8:9], v[38:39], v[46:47], v[8:9] op_sel_hi:[1,0,1]
	v_mov_b32_e32 v15, v38
	v_pk_fma_f32 v[0:1], v[22:23], v[46:47], v[0:1] op_sel_hi:[1,0,1]
	v_mov_b32_e32 v3, v22
	v_pk_fma_f32 v[8:9], v[14:15], v[58:59], v[8:9] op_sel_hi:[1,0,1]
	v_pk_fma_f32 v[0:1], v[2:3], v[58:59], v[0:1] op_sel_hi:[1,0,1]
	v_pk_fma_f32 v[8:9], v[24:25], v[40:41], v[8:9] op_sel_hi:[1,0,1]
	v_pk_fma_f32 v[0:1], v[10:11], v[40:41], v[0:1] op_sel_hi:[1,0,1]
	v_pk_fma_f32 v[8:9], v[24:25], v[40:41], v[8:9] op_sel:[1,1,0] op_sel_hi:[0,1,1] neg_lo:[1,0,0]
	v_pk_fma_f32 v[0:1], v[10:11], v[40:41], v[0:1] op_sel:[1,1,0] op_sel_hi:[0,1,1] neg_lo:[1,0,0]
	v_xor_b32_e32 v14, 0x80000000, v27
	v_pk_fma_f32 v[8:9], v[26:27], v[42:43], v[8:9] op_sel_hi:[1,0,1]
	v_mov_b32_e32 v15, v26
	v_xor_b32_e32 v2, 0x80000000, v13
	v_pk_fma_f32 v[0:1], v[12:13], v[42:43], v[0:1] op_sel_hi:[1,0,1]
	v_mov_b32_e32 v3, v12
	v_pk_fma_f32 v[62:63], v[14:15], v[54:55], v[8:9] op_sel_hi:[1,0,1]
	v_pk_fma_f32 v[60:61], v[2:3], v[54:55], v[0:1] op_sel_hi:[1,0,1]
	s_andn2_b64 exec, exec, s[14:15]
	s_cbranch_execnz .LBB32_17
; %bb.18:
	s_or_b64 exec, exec, s[14:15]
.LBB32_19:
	s_or_b64 exec, exec, s[10:11]
	v_mov_b32_e32 v71, v81
.LBB32_20:
	s_or_b64 exec, exec, s[8:9]
	s_cbranch_execz .LBB32_22
	s_branch .LBB32_33
.LBB32_21:
                                        ; implicit-def: $vgpr80
                                        ; implicit-def: $vgpr61
                                        ; implicit-def: $vgpr63
                                        ; implicit-def: $vgpr79
.LBB32_22:
	v_mov_b32_e32 v71, 0
	v_mov_b32_e32 v80, 0
	;; [unrolled: 1-line block ×8, first 2 shown]
	s_and_saveexec_b64 s[8:9], s[4:5]
	s_cbranch_execz .LBB32_32
; %bb.23:
	v_or_b32_e32 v0, 16, v70
	v_subrev_co_u32_e32 v0, vcc, s16, v0
	v_not_b32_e32 v3, v29
	s_nop 0
	v_subb_co_u32_e64 v1, s[4:5], 0, 0, vcc
	v_lshl_add_u64 v[0:1], v[0:1], 0, v[28:29]
	v_cmp_gt_i64_e32 vcc, v[0:1], v[74:75]
	v_not_b32_e32 v2, v28
	v_mov_b32_e32 v79, 0
	v_cndmask_b32_e32 v1, v75, v1, vcc
	v_cndmask_b32_e32 v0, v74, v0, vcc
	v_sub_co_u32_e32 v4, vcc, s16, v70
	v_mov_b32_e32 v63, v79
	s_nop 0
	v_subb_co_u32_e64 v5, s[4:5], 0, 0, vcc
	v_lshl_add_u64 v[2:3], v[4:5], 0, v[2:3]
	v_lshl_add_u64 v[0:1], v[2:3], 0, v[0:1]
	v_and_b32_e32 v78, 48, v0
	v_cmp_ne_u64_e32 vcc, 48, v[78:79]
	v_mov_b32_e32 v78, v79
	v_mov_b32_e32 v62, v79
	;; [unrolled: 1-line block ×6, first 2 shown]
	s_and_saveexec_b64 s[4:5], vcc
	s_cbranch_execz .LBB32_27
; %bb.24:
	v_lshrrev_b32_e32 v2, 4, v0
	v_add_u32_e32 v2, 1, v2
	v_and_b32_e32 v4, 3, v2
	v_sub_co_u32_e32 v4, vcc, 0, v4
	v_mov_b32_e32 v78, 0
	s_nop 0
	v_subb_co_u32_e64 v5, s[14:15], 0, 0, vcc
	v_lshl_add_u64 v[2:3], v[72:73], 2, s[12:13]
	s_mov_b64 s[10:11], 0
	s_mov_b64 s[14:15], 0x800
	v_mov_b32_e32 v79, v78
	v_mov_b32_e32 v62, v78
	;; [unrolled: 1-line block ×7, first 2 shown]
.LBB32_25:                              ; =>This Inner Loop Header: Depth=1
	global_load_dword v34, v[2:3], off
	global_load_dwordx4 v[6:9], v[76:77], off
	global_load_dwordx4 v[10:13], v[76:77], off offset:32
	global_load_dwordx4 v[14:17], v[76:77], off offset:48
	;; [unrolled: 1-line block ×6, first 2 shown]
	v_lshl_add_u64 v[4:5], v[4:5], 0, 1
	v_cmp_eq_u64_e32 vcc, 0, v[4:5]
	v_lshl_add_u64 v[72:73], v[72:73], 0, 16
	v_lshl_add_u64 v[2:3], v[2:3], 0, 64
	s_or_b64 s[10:11], vcc, s[10:11]
	s_waitcnt vmcnt(7)
	v_subrev_u32_e32 v34, s16, v34
	v_lshlrev_b32_e32 v34, 2, v34
	v_ashrrev_i32_e32 v35, 31, v34
	v_lshl_add_u64 v[46:47], v[34:35], 3, s[2:3]
	global_load_dwordx4 v[34:37], v[46:47], off offset:16
	global_load_dwordx4 v[38:41], v[46:47], off
	global_load_dwordx4 v[42:45], v[76:77], off offset:112
	s_waitcnt vmcnt(9)
	v_xor_b32_e32 v46, 0x80000000, v9
	v_mov_b32_e32 v47, v8
	s_waitcnt vmcnt(5)
	v_xor_b32_e32 v54, 0x80000000, v25
	v_mov_b32_e32 v55, v24
	v_xor_b32_e32 v48, 0x80000000, v13
	v_mov_b32_e32 v49, v12
	v_xor_b32_e32 v56, 0x80000000, v17
	v_mov_b32_e32 v57, v16
	v_xor_b32_e32 v50, 0x80000000, v21
	v_mov_b32_e32 v51, v20
	s_waitcnt vmcnt(3)
	v_xor_b32_e32 v58, 0x80000000, v33
	v_mov_b32_e32 v59, v32
	v_xor_b32_e32 v52, 0x80000000, v29
	v_mov_b32_e32 v53, v28
	v_lshl_add_u64 v[76:77], v[76:77], 0, s[14:15]
	s_waitcnt vmcnt(2)
	v_mov_b32_e32 v86, v37
	s_waitcnt vmcnt(1)
	v_pk_fma_f32 v[80:81], v[6:7], v[38:39], v[80:81] op_sel_hi:[1,0,1]
	v_pk_fma_f32 v[8:9], v[8:9], v[38:39], v[78:79] op_sel_hi:[1,0,1]
	;; [unrolled: 1-line block ×4, first 2 shown]
	v_pk_fma_f32 v[6:7], v[6:7], v[38:39], v[80:81] op_sel:[1,1,0] op_sel_hi:[0,1,1] neg_lo:[1,0,0]
	v_pk_fma_f32 v[8:9], v[46:47], v[38:39], v[8:9] op_sel:[0,1,0]
	v_pk_fma_f32 v[22:23], v[22:23], v[38:39], v[62:63] op_sel:[1,1,0] op_sel_hi:[0,1,1] neg_lo:[1,0,0]
	v_pk_fma_f32 v[24:25], v[54:55], v[38:39], v[24:25] op_sel:[0,1,0]
	v_mov_b32_e32 v84, v41
	v_pk_fma_f32 v[6:7], v[10:11], v[40:41], v[6:7] op_sel_hi:[1,0,1]
	v_pk_fma_f32 v[8:9], v[12:13], v[40:41], v[8:9] op_sel_hi:[1,0,1]
	;; [unrolled: 1-line block ×4, first 2 shown]
	v_pk_fma_f32 v[6:7], v[10:11], v[84:85], v[6:7] op_sel:[1,0,0] op_sel_hi:[0,0,1] neg_lo:[1,0,0]
	v_pk_fma_f32 v[8:9], v[48:49], v[84:85], v[8:9] op_sel_hi:[1,0,1]
	v_pk_fma_f32 v[10:11], v[14:15], v[84:85], v[12:13] op_sel:[1,0,0] op_sel_hi:[0,0,1] neg_lo:[1,0,0]
	v_pk_fma_f32 v[12:13], v[56:57], v[84:85], v[16:17] op_sel_hi:[1,0,1]
	v_pk_fma_f32 v[6:7], v[18:19], v[34:35], v[6:7] op_sel_hi:[1,0,1]
	;; [unrolled: 1-line block ×5, first 2 shown]
	v_pk_fma_f32 v[6:7], v[18:19], v[34:35], v[6:7] op_sel:[1,1,0] op_sel_hi:[0,1,1] neg_lo:[1,0,0]
	v_pk_fma_f32 v[8:9], v[50:51], v[34:35], v[8:9] op_sel:[0,1,0]
	v_pk_fma_f32 v[10:11], v[30:31], v[34:35], v[10:11] op_sel:[1,1,0] op_sel_hi:[0,1,1] neg_lo:[1,0,0]
	v_pk_fma_f32 v[12:13], v[58:59], v[34:35], v[12:13] op_sel:[0,1,0]
	s_waitcnt vmcnt(0)
	v_xor_b32_e32 v82, 0x80000000, v45
	v_mov_b32_e32 v83, v44
	v_pk_fma_f32 v[6:7], v[26:27], v[36:37], v[6:7] op_sel_hi:[1,0,1]
	v_pk_fma_f32 v[8:9], v[28:29], v[36:37], v[8:9] op_sel_hi:[1,0,1]
	;; [unrolled: 1-line block ×4, first 2 shown]
	v_pk_fma_f32 v[80:81], v[26:27], v[86:87], v[6:7] op_sel:[1,0,0] op_sel_hi:[0,0,1] neg_lo:[1,0,0]
	v_pk_fma_f32 v[78:79], v[52:53], v[86:87], v[8:9] op_sel_hi:[1,0,1]
	v_pk_fma_f32 v[62:63], v[42:43], v[86:87], v[10:11] op_sel:[1,0,0] op_sel_hi:[0,0,1] neg_lo:[1,0,0]
	v_pk_fma_f32 v[60:61], v[82:83], v[86:87], v[12:13] op_sel_hi:[1,0,1]
	s_andn2_b64 exec, exec, s[10:11]
	s_cbranch_execnz .LBB32_25
; %bb.26:
	s_or_b64 exec, exec, s[10:11]
.LBB32_27:
	s_or_b64 exec, exec, s[4:5]
	v_cmp_lt_u64_e32 vcc, 47, v[0:1]
	s_and_saveexec_b64 s[4:5], vcc
	s_cbranch_execz .LBB32_31
; %bb.28:
	v_lshl_add_u64 v[0:1], v[72:73], 2, s[12:13]
	s_mov_b64 s[10:11], 0x80
	v_lshl_add_u64 v[82:83], v[0:1], 0, s[10:11]
	s_mov_b64 s[10:11], 0
	s_mov_b64 s[12:13], 0x1000
	s_movk_i32 s17, 0x1000
	s_mov_b64 s[14:15], 0x100
	s_mov_b64 s[18:19], 0x2000
.LBB32_29:                              ; =>This Inner Loop Header: Depth=1
	global_load_dword v69, v[82:83], off offset:-128
	global_load_dwordx4 v[56:59], v[76:77], off
	global_load_dwordx4 v[52:55], v[76:77], off offset:16
	global_load_dwordx4 v[40:43], v[76:77], off offset:48
	global_load_dwordx4 v[44:47], v[76:77], off offset:32
	global_load_dwordx4 v[12:15], v[76:77], off offset:112
	global_load_dwordx4 v[24:27], v[76:77], off offset:96
	global_load_dwordx4 v[36:39], v[76:77], off offset:80
	global_load_dwordx4 v[48:51], v[76:77], off offset:64
	global_load_dwordx4 v[0:3], v[76:77], off offset:2096
	global_load_dwordx4 v[8:11], v[76:77], off offset:2080
	global_load_dwordx4 v[16:19], v[76:77], off offset:2064
	global_load_dwordx4 v[20:23], v[76:77], off offset:2048
	global_load_dwordx4 v[4:7], v[76:77], off offset:2160
	global_load_dwordx4 v[28:31], v[76:77], off offset:2144
	global_load_dwordx4 v[32:35], v[76:77], off offset:2128
	global_load_dword v71, v[82:83], off offset:-64
	global_load_dword v100, v[82:83], off
	global_load_dword v101, v[82:83], off offset:64
	v_add_co_u32_e32 v98, vcc, s17, v76
	v_lshl_add_u64 v[96:97], v[76:77], 0, s[12:13]
	s_nop 0
	v_addc_co_u32_e32 v99, vcc, 0, v77, vcc
	v_lshl_add_u64 v[72:73], v[72:73], 0, 64
	v_cmp_ge_i64_e32 vcc, v[72:73], v[74:75]
	v_lshl_add_u64 v[82:83], v[82:83], 0, s[14:15]
	s_or_b64 s[10:11], vcc, s[10:11]
	s_waitcnt vmcnt(18)
	v_subrev_u32_e32 v69, s16, v69
	v_lshlrev_b32_e32 v84, 2, v69
	v_ashrrev_i32_e32 v85, 31, v84
	v_lshl_add_u64 v[94:95], v[84:85], 3, s[2:3]
	global_load_dwordx4 v[84:87], v[94:95], off
	global_load_dwordx4 v[88:91], v[94:95], off offset:16
	s_waitcnt vmcnt(19)
	v_xor_b32_e32 v92, 0x80000000, v59
	v_mov_b32_e32 v93, v58
	s_waitcnt vmcnt(18)
	v_xor_b32_e32 v94, 0x80000000, v55
	v_mov_b32_e32 v95, v54
	s_waitcnt vmcnt(2)
	v_subrev_u32_e32 v69, s16, v101
	s_waitcnt vmcnt(1)
	v_pk_fma_f32 v[80:81], v[56:57], v[84:85], v[80:81] op_sel_hi:[1,0,1]
	v_pk_fma_f32 v[58:59], v[58:59], v[84:85], v[78:79] op_sel_hi:[1,0,1]
	v_pk_fma_f32 v[62:63], v[52:53], v[84:85], v[62:63] op_sel_hi:[1,0,1]
	v_pk_fma_f32 v[54:55], v[54:55], v[84:85], v[60:61] op_sel_hi:[1,0,1]
	v_pk_fma_f32 v[56:57], v[56:57], v[84:85], v[80:81] op_sel:[1,1,0] op_sel_hi:[0,1,1] neg_lo:[1,0,0]
	v_pk_fma_f32 v[60:61], v[52:53], v[84:85], v[62:63] op_sel:[1,1,0] op_sel_hi:[0,1,1] neg_lo:[1,0,0]
	v_pk_fma_f32 v[58:59], v[92:93], v[84:85], v[58:59] op_sel:[0,1,0]
	v_pk_fma_f32 v[62:63], v[94:95], v[84:85], v[54:55] op_sel:[0,1,0]
	v_pk_fma_f32 v[56:57], v[44:45], v[86:87], v[56:57] op_sel_hi:[1,0,1]
	v_pk_fma_f32 v[84:85], v[46:47], v[86:87], v[58:59] op_sel_hi:[1,0,1]
	;; [unrolled: 1-line block ×4, first 2 shown]
	v_mov_b32_e32 v86, v87
	v_xor_b32_e32 v62, 0x80000000, v47
	v_mov_b32_e32 v63, v46
	v_pk_fma_f32 v[44:45], v[44:45], v[86:87], v[56:57] op_sel:[1,0,0] op_sel_hi:[0,0,1] neg_lo:[1,0,0]
	v_pk_fma_f32 v[46:47], v[62:63], v[86:87], v[84:85] op_sel_hi:[1,0,1]
	v_xor_b32_e32 v84, 0x80000000, v43
	v_mov_b32_e32 v85, v42
	v_pk_fma_f32 v[94:95], v[40:41], v[86:87], v[60:61] op_sel:[1,0,0] op_sel_hi:[0,0,1] neg_lo:[1,0,0]
	v_pk_fma_f32 v[84:85], v[84:85], v[86:87], v[92:93] op_sel_hi:[1,0,1]
	s_waitcnt vmcnt(0)
	v_pk_fma_f32 v[40:41], v[48:49], v[88:89], v[44:45] op_sel_hi:[1,0,1]
	v_xor_b32_e32 v86, 0x80000000, v51
	v_mov_b32_e32 v87, v50
	v_pk_fma_f32 v[44:45], v[50:51], v[88:89], v[46:47] op_sel_hi:[1,0,1]
	v_pk_fma_f32 v[48:49], v[48:49], v[88:89], v[40:41] op_sel:[1,1,0] op_sel_hi:[0,1,1] neg_lo:[1,0,0]
	v_xor_b32_e32 v46, 0x80000000, v39
	v_mov_b32_e32 v47, v38
	v_pk_fma_f32 v[50:51], v[36:37], v[88:89], v[94:95] op_sel_hi:[1,0,1]
	v_pk_fma_f32 v[84:85], v[38:39], v[88:89], v[84:85] op_sel_hi:[1,0,1]
	v_pk_fma_f32 v[50:51], v[36:37], v[88:89], v[50:51] op_sel:[1,1,0] op_sel_hi:[0,1,1] neg_lo:[1,0,0]
	v_pk_fma_f32 v[86:87], v[86:87], v[88:89], v[44:45] op_sel:[0,1,0]
	v_pk_fma_f32 v[84:85], v[46:47], v[88:89], v[84:85] op_sel:[0,1,0]
	v_pk_fma_f32 v[48:49], v[24:25], v[90:91], v[48:49] op_sel_hi:[1,0,1]
	v_mov_b32_e32 v88, v91
	v_pk_fma_f32 v[50:51], v[12:13], v[90:91], v[50:51] op_sel_hi:[1,0,1]
	v_pk_fma_f32 v[84:85], v[14:15], v[90:91], v[84:85] op_sel_hi:[1,0,1]
	v_pk_fma_f32 v[92:93], v[24:25], v[88:89], v[48:49] op_sel:[1,0,0] op_sel_hi:[0,0,1] neg_lo:[1,0,0]
	v_mov_b32_e32 v49, v14
	v_subrev_u32_e32 v14, s16, v71
	v_pk_fma_f32 v[94:95], v[12:13], v[88:89], v[50:51] op_sel:[1,0,0] op_sel_hi:[0,0,1] neg_lo:[1,0,0]
	v_lshlrev_b32_e32 v12, 2, v14
	v_ashrrev_i32_e32 v13, 31, v12
	v_lshl_add_u64 v[50:51], v[12:13], 3, s[2:3]
	v_xor_b32_e32 v48, 0x80000000, v15
	global_load_dwordx4 v[12:15], v[50:51], off
	global_load_dwordx4 v[78:81], v[76:77], off offset:2112
	global_load_dwordx4 v[60:63], v[96:97], off offset:16
	v_pk_fma_f32 v[84:85], v[48:49], v[88:89], v[84:85] op_sel_hi:[1,0,1]
	global_load_dwordx4 v[48:51], v[50:51], off offset:16
	v_pk_fma_f32 v[86:87], v[26:27], v[90:91], v[86:87] op_sel_hi:[1,0,1]
	v_xor_b32_e32 v90, 0x80000000, v27
	v_mov_b32_e32 v91, v26
	v_pk_fma_f32 v[86:87], v[90:91], v[88:89], v[86:87] op_sel_hi:[1,0,1]
	global_load_dwordx4 v[24:27], v[98:99], off
	v_xor_b32_e32 v98, 0x80000000, v23
	v_mov_b32_e32 v99, v22
	v_xor_b32_e32 v90, 0x80000000, v19
	v_mov_b32_e32 v91, v18
	global_load_dwordx4 v[52:55], v[96:97], off offset:48
	global_load_dwordx4 v[56:59], v[96:97], off offset:32
	;; [unrolled: 1-line block ×5, first 2 shown]
	v_lshl_add_u64 v[76:77], v[76:77], 0, s[18:19]
	s_waitcnt vmcnt(9)
	v_pk_fma_f32 v[88:89], v[20:21], v[12:13], v[92:93] op_sel_hi:[1,0,1]
	v_pk_fma_f32 v[86:87], v[22:23], v[12:13], v[86:87] op_sel_hi:[1,0,1]
	;; [unrolled: 1-line block ×4, first 2 shown]
	v_pk_fma_f32 v[88:89], v[20:21], v[12:13], v[88:89] op_sel:[1,1,0] op_sel_hi:[0,1,1] neg_lo:[1,0,0]
	v_pk_fma_f32 v[92:93], v[16:17], v[12:13], v[92:93] op_sel:[1,1,0] op_sel_hi:[0,1,1] neg_lo:[1,0,0]
	v_pk_fma_f32 v[94:95], v[98:99], v[12:13], v[86:87] op_sel:[0,1,0]
	v_pk_fma_f32 v[12:13], v[90:91], v[12:13], v[84:85] op_sel:[0,1,0]
	v_pk_fma_f32 v[88:89], v[8:9], v[14:15], v[88:89] op_sel_hi:[1,0,1]
	v_pk_fma_f32 v[90:91], v[10:11], v[14:15], v[94:95] op_sel_hi:[1,0,1]
	;; [unrolled: 1-line block ×4, first 2 shown]
	v_mov_b32_e32 v14, v15
	v_xor_b32_e32 v94, 0x80000000, v11
	v_mov_b32_e32 v95, v10
	v_pk_fma_f32 v[88:89], v[8:9], v[14:15], v[88:89] op_sel:[1,0,0] op_sel_hi:[0,0,1] neg_lo:[1,0,0]
	v_xor_b32_e32 v98, 0x80000000, v3
	v_mov_b32_e32 v99, v2
	v_pk_fma_f32 v[92:93], v[0:1], v[14:15], v[92:93] op_sel:[1,0,0] op_sel_hi:[0,0,1] neg_lo:[1,0,0]
	v_pk_fma_f32 v[90:91], v[94:95], v[14:15], v[90:91] op_sel_hi:[1,0,1]
	v_pk_fma_f32 v[94:95], v[98:99], v[14:15], v[12:13] op_sel_hi:[1,0,1]
	s_waitcnt vmcnt(6)
	v_pk_fma_f32 v[12:13], v[78:79], v[48:49], v[88:89] op_sel_hi:[1,0,1]
	v_xor_b32_e32 v98, 0x80000000, v81
	v_mov_b32_e32 v99, v80
	v_pk_fma_f32 v[80:81], v[80:81], v[48:49], v[90:91] op_sel_hi:[1,0,1]
	v_pk_fma_f32 v[88:89], v[78:79], v[48:49], v[12:13] op_sel:[1,1,0] op_sel_hi:[0,1,1] neg_lo:[1,0,0]
	v_xor_b32_e32 v78, 0x80000000, v35
	v_mov_b32_e32 v79, v34
	v_pk_fma_f32 v[90:91], v[32:33], v[48:49], v[92:93] op_sel_hi:[1,0,1]
	v_pk_fma_f32 v[92:93], v[34:35], v[48:49], v[94:95] op_sel_hi:[1,0,1]
	v_pk_fma_f32 v[90:91], v[32:33], v[48:49], v[90:91] op_sel:[1,1,0] op_sel_hi:[0,1,1] neg_lo:[1,0,0]
	v_pk_fma_f32 v[94:95], v[98:99], v[48:49], v[80:81] op_sel:[0,1,0]
	v_pk_fma_f32 v[48:49], v[78:79], v[48:49], v[92:93] op_sel:[0,1,0]
	v_pk_fma_f32 v[88:89], v[28:29], v[50:51], v[88:89] op_sel_hi:[1,0,1]
	v_pk_fma_f32 v[92:93], v[30:31], v[50:51], v[94:95] op_sel_hi:[1,0,1]
	;; [unrolled: 1-line block ×4, first 2 shown]
	v_mov_b32_e32 v50, v51
	global_load_dwordx4 v[20:23], v[96:97], off offset:80
	global_load_dwordx4 v[16:19], v[96:97], off offset:64
	;; [unrolled: 1-line block ×8, first 2 shown]
	v_xor_b32_e32 v94, 0x80000000, v31
	v_mov_b32_e32 v95, v30
	v_pk_fma_f32 v[88:89], v[28:29], v[50:51], v[88:89] op_sel:[1,0,0] op_sel_hi:[0,0,1] neg_lo:[1,0,0]
	global_load_dwordx4 v[28:31], v[96:97], off offset:2112
	v_mov_b32_e32 v97, v6
	v_subrev_u32_e32 v6, s16, v100
	v_pk_fma_f32 v[90:91], v[4:5], v[50:51], v[90:91] op_sel:[1,0,0] op_sel_hi:[0,0,1] neg_lo:[1,0,0]
	v_lshlrev_b32_e32 v4, 2, v6
	v_ashrrev_i32_e32 v5, 31, v4
	v_xor_b32_e32 v96, 0x80000000, v7
	v_lshl_add_u64 v[100:101], v[4:5], 3, s[2:3]
	v_pk_fma_f32 v[92:93], v[94:95], v[50:51], v[92:93] op_sel_hi:[1,0,1]
	v_pk_fma_f32 v[94:95], v[96:97], v[50:51], v[48:49] op_sel_hi:[1,0,1]
	global_load_dwordx4 v[4:7], v[100:101], off
	global_load_dwordx4 v[48:51], v[100:101], off offset:16
	s_waitcnt vmcnt(16)
	v_xor_b32_e32 v98, 0x80000000, v27
	v_mov_b32_e32 v99, v26
	s_waitcnt vmcnt(14)
	v_xor_b32_e32 v96, 0x80000000, v59
	v_mov_b32_e32 v97, v58
	s_waitcnt vmcnt(1)
	v_pk_fma_f32 v[88:89], v[24:25], v[4:5], v[88:89] op_sel_hi:[1,0,1]
	s_nop 0
	v_pk_fma_f32 v[88:89], v[24:25], v[4:5], v[88:89] op_sel:[1,1,0] op_sel_hi:[0,1,1] neg_lo:[1,0,0]
	v_lshlrev_b32_e32 v24, 2, v69
	v_pk_fma_f32 v[90:91], v[60:61], v[4:5], v[90:91] op_sel_hi:[1,0,1]
	v_ashrrev_i32_e32 v25, 31, v24
	v_pk_fma_f32 v[26:27], v[26:27], v[4:5], v[92:93] op_sel_hi:[1,0,1]
	v_pk_fma_f32 v[90:91], v[60:61], v[4:5], v[90:91] op_sel:[1,1,0] op_sel_hi:[0,1,1] neg_lo:[1,0,0]
	v_lshl_add_u64 v[60:61], v[24:25], 3, s[2:3]
	v_pk_fma_f32 v[98:99], v[98:99], v[4:5], v[26:27] op_sel:[0,1,0]
	global_load_dwordx4 v[24:27], v[60:61], off
	v_xor_b32_e32 v92, 0x80000000, v63
	v_mov_b32_e32 v93, v62
	v_pk_fma_f32 v[62:63], v[62:63], v[4:5], v[94:95] op_sel_hi:[1,0,1]
	v_xor_b32_e32 v94, 0x80000000, v55
	v_pk_fma_f32 v[4:5], v[92:93], v[4:5], v[62:63] op_sel:[0,1,0]
	global_load_dwordx4 v[60:63], v[60:61], off offset:16
	v_mov_b32_e32 v95, v54
	v_pk_fma_f32 v[88:89], v[56:57], v[6:7], v[88:89] op_sel_hi:[1,0,1]
	v_pk_fma_f32 v[58:59], v[58:59], v[6:7], v[98:99] op_sel_hi:[1,0,1]
	;; [unrolled: 1-line block ×4, first 2 shown]
	v_mov_b32_e32 v6, v7
	v_pk_fma_f32 v[56:57], v[56:57], v[6:7], v[88:89] op_sel:[1,0,0] op_sel_hi:[0,0,1] neg_lo:[1,0,0]
	v_pk_fma_f32 v[52:53], v[52:53], v[6:7], v[90:91] op_sel:[1,0,0] op_sel_hi:[0,0,1] neg_lo:[1,0,0]
	v_pk_fma_f32 v[58:59], v[96:97], v[6:7], v[58:59] op_sel_hi:[1,0,1]
	v_pk_fma_f32 v[4:5], v[94:95], v[6:7], v[4:5] op_sel_hi:[1,0,1]
	v_xor_b32_e32 v54, 0x80000000, v17
	v_xor_b32_e32 v88, 0x80000000, v19
	;; [unrolled: 1-line block ×4, first 2 shown]
	v_mov_b32_e32 v55, v16
	v_mov_b32_e32 v89, v18
	;; [unrolled: 1-line block ×4, first 2 shown]
	s_waitcnt vmcnt(2)
	v_pk_fma_f32 v[16:17], v[16:17], v[48:49], v[56:57] op_sel_hi:[1,0,1]
	v_pk_fma_f32 v[18:19], v[18:19], v[48:49], v[58:59] op_sel_hi:[1,0,1]
	;; [unrolled: 1-line block ×4, first 2 shown]
	v_pk_fma_f32 v[16:17], v[54:55], v[48:49], v[16:17] op_sel:[0,1,0]
	v_pk_fma_f32 v[18:19], v[88:89], v[48:49], v[18:19] op_sel:[0,1,0]
	;; [unrolled: 1-line block ×4, first 2 shown]
	v_xor_b32_e32 v98, 0x80000000, v39
	v_mov_b32_e32 v99, v38
	v_xor_b32_e32 v58, 0x80000000, v43
	v_mov_b32_e32 v59, v42
	v_mov_b32_e32 v92, v51
	v_pk_fma_f32 v[16:17], v[36:37], v[50:51], v[16:17] op_sel_hi:[1,0,1]
	v_pk_fma_f32 v[18:19], v[38:39], v[50:51], v[18:19] op_sel_hi:[1,0,1]
	;; [unrolled: 1-line block ×4, first 2 shown]
	v_pk_fma_f32 v[16:17], v[36:37], v[92:93], v[16:17] op_sel:[1,0,0] op_sel_hi:[0,0,1] neg_lo:[1,0,0]
	v_pk_fma_f32 v[18:19], v[98:99], v[92:93], v[18:19] op_sel_hi:[1,0,1]
	v_pk_fma_f32 v[20:21], v[40:41], v[92:93], v[20:21] op_sel:[1,0,0] op_sel_hi:[0,0,1] neg_lo:[1,0,0]
	v_pk_fma_f32 v[4:5], v[58:59], v[92:93], v[4:5] op_sel_hi:[1,0,1]
	v_xor_b32_e32 v96, 0x80000000, v15
	v_mov_b32_e32 v97, v14
	v_xor_b32_e32 v22, 0x80000000, v11
	v_mov_b32_e32 v23, v10
	;; [unrolled: 2-line block ×8, first 2 shown]
	s_waitcnt vmcnt(1)
	v_pk_fma_f32 v[16:17], v[12:13], v[24:25], v[16:17] op_sel_hi:[1,0,1]
	v_pk_fma_f32 v[14:15], v[14:15], v[24:25], v[18:19] op_sel_hi:[1,0,1]
	;; [unrolled: 1-line block ×4, first 2 shown]
	v_pk_fma_f32 v[10:11], v[12:13], v[24:25], v[16:17] op_sel:[1,1,0] op_sel_hi:[0,1,1] neg_lo:[1,0,0]
	v_pk_fma_f32 v[12:13], v[96:97], v[24:25], v[14:15] op_sel:[0,1,0]
	v_pk_fma_f32 v[8:9], v[8:9], v[24:25], v[18:19] op_sel:[1,1,0] op_sel_hi:[0,1,1] neg_lo:[1,0,0]
	v_pk_fma_f32 v[4:5], v[22:23], v[24:25], v[4:5] op_sel:[0,1,0]
	v_mov_b32_e32 v48, v27
	v_pk_fma_f32 v[10:11], v[0:1], v[26:27], v[10:11] op_sel_hi:[1,0,1]
	v_pk_fma_f32 v[2:3], v[2:3], v[26:27], v[12:13] op_sel_hi:[1,0,1]
	;; [unrolled: 1-line block ×4, first 2 shown]
	v_pk_fma_f32 v[0:1], v[0:1], v[48:49], v[10:11] op_sel:[1,0,0] op_sel_hi:[0,0,1] neg_lo:[1,0,0]
	v_pk_fma_f32 v[2:3], v[6:7], v[48:49], v[2:3] op_sel_hi:[1,0,1]
	v_pk_fma_f32 v[6:7], v[84:85], v[48:49], v[8:9] op_sel:[1,0,0] op_sel_hi:[0,0,1] neg_lo:[1,0,0]
	v_pk_fma_f32 v[4:5], v[52:53], v[48:49], v[4:5] op_sel_hi:[1,0,1]
	s_waitcnt vmcnt(0)
	v_pk_fma_f32 v[0:1], v[28:29], v[60:61], v[0:1] op_sel_hi:[1,0,1]
	v_pk_fma_f32 v[2:3], v[30:31], v[60:61], v[2:3] op_sel_hi:[1,0,1]
	;; [unrolled: 1-line block ×4, first 2 shown]
	v_pk_fma_f32 v[0:1], v[28:29], v[60:61], v[0:1] op_sel:[1,1,0] op_sel_hi:[0,1,1] neg_lo:[1,0,0]
	v_pk_fma_f32 v[2:3], v[94:95], v[60:61], v[2:3] op_sel:[0,1,0]
	v_pk_fma_f32 v[6:7], v[78:79], v[60:61], v[6:7] op_sel:[1,1,0] op_sel_hi:[0,1,1] neg_lo:[1,0,0]
	v_pk_fma_f32 v[4:5], v[54:55], v[60:61], v[4:5] op_sel:[0,1,0]
	v_mov_b32_e32 v38, v63
	v_pk_fma_f32 v[0:1], v[32:33], v[62:63], v[0:1] op_sel_hi:[1,0,1]
	v_pk_fma_f32 v[2:3], v[34:35], v[62:63], v[2:3] op_sel_hi:[1,0,1]
	;; [unrolled: 1-line block ×4, first 2 shown]
	v_pk_fma_f32 v[80:81], v[32:33], v[38:39], v[0:1] op_sel:[1,0,0] op_sel_hi:[0,0,1] neg_lo:[1,0,0]
	v_pk_fma_f32 v[78:79], v[56:57], v[38:39], v[2:3] op_sel_hi:[1,0,1]
	v_pk_fma_f32 v[62:63], v[44:45], v[38:39], v[6:7] op_sel:[1,0,0] op_sel_hi:[0,0,1] neg_lo:[1,0,0]
	v_pk_fma_f32 v[60:61], v[88:89], v[38:39], v[4:5] op_sel_hi:[1,0,1]
	s_andn2_b64 exec, exec, s[10:11]
	s_cbranch_execnz .LBB32_29
; %bb.30:
	s_or_b64 exec, exec, s[10:11]
.LBB32_31:
	s_or_b64 exec, exec, s[4:5]
	v_mov_b32_e32 v71, v81
.LBB32_32:
	s_or_b64 exec, exec, s[8:9]
.LBB32_33:
	v_mov_b32_dpp v6, v79 row_shr:1 row_mask:0xf bank_mask:0xf
	v_add_f32_e32 v6, v79, v6
	v_mov_b32_dpp v0, v80 row_shr:1 row_mask:0xf bank_mask:0xf
	v_mov_b32_dpp v2, v71 row_shr:1 row_mask:0xf bank_mask:0xf
	;; [unrolled: 1-line block ×3, first 2 shown]
	v_add_f32_e32 v6, v6, v7
	v_mov_b32_dpp v4, v78 row_shr:1 row_mask:0xf bank_mask:0xf
	v_add_f32_e32 v0, v80, v0
	v_mov_b32_dpp v7, v6 row_shr:4 row_mask:0xf bank_mask:0xe
	;; [unrolled: 2-line block ×3, first 2 shown]
	v_add_f32_e32 v6, v62, v6
	v_add_f32_e32 v2, v71, v2
	;; [unrolled: 1-line block ×3, first 2 shown]
	v_mov_b32_dpp v9, v6 row_shr:2 row_mask:0xf bank_mask:0xf
	v_add_f32_e32 v6, v6, v9
	v_mov_b32_dpp v1, v0 row_shr:2 row_mask:0xf bank_mask:0xf
	v_mov_b32_dpp v3, v2 row_shr:2 row_mask:0xf bank_mask:0xf
	;; [unrolled: 1-line block ×3, first 2 shown]
	v_add_f32_e32 v9, v6, v9
	v_mov_b32_dpp v6, v63 row_shr:1 row_mask:0xf bank_mask:0xf
	v_add_f32_e32 v6, v63, v6
	v_mov_b32_dpp v5, v4 row_shr:2 row_mask:0xf bank_mask:0xf
	;; [unrolled: 2-line block ×3, first 2 shown]
	v_add_f32_e32 v6, v6, v11
	v_add_f32_e32 v2, v2, v3
	v_add_f32_e32 v4, v4, v5
	v_mov_b32_dpp v11, v6 row_shr:4 row_mask:0xf bank_mask:0xe
	v_add_f32_e32 v11, v6, v11
	v_mov_b32_dpp v6, v60 row_shr:1 row_mask:0xf bank_mask:0xf
	v_add_f32_e32 v6, v60, v6
	v_mov_b32_dpp v1, v0 row_shr:4 row_mask:0xf bank_mask:0xe
	v_mov_b32_dpp v3, v2 row_shr:4 row_mask:0xf bank_mask:0xe
	;; [unrolled: 1-line block ×3, first 2 shown]
	v_add_f32_e32 v6, v6, v12
	v_mov_b32_dpp v5, v4 row_shr:4 row_mask:0xf bank_mask:0xe
	v_add_f32_e32 v0, v0, v1
	v_mov_b32_dpp v12, v6 row_shr:4 row_mask:0xf bank_mask:0xe
	;; [unrolled: 2-line block ×3, first 2 shown]
	v_add_f32_e32 v6, v61, v6
	v_add_f32_e32 v2, v2, v3
	v_add_f32_e32 v4, v4, v5
	v_mov_b32_dpp v12, v6 row_shr:2 row_mask:0xf bank_mask:0xf
	v_add_f32_e32 v6, v6, v12
	v_mov_b32_dpp v1, v0 row_shr:8 row_mask:0xf bank_mask:0xc
	v_mov_b32_dpp v3, v2 row_shr:8 row_mask:0xf bank_mask:0xc
	;; [unrolled: 1-line block ×3, first 2 shown]
	v_add_f32_e32 v17, v6, v12
	v_mov_b32_dpp v5, v4 row_shr:8 row_mask:0xf bank_mask:0xc
	v_mov_b32_dpp v8, v7 row_shr:8 row_mask:0xf bank_mask:0xc
	;; [unrolled: 1-line block ×6, first 2 shown]
	v_cmp_eq_u32_e32 vcc, 15, v70
	s_and_b64 exec, exec, vcc
	s_cbranch_execz .LBB32_6
; %bb.34:
	s_load_dwordx2 s[0:1], s[0:1], 0x50
	v_cmp_eq_f32_e32 vcc, 0, v66
	s_xor_b64 s[2:3], s[6:7], -1
	v_add_f32_e32 v6, v0, v1
	v_add_f32_e32 v14, v2, v3
	;; [unrolled: 1-line block ×8, first 2 shown]
	s_and_b64 s[2:3], vcc, s[2:3]
	v_lshlrev_b32_e32 v16, 2, v68
	s_and_saveexec_b64 s[4:5], s[2:3]
	s_xor_b64 s[2:3], exec, s[4:5]
	s_cbranch_execz .LBB32_36
; %bb.35:
	v_xor_b32_e32 v18, 0x80000000, v65
	v_mov_b32_e32 v19, v64
	v_pk_mul_f32 v[14:15], v[14:15], v[18:19] op_sel_hi:[0,1]
	v_ashrrev_i32_e32 v17, 31, v16
	v_pk_fma_f32 v[14:15], v[64:65], v[6:7], v[14:15] op_sel_hi:[1,0,1]
	v_pk_mul_f32 v[6:7], v[12:13], v[18:19] op_sel_hi:[0,1]
	s_waitcnt lgkmcnt(0)
	v_lshl_add_u64 v[20:21], v[16:17], 3, s[0:1]
	v_pk_fma_f32 v[16:17], v[64:65], v[4:5], v[6:7] op_sel_hi:[1,0,1]
	v_pk_mul_f32 v[4:5], v[10:11], v[18:19] op_sel_hi:[0,1]
	v_pk_fma_f32 v[2:3], v[64:65], v[2:3], v[4:5] op_sel_hi:[1,0,1]
	v_pk_mul_f32 v[4:5], v[8:9], v[18:19] op_sel_hi:[0,1]
	v_pk_fma_f32 v[4:5], v[64:65], v[0:1], v[4:5] op_sel_hi:[1,0,1]
	global_store_dwordx4 v[20:21], v[14:17], off
	global_store_dwordx4 v[20:21], v[2:5], off offset:16
                                        ; implicit-def: $vgpr6
                                        ; implicit-def: $vgpr14
                                        ; implicit-def: $vgpr4
                                        ; implicit-def: $vgpr12
                                        ; implicit-def: $vgpr2
                                        ; implicit-def: $vgpr10
                                        ; implicit-def: $vgpr0
                                        ; implicit-def: $vgpr8
                                        ; implicit-def: $vgpr64_vgpr65
                                        ; implicit-def: $vgpr66_vgpr67
                                        ; implicit-def: $vgpr16
.LBB32_36:
	s_andn2_saveexec_b64 s[2:3], s[2:3]
	s_cbranch_execz .LBB32_6
; %bb.37:
	v_ashrrev_i32_e32 v17, 31, v16
	s_waitcnt lgkmcnt(0)
	v_lshl_add_u64 v[24:25], v[16:17], 3, s[0:1]
	global_load_dwordx4 v[16:19], v[24:25], off
	global_load_dwordx4 v[20:23], v[24:25], off offset:16
	v_xor_b32_e32 v26, 0x80000000, v65
	v_mov_b32_e32 v27, v64
	v_pk_mul_f32 v[14:15], v[14:15], v[26:27] op_sel_hi:[0,1]
	v_pk_mul_f32 v[12:13], v[12:13], v[26:27] op_sel_hi:[0,1]
	;; [unrolled: 1-line block ×4, first 2 shown]
	v_pk_fma_f32 v[6:7], v[64:65], v[6:7], v[14:15] op_sel_hi:[1,0,1]
	v_pk_fma_f32 v[4:5], v[64:65], v[4:5], v[12:13] op_sel_hi:[1,0,1]
	v_xor_b32_e32 v28, 0x80000000, v67
	v_mov_b32_e32 v29, v66
	v_pk_fma_f32 v[2:3], v[64:65], v[2:3], v[10:11] op_sel_hi:[1,0,1]
	v_pk_fma_f32 v[0:1], v[64:65], v[0:1], v[8:9] op_sel_hi:[1,0,1]
	s_waitcnt vmcnt(1)
	v_pk_fma_f32 v[6:7], v[66:67], v[16:17], v[6:7] op_sel_hi:[1,0,1]
	v_pk_fma_f32 v[4:5], v[66:67], v[18:19], v[4:5] op_sel_hi:[1,0,1]
	v_mov_b32_e32 v8, v19
	s_waitcnt vmcnt(0)
	v_pk_fma_f32 v[10:11], v[66:67], v[20:21], v[2:3] op_sel_hi:[1,0,1]
	v_pk_fma_f32 v[12:13], v[66:67], v[22:23], v[0:1] op_sel_hi:[1,0,1]
	v_mov_b32_e32 v14, v23
	v_pk_fma_f32 v[0:1], v[28:29], v[16:17], v[6:7] op_sel:[0,1,0]
	v_pk_fma_f32 v[2:3], v[28:29], v[8:9], v[4:5] op_sel_hi:[1,0,1]
	v_pk_fma_f32 v[4:5], v[28:29], v[20:21], v[10:11] op_sel:[0,1,0]
	v_pk_fma_f32 v[6:7], v[28:29], v[14:15], v[12:13] op_sel_hi:[1,0,1]
	global_store_dwordx4 v[24:25], v[0:3], off
	global_store_dwordx4 v[24:25], v[4:7], off offset:16
	s_endpgm
	.section	.rodata,"a",@progbits
	.p2align	6, 0x0
	.amdhsa_kernel _ZN9rocsparseL18bsrxmvn_4x4_kernelILj128ELj16E21rocsparse_complex_numIfEliS2_S2_S2_EEvT3_20rocsparse_direction_NS_24const_host_device_scalarIT1_EES3_PKS3_PKT2_SC_S9_PKT4_PKT5_S7_PT6_21rocsparse_index_base_b
		.amdhsa_group_segment_fixed_size 0
		.amdhsa_private_segment_fixed_size 0
		.amdhsa_kernarg_size 96
		.amdhsa_user_sgpr_count 2
		.amdhsa_user_sgpr_dispatch_ptr 0
		.amdhsa_user_sgpr_queue_ptr 0
		.amdhsa_user_sgpr_kernarg_segment_ptr 1
		.amdhsa_user_sgpr_dispatch_id 0
		.amdhsa_user_sgpr_kernarg_preload_length 0
		.amdhsa_user_sgpr_kernarg_preload_offset 0
		.amdhsa_user_sgpr_private_segment_size 0
		.amdhsa_uses_dynamic_stack 0
		.amdhsa_enable_private_segment 0
		.amdhsa_system_sgpr_workgroup_id_x 1
		.amdhsa_system_sgpr_workgroup_id_y 0
		.amdhsa_system_sgpr_workgroup_id_z 0
		.amdhsa_system_sgpr_workgroup_info 0
		.amdhsa_system_vgpr_workitem_id 0
		.amdhsa_next_free_vgpr 102
		.amdhsa_next_free_sgpr 24
		.amdhsa_accum_offset 104
		.amdhsa_reserve_vcc 1
		.amdhsa_float_round_mode_32 0
		.amdhsa_float_round_mode_16_64 0
		.amdhsa_float_denorm_mode_32 3
		.amdhsa_float_denorm_mode_16_64 3
		.amdhsa_dx10_clamp 1
		.amdhsa_ieee_mode 1
		.amdhsa_fp16_overflow 0
		.amdhsa_tg_split 0
		.amdhsa_exception_fp_ieee_invalid_op 0
		.amdhsa_exception_fp_denorm_src 0
		.amdhsa_exception_fp_ieee_div_zero 0
		.amdhsa_exception_fp_ieee_overflow 0
		.amdhsa_exception_fp_ieee_underflow 0
		.amdhsa_exception_fp_ieee_inexact 0
		.amdhsa_exception_int_div_zero 0
	.end_amdhsa_kernel
	.section	.text._ZN9rocsparseL18bsrxmvn_4x4_kernelILj128ELj16E21rocsparse_complex_numIfEliS2_S2_S2_EEvT3_20rocsparse_direction_NS_24const_host_device_scalarIT1_EES3_PKS3_PKT2_SC_S9_PKT4_PKT5_S7_PT6_21rocsparse_index_base_b,"axG",@progbits,_ZN9rocsparseL18bsrxmvn_4x4_kernelILj128ELj16E21rocsparse_complex_numIfEliS2_S2_S2_EEvT3_20rocsparse_direction_NS_24const_host_device_scalarIT1_EES3_PKS3_PKT2_SC_S9_PKT4_PKT5_S7_PT6_21rocsparse_index_base_b,comdat
.Lfunc_end32:
	.size	_ZN9rocsparseL18bsrxmvn_4x4_kernelILj128ELj16E21rocsparse_complex_numIfEliS2_S2_S2_EEvT3_20rocsparse_direction_NS_24const_host_device_scalarIT1_EES3_PKS3_PKT2_SC_S9_PKT4_PKT5_S7_PT6_21rocsparse_index_base_b, .Lfunc_end32-_ZN9rocsparseL18bsrxmvn_4x4_kernelILj128ELj16E21rocsparse_complex_numIfEliS2_S2_S2_EEvT3_20rocsparse_direction_NS_24const_host_device_scalarIT1_EES3_PKS3_PKT2_SC_S9_PKT4_PKT5_S7_PT6_21rocsparse_index_base_b
                                        ; -- End function
	.set _ZN9rocsparseL18bsrxmvn_4x4_kernelILj128ELj16E21rocsparse_complex_numIfEliS2_S2_S2_EEvT3_20rocsparse_direction_NS_24const_host_device_scalarIT1_EES3_PKS3_PKT2_SC_S9_PKT4_PKT5_S7_PT6_21rocsparse_index_base_b.num_vgpr, 102
	.set _ZN9rocsparseL18bsrxmvn_4x4_kernelILj128ELj16E21rocsparse_complex_numIfEliS2_S2_S2_EEvT3_20rocsparse_direction_NS_24const_host_device_scalarIT1_EES3_PKS3_PKT2_SC_S9_PKT4_PKT5_S7_PT6_21rocsparse_index_base_b.num_agpr, 0
	.set _ZN9rocsparseL18bsrxmvn_4x4_kernelILj128ELj16E21rocsparse_complex_numIfEliS2_S2_S2_EEvT3_20rocsparse_direction_NS_24const_host_device_scalarIT1_EES3_PKS3_PKT2_SC_S9_PKT4_PKT5_S7_PT6_21rocsparse_index_base_b.numbered_sgpr, 24
	.set _ZN9rocsparseL18bsrxmvn_4x4_kernelILj128ELj16E21rocsparse_complex_numIfEliS2_S2_S2_EEvT3_20rocsparse_direction_NS_24const_host_device_scalarIT1_EES3_PKS3_PKT2_SC_S9_PKT4_PKT5_S7_PT6_21rocsparse_index_base_b.num_named_barrier, 0
	.set _ZN9rocsparseL18bsrxmvn_4x4_kernelILj128ELj16E21rocsparse_complex_numIfEliS2_S2_S2_EEvT3_20rocsparse_direction_NS_24const_host_device_scalarIT1_EES3_PKS3_PKT2_SC_S9_PKT4_PKT5_S7_PT6_21rocsparse_index_base_b.private_seg_size, 0
	.set _ZN9rocsparseL18bsrxmvn_4x4_kernelILj128ELj16E21rocsparse_complex_numIfEliS2_S2_S2_EEvT3_20rocsparse_direction_NS_24const_host_device_scalarIT1_EES3_PKS3_PKT2_SC_S9_PKT4_PKT5_S7_PT6_21rocsparse_index_base_b.uses_vcc, 1
	.set _ZN9rocsparseL18bsrxmvn_4x4_kernelILj128ELj16E21rocsparse_complex_numIfEliS2_S2_S2_EEvT3_20rocsparse_direction_NS_24const_host_device_scalarIT1_EES3_PKS3_PKT2_SC_S9_PKT4_PKT5_S7_PT6_21rocsparse_index_base_b.uses_flat_scratch, 0
	.set _ZN9rocsparseL18bsrxmvn_4x4_kernelILj128ELj16E21rocsparse_complex_numIfEliS2_S2_S2_EEvT3_20rocsparse_direction_NS_24const_host_device_scalarIT1_EES3_PKS3_PKT2_SC_S9_PKT4_PKT5_S7_PT6_21rocsparse_index_base_b.has_dyn_sized_stack, 0
	.set _ZN9rocsparseL18bsrxmvn_4x4_kernelILj128ELj16E21rocsparse_complex_numIfEliS2_S2_S2_EEvT3_20rocsparse_direction_NS_24const_host_device_scalarIT1_EES3_PKS3_PKT2_SC_S9_PKT4_PKT5_S7_PT6_21rocsparse_index_base_b.has_recursion, 0
	.set _ZN9rocsparseL18bsrxmvn_4x4_kernelILj128ELj16E21rocsparse_complex_numIfEliS2_S2_S2_EEvT3_20rocsparse_direction_NS_24const_host_device_scalarIT1_EES3_PKS3_PKT2_SC_S9_PKT4_PKT5_S7_PT6_21rocsparse_index_base_b.has_indirect_call, 0
	.section	.AMDGPU.csdata,"",@progbits
; Kernel info:
; codeLenInByte = 7188
; TotalNumSgprs: 30
; NumVgprs: 102
; NumAgprs: 0
; TotalNumVgprs: 102
; ScratchSize: 0
; MemoryBound: 0
; FloatMode: 240
; IeeeMode: 1
; LDSByteSize: 0 bytes/workgroup (compile time only)
; SGPRBlocks: 3
; VGPRBlocks: 12
; NumSGPRsForWavesPerEU: 30
; NumVGPRsForWavesPerEU: 102
; AccumOffset: 104
; Occupancy: 4
; WaveLimiterHint : 1
; COMPUTE_PGM_RSRC2:SCRATCH_EN: 0
; COMPUTE_PGM_RSRC2:USER_SGPR: 2
; COMPUTE_PGM_RSRC2:TRAP_HANDLER: 0
; COMPUTE_PGM_RSRC2:TGID_X_EN: 1
; COMPUTE_PGM_RSRC2:TGID_Y_EN: 0
; COMPUTE_PGM_RSRC2:TGID_Z_EN: 0
; COMPUTE_PGM_RSRC2:TIDIG_COMP_CNT: 0
; COMPUTE_PGM_RSRC3_GFX90A:ACCUM_OFFSET: 25
; COMPUTE_PGM_RSRC3_GFX90A:TG_SPLIT: 0
	.section	.text._ZN9rocsparseL18bsrxmvn_4x4_kernelILj128ELj32E21rocsparse_complex_numIfEliS2_S2_S2_EEvT3_20rocsparse_direction_NS_24const_host_device_scalarIT1_EES3_PKS3_PKT2_SC_S9_PKT4_PKT5_S7_PT6_21rocsparse_index_base_b,"axG",@progbits,_ZN9rocsparseL18bsrxmvn_4x4_kernelILj128ELj32E21rocsparse_complex_numIfEliS2_S2_S2_EEvT3_20rocsparse_direction_NS_24const_host_device_scalarIT1_EES3_PKS3_PKT2_SC_S9_PKT4_PKT5_S7_PT6_21rocsparse_index_base_b,comdat
	.globl	_ZN9rocsparseL18bsrxmvn_4x4_kernelILj128ELj32E21rocsparse_complex_numIfEliS2_S2_S2_EEvT3_20rocsparse_direction_NS_24const_host_device_scalarIT1_EES3_PKS3_PKT2_SC_S9_PKT4_PKT5_S7_PT6_21rocsparse_index_base_b ; -- Begin function _ZN9rocsparseL18bsrxmvn_4x4_kernelILj128ELj32E21rocsparse_complex_numIfEliS2_S2_S2_EEvT3_20rocsparse_direction_NS_24const_host_device_scalarIT1_EES3_PKS3_PKT2_SC_S9_PKT4_PKT5_S7_PT6_21rocsparse_index_base_b
	.p2align	8
	.type	_ZN9rocsparseL18bsrxmvn_4x4_kernelILj128ELj32E21rocsparse_complex_numIfEliS2_S2_S2_EEvT3_20rocsparse_direction_NS_24const_host_device_scalarIT1_EES3_PKS3_PKT2_SC_S9_PKT4_PKT5_S7_PT6_21rocsparse_index_base_b,@function
_ZN9rocsparseL18bsrxmvn_4x4_kernelILj128ELj32E21rocsparse_complex_numIfEliS2_S2_S2_EEvT3_20rocsparse_direction_NS_24const_host_device_scalarIT1_EES3_PKS3_PKT2_SC_S9_PKT4_PKT5_S7_PT6_21rocsparse_index_base_b: ; @_ZN9rocsparseL18bsrxmvn_4x4_kernelILj128ELj32E21rocsparse_complex_numIfEliS2_S2_S2_EEvT3_20rocsparse_direction_NS_24const_host_device_scalarIT1_EES3_PKS3_PKT2_SC_S9_PKT4_PKT5_S7_PT6_21rocsparse_index_base_b
; %bb.0:
	s_load_dwordx2 s[4:5], s[0:1], 0x8
	s_load_dwordx2 s[16:17], s[0:1], 0x58
	s_add_u32 s3, s0, 8
	s_addc_u32 s8, s1, 0
	s_load_dwordx2 s[6:7], s[0:1], 0x48
	s_add_u32 s9, s0, 0x48
	s_addc_u32 s10, s1, 0
	s_waitcnt lgkmcnt(0)
	s_bitcmp1_b32 s17, 0
	s_cselect_b32 s3, s3, s4
	s_cselect_b32 s5, s8, s5
	v_mov_b32_e32 v2, s3
	s_cselect_b32 s3, s10, s7
	s_cselect_b32 s4, s9, s6
	v_mov_b32_e32 v3, s5
	v_mov_b32_e32 v4, s4
	;; [unrolled: 1-line block ×3, first 2 shown]
	flat_load_dwordx2 v[36:37], v[2:3]
	flat_load_dwordx2 v[38:39], v[4:5]
	s_waitcnt vmcnt(0) lgkmcnt(0)
	v_cmp_neq_f32_e32 vcc, 0, v36
	v_cmp_neq_f32_e64 s[4:5], 0, v37
	v_cmp_neq_f32_e64 s[8:9], 1.0, v38
	v_cmp_neq_f32_e64 s[6:7], 0, v39
	s_or_b64 s[4:5], vcc, s[4:5]
	s_or_b64 s[8:9], s[8:9], s[6:7]
	s_or_b64 s[4:5], s[4:5], s[8:9]
	s_and_saveexec_b64 s[8:9], s[4:5]
	s_cbranch_execz .LBB33_6
; %bb.1:
	s_load_dwordx2 s[8:9], s[0:1], 0x18
	s_load_dwordx2 s[4:5], s[0:1], 0x0
	v_lshrrev_b32_e32 v1, 5, v0
	v_lshl_or_b32 v40, s2, 2, v1
	s_mov_b64 s[2:3], 0
	s_waitcnt lgkmcnt(0)
	s_cmp_lg_u64 s[8:9], 0
	s_cbranch_scc0 .LBB33_7
; %bb.2:
	s_load_dword s10, s[0:1], 0x10
                                        ; implicit-def: $vgpr1
	s_waitcnt lgkmcnt(0)
	v_cmp_gt_i32_e32 vcc, s10, v40
	s_and_saveexec_b64 s[10:11], vcc
	s_xor_b64 s[10:11], exec, s[10:11]
	s_cbranch_execz .LBB33_4
; %bb.3:
	v_ashrrev_i32_e32 v41, 31, v40
	v_lshl_add_u64 v[2:3], v[40:41], 2, s[8:9]
	global_load_dword v1, v[2:3], off
	s_mov_b64 s[2:3], exec
	s_waitcnt vmcnt(0)
	v_subrev_u32_e32 v1, s16, v1
.LBB33_4:
	s_or_b64 exec, exec, s[10:11]
	s_branch .LBB33_8
.LBB33_5:
	v_cmp_gt_i32_e32 vcc, s4, v40
	s_andn2_b64 s[2:3], s[2:3], exec
	s_and_b64 s[8:9], vcc, exec
	s_or_b64 s[2:3], s[2:3], s[8:9]
	s_and_b64 exec, exec, s[2:3]
	s_cbranch_execnz .LBB33_9
.LBB33_6:
	s_endpgm
.LBB33_7:
                                        ; implicit-def: $vgpr1
	s_cbranch_execnz .LBB33_5
.LBB33_8:
	v_mov_b32_e32 v40, v1
	s_and_b64 exec, exec, s[2:3]
	s_cbranch_execz .LBB33_6
.LBB33_9:
	s_load_dwordx8 s[8:15], s[0:1], 0x20
	v_ashrrev_i32_e32 v41, 31, v40
	v_lshlrev_b64 v[2:3], 3, v[40:41]
	s_load_dwordx2 s[2:3], s[0:1], 0x40
	v_and_b32_e32 v42, 31, v0
	s_waitcnt lgkmcnt(0)
	v_lshl_add_u64 v[4:5], s[8:9], 0, v[2:3]
	s_cmp_eq_u64 s[10:11], 0
	v_lshl_add_u64 v[2:3], s[10:11], 0, v[2:3]
	global_load_dwordx2 v[28:29], v[4:5], off
	v_lshl_add_u64 v[4:5], v[4:5], 0, 8
	s_cselect_b64 vcc, -1, 0
	v_cndmask_b32_e32 v3, v3, v5, vcc
	v_cndmask_b32_e32 v2, v2, v4, vcc
	global_load_dwordx2 v[2:3], v[2:3], off
	v_mov_b32_e32 v43, 0
	s_cmp_eq_u32 s5, 1
	s_waitcnt vmcnt(1)
	v_subrev_co_u32_e32 v0, vcc, s16, v28
	s_nop 1
	v_subbrev_co_u32_e32 v1, vcc, 0, v29, vcc
	v_lshl_add_u64 v[44:45], v[0:1], 0, v[42:43]
	s_waitcnt vmcnt(0)
	v_subrev_co_u32_e32 v46, vcc, s16, v2
	v_lshlrev_b64 v[0:1], 7, v[44:45]
	s_nop 0
	v_subbrev_co_u32_e32 v47, vcc, 0, v3, vcc
	v_lshl_add_u64 v[48:49], s[14:15], 0, v[0:1]
	v_cmp_lt_i64_e64 s[4:5], v[44:45], v[46:47]
	s_cbranch_scc1 .LBB33_21
; %bb.10:
	v_mov_b32_e32 v56, v43
	v_mov_b32_e32 v51, v43
	;; [unrolled: 1-line block ×7, first 2 shown]
	s_and_saveexec_b64 s[8:9], s[4:5]
	s_cbranch_execz .LBB33_20
; %bb.11:
	v_or_b32_e32 v0, 32, v42
	v_subrev_co_u32_e32 v0, vcc, s16, v0
	v_not_b32_e32 v3, v29
	s_nop 0
	v_subb_co_u32_e64 v1, s[10:11], 0, 0, vcc
	v_lshl_add_u64 v[0:1], v[0:1], 0, v[28:29]
	v_cmp_gt_i64_e32 vcc, v[0:1], v[46:47]
	v_not_b32_e32 v2, v28
	v_mov_b32_e32 v55, 0
	v_cndmask_b32_e32 v1, v47, v1, vcc
	v_cndmask_b32_e32 v0, v46, v0, vcc
	v_sub_co_u32_e32 v4, vcc, s16, v42
	v_mov_b32_e32 v53, v55
	s_nop 0
	v_subb_co_u32_e64 v5, s[10:11], 0, 0, vcc
	v_lshl_add_u64 v[2:3], v[4:5], 0, v[2:3]
	v_lshl_add_u64 v[0:1], v[2:3], 0, v[0:1]
	v_and_b32_e32 v54, 0x60, v0
	s_mov_b64 s[10:11], 0x60
	v_cmp_ne_u64_e32 vcc, s[10:11], v[54:55]
	v_mov_b32_e32 v54, v55
	v_mov_b32_e32 v52, v55
	;; [unrolled: 1-line block ×6, first 2 shown]
	v_mov_b64_e32 v[30:31], v[48:49]
	v_mov_b64_e32 v[32:33], v[44:45]
	s_and_saveexec_b64 s[10:11], vcc
	s_cbranch_execz .LBB33_15
; %bb.12:
	v_lshrrev_b32_e32 v2, 5, v0
	v_add_u32_e32 v2, 1, v2
	v_and_b32_e32 v4, 3, v2
	v_sub_co_u32_e32 v4, vcc, 0, v4
	v_mov_b32_e32 v54, 0
	s_nop 0
	v_subb_co_u32_e64 v5, s[18:19], 0, 0, vcc
	v_lshl_add_u64 v[2:3], v[44:45], 2, s[12:13]
	s_mov_b64 s[14:15], 0
	s_mov_b64 s[18:19], 0x1000
	;; [unrolled: 1-line block ×3, first 2 shown]
	v_mov_b64_e32 v[32:33], v[44:45]
	v_mov_b64_e32 v[30:31], v[48:49]
	v_mov_b32_e32 v55, v54
	v_mov_b32_e32 v52, v54
	;; [unrolled: 1-line block ×7, first 2 shown]
.LBB33_13:                              ; =>This Inner Loop Header: Depth=1
	global_load_dword v26, v[2:3], off
	global_load_dwordx4 v[6:9], v[30:31], off
	global_load_dwordx4 v[10:13], v[30:31], off offset:16
	global_load_dwordx4 v[14:17], v[30:31], off offset:32
	global_load_dwordx4 v[18:21], v[30:31], off offset:48
	global_load_dwordx4 v[22:25], v[30:31], off offset:64
	global_load_dwordx4 v[58:61], v[30:31], off offset:80
	global_load_dwordx4 v[62:65], v[30:31], off offset:112
	global_load_dwordx4 v[66:69], v[30:31], off offset:96
	v_lshl_add_u64 v[4:5], v[4:5], 0, 1
	v_cmp_eq_u64_e32 vcc, 0, v[4:5]
	v_lshl_add_u64 v[30:31], v[30:31], 0, s[18:19]
	v_lshl_add_u64 v[32:33], v[32:33], 0, 32
	;; [unrolled: 1-line block ×3, first 2 shown]
	s_or_b64 s[14:15], vcc, s[14:15]
	s_waitcnt vmcnt(8)
	v_subrev_u32_e32 v26, s16, v26
	v_lshlrev_b32_e32 v26, 2, v26
	v_ashrrev_i32_e32 v27, 31, v26
	v_lshl_add_u64 v[26:27], v[26:27], 3, s[2:3]
	global_load_dwordx4 v[70:73], v[26:27], off
	global_load_dwordx4 v[74:77], v[26:27], off offset:16
	s_waitcnt vmcnt(9)
	v_xor_b32_e32 v26, 0x80000000, v9
	v_mov_b32_e32 v27, v8
	s_waitcnt vmcnt(7)
	v_xor_b32_e32 v78, 0x80000000, v17
	v_mov_b32_e32 v79, v16
	;; [unrolled: 3-line block ×4, first 2 shown]
	v_xor_b32_e32 v34, 0x80000000, v13
	v_mov_b32_e32 v35, v12
	v_xor_b32_e32 v80, 0x80000000, v21
	v_mov_b32_e32 v81, v20
	;; [unrolled: 2-line block ×4, first 2 shown]
	s_waitcnt vmcnt(1)
	v_pk_fma_f32 v[56:57], v[6:7], v[70:71], v[56:57] op_sel_hi:[1,0,1]
	v_pk_fma_f32 v[54:55], v[14:15], v[70:71], v[54:55] op_sel_hi:[1,0,1]
	;; [unrolled: 1-line block ×4, first 2 shown]
	v_pk_fma_f32 v[6:7], v[6:7], v[70:71], v[56:57] op_sel:[1,1,0] op_sel_hi:[0,1,1] neg_lo:[1,0,0]
	v_pk_fma_f32 v[14:15], v[14:15], v[70:71], v[54:55] op_sel:[1,1,0] op_sel_hi:[0,1,1] neg_lo:[1,0,0]
	v_pk_fma_f32 v[22:23], v[22:23], v[70:71], v[52:53] op_sel:[1,1,0] op_sel_hi:[0,1,1] neg_lo:[1,0,0]
	v_pk_fma_f32 v[50:51], v[66:67], v[70:71], v[50:51] op_sel:[1,1,0] op_sel_hi:[0,1,1] neg_lo:[1,0,0]
	v_mov_b32_e32 v90, v73
	v_pk_fma_f32 v[6:7], v[8:9], v[72:73], v[6:7] op_sel_hi:[1,0,1]
	v_pk_fma_f32 v[8:9], v[16:17], v[72:73], v[14:15] op_sel_hi:[1,0,1]
	;; [unrolled: 1-line block ×8, first 2 shown]
	s_waitcnt vmcnt(0)
	v_pk_fma_f32 v[6:7], v[10:11], v[74:75], v[6:7] op_sel_hi:[1,0,1]
	v_pk_fma_f32 v[8:9], v[18:19], v[74:75], v[8:9] op_sel_hi:[1,0,1]
	;; [unrolled: 1-line block ×4, first 2 shown]
	v_pk_fma_f32 v[6:7], v[10:11], v[74:75], v[6:7] op_sel:[1,1,0] op_sel_hi:[0,1,1] neg_lo:[1,0,0]
	v_pk_fma_f32 v[8:9], v[18:19], v[74:75], v[8:9] op_sel:[1,1,0] op_sel_hi:[0,1,1] neg_lo:[1,0,0]
	;; [unrolled: 1-line block ×4, first 2 shown]
	v_mov_b32_e32 v92, v77
	v_pk_fma_f32 v[6:7], v[12:13], v[76:77], v[6:7] op_sel_hi:[1,0,1]
	v_pk_fma_f32 v[8:9], v[20:21], v[76:77], v[8:9] op_sel_hi:[1,0,1]
	;; [unrolled: 1-line block ×8, first 2 shown]
	s_andn2_b64 exec, exec, s[14:15]
	s_cbranch_execnz .LBB33_13
; %bb.14:
	s_or_b64 exec, exec, s[14:15]
.LBB33_15:
	s_or_b64 exec, exec, s[10:11]
	s_mov_b64 s[10:11], 0x5f
	v_cmp_lt_u64_e32 vcc, s[10:11], v[0:1]
	s_and_saveexec_b64 s[10:11], vcc
	s_cbranch_execz .LBB33_19
; %bb.16:
	v_lshl_add_u64 v[0:1], v[32:33], 2, s[12:13]
	s_mov_b64 s[14:15], 0x100
	v_lshl_add_u64 v[34:35], v[0:1], 0, s[14:15]
	s_mov_b64 s[14:15], 0
	s_mov_b64 s[18:19], 0x1000
	;; [unrolled: 1-line block ×3, first 2 shown]
	s_movk_i32 s17, 0x2000
	s_mov_b64 s[22:23], 0x3000
	s_movk_i32 s30, 0x3000
	s_mov_b64 s[24:25], 0x80
	s_mov_b64 s[26:27], 0x200
	;; [unrolled: 1-line block ×3, first 2 shown]
.LBB33_17:                              ; =>This Inner Loop Header: Depth=1
	global_load_dword v0, v[34:35], off offset:-256
	v_lshl_add_u64 v[86:87], v[30:31], 0, s[18:19]
	v_lshl_add_u64 v[32:33], v[32:33], 0, s[24:25]
	s_waitcnt vmcnt(0)
	v_subrev_u32_e32 v0, s16, v0
	v_lshlrev_b32_e32 v0, 2, v0
	v_ashrrev_i32_e32 v1, 31, v0
	v_lshl_add_u64 v[4:5], v[0:1], 3, s[2:3]
	global_load_dwordx4 v[0:3], v[4:5], off offset:16
	global_load_dwordx4 v[12:15], v[4:5], off
	global_load_dword v6, v[34:35], off offset:-128
	s_waitcnt vmcnt(2)
	v_mov_b32_e32 v84, v3
	s_waitcnt vmcnt(1)
	v_mov_b32_e32 v82, v15
	s_waitcnt vmcnt(0)
	v_subrev_u32_e32 v4, s16, v6
	v_lshlrev_b32_e32 v4, 2, v4
	v_ashrrev_i32_e32 v5, 31, v4
	v_lshl_add_u64 v[62:63], v[4:5], 3, s[2:3]
	global_load_dwordx4 v[4:7], v[62:63], off offset:16
	global_load_dwordx4 v[8:11], v[62:63], off
	global_load_dwordx4 v[24:27], v[30:31], off offset:48
	global_load_dwordx4 v[58:61], v[30:31], off offset:32
	;; [unrolled: 1-line block ×3, first 2 shown]
	global_load_dwordx4 v[20:23], v[30:31], off
	s_waitcnt vmcnt(2)
	v_pk_fma_f32 v[54:55], v[58:59], v[12:13], v[54:55] op_sel_hi:[1,0,1]
	s_nop 0
	v_pk_fma_f32 v[54:55], v[58:59], v[12:13], v[54:55] op_sel:[1,1,0] op_sel_hi:[0,1,1] neg_lo:[1,0,0]
	s_waitcnt vmcnt(0)
	v_pk_fma_f32 v[56:57], v[20:21], v[12:13], v[56:57] op_sel_hi:[1,0,1]
	v_xor_b32_e32 v58, 0x80000000, v61
	v_pk_fma_f32 v[20:21], v[20:21], v[12:13], v[56:57] op_sel:[1,1,0] op_sel_hi:[0,1,1] neg_lo:[1,0,0]
	v_xor_b32_e32 v56, 0x80000000, v23
	v_pk_fma_f32 v[20:21], v[22:23], v[14:15], v[20:21] op_sel_hi:[1,0,1]
	v_mov_b32_e32 v57, v22
	v_pk_fma_f32 v[20:21], v[56:57], v[82:83], v[20:21] op_sel_hi:[1,0,1]
	v_add_co_u32_e32 v56, vcc, s17, v30
	v_pk_fma_f32 v[20:21], v[16:17], v[0:1], v[20:21] op_sel_hi:[1,0,1]
	s_nop 0
	v_addc_co_u32_e32 v57, vcc, 0, v31, vcc
	v_pk_fma_f32 v[16:17], v[16:17], v[0:1], v[20:21] op_sel:[1,1,0] op_sel_hi:[0,1,1] neg_lo:[1,0,0]
	v_xor_b32_e32 v20, 0x80000000, v19
	v_pk_fma_f32 v[16:17], v[18:19], v[2:3], v[16:17] op_sel_hi:[1,0,1]
	v_mov_b32_e32 v21, v18
	v_pk_fma_f32 v[70:71], v[20:21], v[84:85], v[16:17] op_sel_hi:[1,0,1]
	global_load_dwordx4 v[62:65], v[56:57], off offset:-4096
	global_load_dwordx4 v[16:19], v[86:87], off offset:48
	global_load_dwordx4 v[20:23], v[86:87], off offset:32
	;; [unrolled: 1-line block ×3, first 2 shown]
	v_pk_fma_f32 v[54:55], v[60:61], v[14:15], v[54:55] op_sel_hi:[1,0,1]
	v_mov_b32_e32 v59, v60
	v_pk_fma_f32 v[54:55], v[58:59], v[82:83], v[54:55] op_sel_hi:[1,0,1]
	s_waitcnt vmcnt(3)
	v_pk_fma_f32 v[70:71], v[62:63], v[8:9], v[70:71] op_sel_hi:[1,0,1]
	v_pk_fma_f32 v[54:55], v[24:25], v[0:1], v[54:55] op_sel_hi:[1,0,1]
	v_pk_fma_f32 v[88:89], v[62:63], v[8:9], v[70:71] op_sel:[1,1,0] op_sel_hi:[0,1,1] neg_lo:[1,0,0]
	v_pk_fma_f32 v[24:25], v[24:25], v[0:1], v[54:55] op_sel:[1,1,0] op_sel_hi:[0,1,1] neg_lo:[1,0,0]
	v_xor_b32_e32 v54, 0x80000000, v27
	v_pk_fma_f32 v[24:25], v[26:27], v[2:3], v[24:25] op_sel_hi:[1,0,1]
	v_mov_b32_e32 v55, v26
	v_pk_fma_f32 v[24:25], v[54:55], v[84:85], v[24:25] op_sel_hi:[1,0,1]
	s_waitcnt vmcnt(1)
	v_pk_fma_f32 v[24:25], v[20:21], v[8:9], v[24:25] op_sel_hi:[1,0,1]
	s_nop 0
	v_pk_fma_f32 v[20:21], v[20:21], v[8:9], v[24:25] op_sel:[1,1,0] op_sel_hi:[0,1,1] neg_lo:[1,0,0]
	global_load_dwordx4 v[24:27], v[30:31], off offset:112
	global_load_dwordx4 v[58:61], v[30:31], off offset:96
	;; [unrolled: 1-line block ×4, first 2 shown]
	v_pk_fma_f32 v[20:21], v[22:23], v[10:11], v[20:21] op_sel_hi:[1,0,1]
	s_waitcnt vmcnt(2)
	v_pk_fma_f32 v[50:51], v[58:59], v[12:13], v[50:51] op_sel_hi:[1,0,1]
	s_waitcnt vmcnt(0)
	v_pk_fma_f32 v[52:53], v[74:75], v[12:13], v[52:53] op_sel_hi:[1,0,1]
	s_nop 0
	v_pk_fma_f32 v[52:53], v[74:75], v[12:13], v[52:53] op_sel:[1,1,0] op_sel_hi:[0,1,1] neg_lo:[1,0,0]
	v_xor_b32_e32 v54, 0x80000000, v77
	v_pk_fma_f32 v[52:53], v[76:77], v[14:15], v[52:53] op_sel_hi:[1,0,1]
	v_mov_b32_e32 v55, v76
	v_pk_fma_f32 v[52:53], v[54:55], v[82:83], v[52:53] op_sel_hi:[1,0,1]
	v_xor_b32_e32 v54, 0x80000000, v73
	v_pk_fma_f32 v[52:53], v[70:71], v[0:1], v[52:53] op_sel_hi:[1,0,1]
	v_mov_b32_e32 v55, v72
	v_pk_fma_f32 v[52:53], v[70:71], v[0:1], v[52:53] op_sel:[1,1,0] op_sel_hi:[0,1,1] neg_lo:[1,0,0]
	v_pk_fma_f32 v[52:53], v[72:73], v[2:3], v[52:53] op_sel_hi:[1,0,1]
	v_pk_fma_f32 v[12:13], v[58:59], v[12:13], v[50:51] op_sel:[1,1,0] op_sel_hi:[0,1,1] neg_lo:[1,0,0]
	v_pk_fma_f32 v[62:63], v[54:55], v[84:85], v[52:53] op_sel_hi:[1,0,1]
	global_load_dwordx4 v[70:73], v[86:87], off offset:112
	global_load_dwordx4 v[52:55], v[86:87], off offset:96
	;; [unrolled: 1-line block ×4, first 2 shown]
	v_xor_b32_e32 v50, 0x80000000, v61
	v_pk_fma_f32 v[12:13], v[60:61], v[14:15], v[12:13] op_sel_hi:[1,0,1]
	v_mov_b32_e32 v51, v60
	v_pk_fma_f32 v[12:13], v[50:51], v[82:83], v[12:13] op_sel_hi:[1,0,1]
	v_lshl_add_u64 v[86:87], v[30:31], 0, s[20:21]
	v_pk_fma_f32 v[12:13], v[24:25], v[0:1], v[12:13] op_sel_hi:[1,0,1]
	s_waitcnt vmcnt(0)
	v_pk_fma_f32 v[62:63], v[78:79], v[8:9], v[62:63] op_sel_hi:[1,0,1]
	v_pk_fma_f32 v[0:1], v[24:25], v[0:1], v[12:13] op_sel:[1,1,0] op_sel_hi:[0,1,1] neg_lo:[1,0,0]
	v_xor_b32_e32 v12, 0x80000000, v27
	v_pk_fma_f32 v[0:1], v[26:27], v[2:3], v[0:1] op_sel_hi:[1,0,1]
	v_mov_b32_e32 v13, v26
	v_pk_fma_f32 v[0:1], v[12:13], v[84:85], v[0:1] op_sel_hi:[1,0,1]
	v_pk_fma_f32 v[78:79], v[78:79], v[8:9], v[62:63] op_sel:[1,1,0] op_sel_hi:[0,1,1] neg_lo:[1,0,0]
	v_pk_fma_f32 v[0:1], v[52:53], v[8:9], v[0:1] op_sel_hi:[1,0,1]
	v_pk_fma_f32 v[12:13], v[64:65], v[10:11], v[88:89] op_sel_hi:[1,0,1]
	v_pk_fma_f32 v[82:83], v[52:53], v[8:9], v[0:1] op_sel:[1,1,0] op_sel_hi:[0,1,1] neg_lo:[1,0,0]
	global_load_dword v0, v[34:35], off
	v_mov_b32_e32 v84, v11
	s_waitcnt vmcnt(0)
	v_subrev_u32_e32 v0, s16, v0
	v_lshlrev_b32_e32 v0, 2, v0
	v_ashrrev_i32_e32 v1, 31, v0
	v_lshl_add_u64 v[8:9], v[0:1], 3, s[2:3]
	global_load_dwordx4 v[0:3], v[8:9], off offset:16
	global_load_dwordx4 v[60:63], v[8:9], off
	v_xor_b32_e32 v8, 0x80000000, v65
	v_mov_b32_e32 v9, v64
	v_pk_fma_f32 v[8:9], v[8:9], v[84:85], v[12:13] op_sel_hi:[1,0,1]
	v_xor_b32_e32 v12, 0x80000000, v69
	v_pk_fma_f32 v[8:9], v[66:67], v[4:5], v[8:9] op_sel_hi:[1,0,1]
	v_mov_b32_e32 v13, v68
	v_pk_fma_f32 v[8:9], v[66:67], v[4:5], v[8:9] op_sel:[1,1,0] op_sel_hi:[0,1,1] neg_lo:[1,0,0]
	v_pk_fma_f32 v[8:9], v[68:69], v[6:7], v[8:9] op_sel_hi:[1,0,1]
	v_mov_b32_e32 v68, v7
	v_pk_fma_f32 v[8:9], v[12:13], v[68:69], v[8:9] op_sel_hi:[1,0,1]
	global_load_dwordx4 v[50:53], v[56:57], off
	global_load_dwordx4 v[12:15], v[86:87], off offset:48
	global_load_dwordx4 v[64:67], v[86:87], off offset:32
	;; [unrolled: 1-line block ×3, first 2 shown]
	s_waitcnt vmcnt(4)
	v_mov_b32_e32 v88, v63
	s_waitcnt vmcnt(3)
	v_pk_fma_f32 v[8:9], v[50:51], v[60:61], v[8:9] op_sel_hi:[1,0,1]
	s_nop 0
	v_pk_fma_f32 v[8:9], v[50:51], v[60:61], v[8:9] op_sel:[1,1,0] op_sel_hi:[0,1,1] neg_lo:[1,0,0]
	v_xor_b32_e32 v50, 0x80000000, v53
	v_pk_fma_f32 v[8:9], v[52:53], v[62:63], v[8:9] op_sel_hi:[1,0,1]
	v_mov_b32_e32 v51, v52
	v_pk_fma_f32 v[8:9], v[50:51], v[88:89], v[8:9] op_sel_hi:[1,0,1]
	s_waitcnt vmcnt(0)
	v_xor_b32_e32 v90, 0x80000000, v25
	v_pk_fma_f32 v[92:93], v[24:25], v[0:1], v[8:9] op_sel_hi:[1,0,1]
	v_xor_b32_e32 v8, 0x80000000, v23
	v_mov_b32_e32 v9, v22
	v_pk_fma_f32 v[8:9], v[8:9], v[84:85], v[20:21] op_sel_hi:[1,0,1]
	v_mov_b32_e32 v91, v24
	v_pk_fma_f32 v[8:9], v[16:17], v[4:5], v[8:9] op_sel_hi:[1,0,1]
	v_xor_b32_e32 v24, 0x80000000, v27
	v_pk_fma_f32 v[8:9], v[16:17], v[4:5], v[8:9] op_sel:[1,1,0] op_sel_hi:[0,1,1] neg_lo:[1,0,0]
	v_xor_b32_e32 v16, 0x80000000, v19
	v_pk_fma_f32 v[8:9], v[18:19], v[6:7], v[8:9] op_sel_hi:[1,0,1]
	v_mov_b32_e32 v17, v18
	v_pk_fma_f32 v[8:9], v[16:17], v[68:69], v[8:9] op_sel_hi:[1,0,1]
	v_xor_b32_e32 v16, 0x80000000, v67
	v_pk_fma_f32 v[8:9], v[64:65], v[60:61], v[8:9] op_sel_hi:[1,0,1]
	v_mov_b32_e32 v17, v66
	v_pk_fma_f32 v[8:9], v[64:65], v[60:61], v[8:9] op_sel:[1,1,0] op_sel_hi:[0,1,1] neg_lo:[1,0,0]
	v_pk_fma_f32 v[8:9], v[66:67], v[62:63], v[8:9] op_sel_hi:[1,0,1]
	v_pk_fma_f32 v[18:19], v[80:81], v[10:11], v[78:79] op_sel_hi:[1,0,1]
	;; [unrolled: 1-line block ×5, first 2 shown]
	v_xor_b32_e32 v16, 0x80000000, v81
	v_mov_b32_e32 v17, v80
	v_pk_fma_f32 v[16:17], v[16:17], v[84:85], v[18:19] op_sel_hi:[1,0,1]
	v_xor_b32_e32 v18, 0x80000000, v77
	v_pk_fma_f32 v[16:17], v[74:75], v[4:5], v[16:17] op_sel_hi:[1,0,1]
	v_mov_b32_e32 v19, v76
	v_pk_fma_f32 v[16:17], v[74:75], v[4:5], v[16:17] op_sel:[1,1,0] op_sel_hi:[0,1,1] neg_lo:[1,0,0]
	v_pk_fma_f32 v[16:17], v[76:77], v[6:7], v[16:17] op_sel_hi:[1,0,1]
	v_add_co_u32_e32 v80, vcc, s30, v30
	v_pk_fma_f32 v[52:53], v[18:19], v[68:69], v[16:17] op_sel_hi:[1,0,1]
	global_load_dwordx4 v[16:19], v[86:87], off offset:112
	global_load_dwordx4 v[64:67], v[86:87], off offset:96
	;; [unrolled: 1-line block ×4, first 2 shown]
	v_mov_b32_e32 v25, v26
	v_mov_b32_e32 v76, v3
	v_addc_co_u32_e32 v81, vcc, 0, v31, vcc
	v_lshl_add_u64 v[78:79], v[30:31], 0, s[22:23]
	v_xor_b32_e32 v8, 0x80000000, v13
	v_mov_b32_e32 v9, v12
	v_pk_fma_f32 v[8:9], v[8:9], v[0:1], v[50:51] op_sel:[0,1,0]
	v_cmp_ge_i64_e32 vcc, v[32:33], v[46:47]
	v_pk_fma_f32 v[8:9], v[14:15], v[2:3], v[8:9] op_sel_hi:[1,0,1]
	v_lshl_add_u64 v[30:31], v[30:31], 0, s[28:29]
	s_or_b64 s[14:15], vcc, s[14:15]
	s_waitcnt vmcnt(0)
	v_pk_fma_f32 v[52:53], v[56:57], v[60:61], v[52:53] op_sel_hi:[1,0,1]
	s_nop 0
	v_pk_fma_f32 v[52:53], v[56:57], v[60:61], v[52:53] op_sel:[1,1,0] op_sel_hi:[0,1,1] neg_lo:[1,0,0]
	v_xor_b32_e32 v56, 0x80000000, v59
	v_pk_fma_f32 v[52:53], v[58:59], v[62:63], v[52:53] op_sel_hi:[1,0,1]
	v_mov_b32_e32 v57, v58
	v_pk_fma_f32 v[56:57], v[56:57], v[88:89], v[52:53] op_sel_hi:[1,0,1]
	v_xor_b32_e32 v52, 0x80000000, v21
	v_pk_fma_f32 v[58:59], v[20:21], v[0:1], v[56:57] op_sel_hi:[1,0,1]
	v_xor_b32_e32 v56, 0x80000000, v55
	v_mov_b32_e32 v57, v54
	v_pk_fma_f32 v[10:11], v[56:57], v[84:85], v[10:11] op_sel_hi:[1,0,1]
	v_mov_b32_e32 v53, v20
	v_pk_fma_f32 v[10:11], v[70:71], v[4:5], v[10:11] op_sel_hi:[1,0,1]
	s_nop 0
	v_pk_fma_f32 v[4:5], v[70:71], v[4:5], v[10:11] op_sel:[1,1,0] op_sel_hi:[0,1,1] neg_lo:[1,0,0]
	v_xor_b32_e32 v10, 0x80000000, v73
	v_pk_fma_f32 v[4:5], v[72:73], v[6:7], v[4:5] op_sel_hi:[1,0,1]
	v_mov_b32_e32 v11, v72
	v_pk_fma_f32 v[4:5], v[10:11], v[68:69], v[4:5] op_sel_hi:[1,0,1]
	v_xor_b32_e32 v6, 0x80000000, v67
	v_pk_fma_f32 v[4:5], v[64:65], v[60:61], v[4:5] op_sel_hi:[1,0,1]
	v_mov_b32_e32 v7, v66
	v_pk_fma_f32 v[4:5], v[64:65], v[60:61], v[4:5] op_sel:[1,1,0] op_sel_hi:[0,1,1] neg_lo:[1,0,0]
	v_pk_fma_f32 v[4:5], v[66:67], v[62:63], v[4:5] op_sel_hi:[1,0,1]
	s_nop 0
	v_pk_fma_f32 v[6:7], v[6:7], v[88:89], v[4:5] op_sel_hi:[1,0,1]
	global_load_dword v5, v[34:35], off offset:128
	v_xor_b32_e32 v4, 0x80000000, v17
	v_pk_fma_f32 v[6:7], v[16:17], v[0:1], v[6:7] op_sel_hi:[1,0,1]
	v_lshl_add_u64 v[34:35], v[34:35], 0, s[26:27]
	s_waitcnt vmcnt(0)
	v_subrev_u32_e32 v5, s16, v5
	v_lshlrev_b32_e32 v10, 2, v5
	v_ashrrev_i32_e32 v11, 31, v10
	v_lshl_add_u64 v[10:11], v[10:11], 3, s[2:3]
	global_load_dwordx4 v[60:63], v[10:11], off offset:16
	global_load_dwordx4 v[64:67], v[10:11], off
	v_pk_fma_f32 v[10:11], v[90:91], v[0:1], v[92:93] op_sel:[0,1,0]
	v_mov_b32_e32 v5, v16
	v_pk_fma_f32 v[10:11], v[26:27], v[2:3], v[10:11] op_sel_hi:[1,0,1]
	s_waitcnt vmcnt(1)
	v_mov_b32_e32 v82, v63
	v_pk_fma_f32 v[10:11], v[24:25], v[76:77], v[10:11] op_sel_hi:[1,0,1]
	global_load_dwordx4 v[24:27], v[80:81], off
	global_load_dwordx4 v[68:71], v[78:79], off offset:48
	global_load_dwordx4 v[72:75], v[78:79], off offset:32
	;; [unrolled: 1-line block ×3, first 2 shown]
	s_waitcnt vmcnt(4)
	v_mov_b32_e32 v80, v67
	s_waitcnt vmcnt(3)
	v_pk_fma_f32 v[10:11], v[24:25], v[64:65], v[10:11] op_sel_hi:[1,0,1]
	s_nop 0
	v_pk_fma_f32 v[10:11], v[24:25], v[64:65], v[10:11] op_sel:[1,1,0] op_sel_hi:[0,1,1] neg_lo:[1,0,0]
	v_xor_b32_e32 v24, 0x80000000, v27
	v_pk_fma_f32 v[10:11], v[26:27], v[66:67], v[10:11] op_sel_hi:[1,0,1]
	v_mov_b32_e32 v25, v26
	v_pk_fma_f32 v[10:11], v[24:25], v[80:81], v[10:11] op_sel_hi:[1,0,1]
	s_waitcnt vmcnt(0)
	v_xor_b32_e32 v24, 0x80000000, v57
	v_pk_fma_f32 v[10:11], v[54:55], v[60:61], v[10:11] op_sel_hi:[1,0,1]
	v_mov_b32_e32 v25, v56
	v_pk_fma_f32 v[10:11], v[54:55], v[60:61], v[10:11] op_sel:[1,1,0] op_sel_hi:[0,1,1] neg_lo:[1,0,0]
	v_pk_fma_f32 v[10:11], v[56:57], v[62:63], v[10:11] op_sel_hi:[1,0,1]
	s_nop 0
	v_pk_fma_f32 v[56:57], v[24:25], v[82:83], v[10:11] op_sel_hi:[1,0,1]
	v_xor_b32_e32 v10, 0x80000000, v15
	v_mov_b32_e32 v11, v14
	v_pk_fma_f32 v[8:9], v[10:11], v[76:77], v[8:9] op_sel_hi:[1,0,1]
	v_xor_b32_e32 v10, 0x80000000, v75
	v_pk_fma_f32 v[8:9], v[72:73], v[64:65], v[8:9] op_sel_hi:[1,0,1]
	v_mov_b32_e32 v11, v74
	v_pk_fma_f32 v[8:9], v[72:73], v[64:65], v[8:9] op_sel:[1,1,0] op_sel_hi:[0,1,1] neg_lo:[1,0,0]
	v_pk_fma_f32 v[8:9], v[74:75], v[66:67], v[8:9] op_sel_hi:[1,0,1]
	s_nop 0
	v_pk_fma_f32 v[8:9], v[10:11], v[80:81], v[8:9] op_sel_hi:[1,0,1]
	v_xor_b32_e32 v10, 0x80000000, v71
	v_pk_fma_f32 v[8:9], v[68:69], v[60:61], v[8:9] op_sel_hi:[1,0,1]
	v_mov_b32_e32 v11, v70
	v_pk_fma_f32 v[8:9], v[68:69], v[60:61], v[8:9] op_sel:[1,1,0] op_sel_hi:[0,1,1] neg_lo:[1,0,0]
	v_pk_fma_f32 v[8:9], v[70:71], v[62:63], v[8:9] op_sel_hi:[1,0,1]
	s_nop 0
	v_pk_fma_f32 v[54:55], v[10:11], v[82:83], v[8:9] op_sel_hi:[1,0,1]
	v_pk_fma_f32 v[8:9], v[52:53], v[0:1], v[58:59] op_sel:[0,1,0]
	v_xor_b32_e32 v10, 0x80000000, v23
	v_pk_fma_f32 v[8:9], v[22:23], v[2:3], v[8:9] op_sel_hi:[1,0,1]
	v_mov_b32_e32 v11, v22
	v_pk_fma_f32 v[50:51], v[10:11], v[76:77], v[8:9] op_sel_hi:[1,0,1]
	global_load_dwordx4 v[8:11], v[78:79], off offset:112
	global_load_dwordx4 v[12:15], v[78:79], off offset:96
	;; [unrolled: 1-line block ×4, first 2 shown]
	v_pk_fma_f32 v[0:1], v[4:5], v[0:1], v[6:7] op_sel:[0,1,0]
	v_xor_b32_e32 v4, 0x80000000, v19
	v_pk_fma_f32 v[0:1], v[18:19], v[2:3], v[0:1] op_sel_hi:[1,0,1]
	v_mov_b32_e32 v5, v18
	v_pk_fma_f32 v[0:1], v[4:5], v[76:77], v[0:1] op_sel_hi:[1,0,1]
	s_waitcnt vmcnt(2)
	v_xor_b32_e32 v2, 0x80000000, v15
	v_pk_fma_f32 v[0:1], v[12:13], v[64:65], v[0:1] op_sel_hi:[1,0,1]
	s_waitcnt vmcnt(0)
	v_pk_fma_f32 v[50:51], v[24:25], v[64:65], v[50:51] op_sel_hi:[1,0,1]
	v_pk_fma_f32 v[0:1], v[12:13], v[64:65], v[0:1] op_sel:[1,1,0] op_sel_hi:[0,1,1] neg_lo:[1,0,0]
	v_pk_fma_f32 v[24:25], v[24:25], v[64:65], v[50:51] op_sel:[1,1,0] op_sel_hi:[0,1,1] neg_lo:[1,0,0]
	v_xor_b32_e32 v50, 0x80000000, v27
	v_pk_fma_f32 v[24:25], v[26:27], v[66:67], v[24:25] op_sel_hi:[1,0,1]
	v_mov_b32_e32 v51, v26
	v_pk_fma_f32 v[0:1], v[14:15], v[66:67], v[0:1] op_sel_hi:[1,0,1]
	v_mov_b32_e32 v3, v14
	v_pk_fma_f32 v[24:25], v[50:51], v[80:81], v[24:25] op_sel_hi:[1,0,1]
	v_pk_fma_f32 v[0:1], v[2:3], v[80:81], v[0:1] op_sel_hi:[1,0,1]
	;; [unrolled: 1-line block ×4, first 2 shown]
	v_pk_fma_f32 v[20:21], v[20:21], v[60:61], v[24:25] op_sel:[1,1,0] op_sel_hi:[0,1,1] neg_lo:[1,0,0]
	v_pk_fma_f32 v[0:1], v[8:9], v[60:61], v[0:1] op_sel:[1,1,0] op_sel_hi:[0,1,1] neg_lo:[1,0,0]
	v_xor_b32_e32 v24, 0x80000000, v23
	v_pk_fma_f32 v[20:21], v[22:23], v[62:63], v[20:21] op_sel_hi:[1,0,1]
	v_mov_b32_e32 v25, v22
	v_xor_b32_e32 v2, 0x80000000, v11
	v_pk_fma_f32 v[0:1], v[10:11], v[62:63], v[0:1] op_sel_hi:[1,0,1]
	v_mov_b32_e32 v3, v10
	v_pk_fma_f32 v[52:53], v[24:25], v[82:83], v[20:21] op_sel_hi:[1,0,1]
	v_pk_fma_f32 v[50:51], v[2:3], v[82:83], v[0:1] op_sel_hi:[1,0,1]
	s_andn2_b64 exec, exec, s[14:15]
	s_cbranch_execnz .LBB33_17
; %bb.18:
	s_or_b64 exec, exec, s[14:15]
.LBB33_19:
	s_or_b64 exec, exec, s[10:11]
	v_mov_b32_e32 v43, v57
.LBB33_20:
	s_or_b64 exec, exec, s[8:9]
	s_cbranch_execz .LBB33_22
	s_branch .LBB33_33
.LBB33_21:
                                        ; implicit-def: $vgpr56
                                        ; implicit-def: $vgpr51
                                        ; implicit-def: $vgpr53
                                        ; implicit-def: $vgpr55
.LBB33_22:
	v_mov_b32_e32 v43, 0
	v_mov_b32_e32 v56, 0
	;; [unrolled: 1-line block ×8, first 2 shown]
	s_and_saveexec_b64 s[8:9], s[4:5]
	s_cbranch_execz .LBB33_32
; %bb.23:
	v_or_b32_e32 v0, 32, v42
	v_subrev_co_u32_e32 v0, vcc, s16, v0
	v_not_b32_e32 v3, v29
	s_nop 0
	v_subb_co_u32_e64 v1, s[4:5], 0, 0, vcc
	v_lshl_add_u64 v[0:1], v[0:1], 0, v[28:29]
	v_cmp_gt_i64_e32 vcc, v[0:1], v[46:47]
	v_not_b32_e32 v2, v28
	v_mov_b32_e32 v55, 0
	v_cndmask_b32_e32 v1, v47, v1, vcc
	v_cndmask_b32_e32 v0, v46, v0, vcc
	v_sub_co_u32_e32 v4, vcc, s16, v42
	v_mov_b32_e32 v53, v55
	s_nop 0
	v_subb_co_u32_e64 v5, s[4:5], 0, 0, vcc
	v_lshl_add_u64 v[2:3], v[4:5], 0, v[2:3]
	v_lshl_add_u64 v[0:1], v[2:3], 0, v[0:1]
	v_and_b32_e32 v54, 0x60, v0
	s_mov_b64 s[4:5], 0x60
	v_cmp_ne_u64_e32 vcc, s[4:5], v[54:55]
	v_mov_b32_e32 v54, v55
	v_mov_b32_e32 v52, v55
	;; [unrolled: 1-line block ×6, first 2 shown]
	s_and_saveexec_b64 s[4:5], vcc
	s_cbranch_execz .LBB33_27
; %bb.24:
	v_lshrrev_b32_e32 v2, 5, v0
	v_add_u32_e32 v2, 1, v2
	v_and_b32_e32 v4, 3, v2
	v_sub_co_u32_e32 v4, vcc, 0, v4
	v_mov_b32_e32 v54, 0
	s_nop 0
	v_subb_co_u32_e64 v5, s[14:15], 0, 0, vcc
	v_lshl_add_u64 v[2:3], v[44:45], 2, s[12:13]
	s_mov_b64 s[10:11], 0
	s_mov_b64 s[14:15], 0x1000
	;; [unrolled: 1-line block ×3, first 2 shown]
	v_mov_b32_e32 v55, v54
	v_mov_b32_e32 v52, v54
	v_mov_b32_e32 v53, v54
	v_mov_b32_e32 v50, v54
	v_mov_b32_e32 v51, v54
	v_mov_b32_e32 v56, v54
	v_mov_b32_e32 v57, v54
.LBB33_25:                              ; =>This Inner Loop Header: Depth=1
	global_load_dword v34, v[2:3], off
	global_load_dwordx4 v[6:9], v[48:49], off
	global_load_dwordx4 v[10:13], v[48:49], off offset:32
	global_load_dwordx4 v[14:17], v[48:49], off offset:48
	;; [unrolled: 1-line block ×6, first 2 shown]
	v_lshl_add_u64 v[4:5], v[4:5], 0, 1
	v_cmp_eq_u64_e32 vcc, 0, v[4:5]
	v_lshl_add_u64 v[44:45], v[44:45], 0, 32
	v_lshl_add_u64 v[2:3], v[2:3], 0, s[18:19]
	s_or_b64 s[10:11], vcc, s[10:11]
	s_waitcnt vmcnt(7)
	v_subrev_u32_e32 v34, s16, v34
	v_lshlrev_b32_e32 v34, 2, v34
	v_ashrrev_i32_e32 v35, 31, v34
	v_lshl_add_u64 v[34:35], v[34:35], 3, s[2:3]
	global_load_dwordx4 v[58:61], v[34:35], off offset:16
	global_load_dwordx4 v[62:65], v[34:35], off
	global_load_dwordx4 v[66:69], v[48:49], off offset:112
	s_waitcnt vmcnt(9)
	v_xor_b32_e32 v34, 0x80000000, v9
	v_mov_b32_e32 v35, v8
	s_waitcnt vmcnt(5)
	v_xor_b32_e32 v76, 0x80000000, v25
	v_mov_b32_e32 v77, v24
	v_xor_b32_e32 v70, 0x80000000, v13
	v_mov_b32_e32 v71, v12
	;; [unrolled: 2-line block ×4, first 2 shown]
	s_waitcnt vmcnt(3)
	v_xor_b32_e32 v80, 0x80000000, v33
	v_mov_b32_e32 v81, v32
	v_xor_b32_e32 v74, 0x80000000, v29
	v_mov_b32_e32 v75, v28
	v_lshl_add_u64 v[48:49], v[48:49], 0, s[14:15]
	s_waitcnt vmcnt(2)
	v_mov_b32_e32 v86, v61
	s_waitcnt vmcnt(1)
	v_pk_fma_f32 v[56:57], v[6:7], v[62:63], v[56:57] op_sel_hi:[1,0,1]
	v_pk_fma_f32 v[8:9], v[8:9], v[62:63], v[54:55] op_sel_hi:[1,0,1]
	;; [unrolled: 1-line block ×4, first 2 shown]
	v_pk_fma_f32 v[6:7], v[6:7], v[62:63], v[56:57] op_sel:[1,1,0] op_sel_hi:[0,1,1] neg_lo:[1,0,0]
	v_pk_fma_f32 v[8:9], v[34:35], v[62:63], v[8:9] op_sel:[0,1,0]
	v_pk_fma_f32 v[22:23], v[22:23], v[62:63], v[52:53] op_sel:[1,1,0] op_sel_hi:[0,1,1] neg_lo:[1,0,0]
	v_pk_fma_f32 v[24:25], v[76:77], v[62:63], v[24:25] op_sel:[0,1,0]
	v_mov_b32_e32 v84, v65
	v_pk_fma_f32 v[6:7], v[10:11], v[64:65], v[6:7] op_sel_hi:[1,0,1]
	v_pk_fma_f32 v[8:9], v[12:13], v[64:65], v[8:9] op_sel_hi:[1,0,1]
	;; [unrolled: 1-line block ×4, first 2 shown]
	v_pk_fma_f32 v[6:7], v[10:11], v[84:85], v[6:7] op_sel:[1,0,0] op_sel_hi:[0,0,1] neg_lo:[1,0,0]
	v_pk_fma_f32 v[8:9], v[70:71], v[84:85], v[8:9] op_sel_hi:[1,0,1]
	v_pk_fma_f32 v[10:11], v[14:15], v[84:85], v[12:13] op_sel:[1,0,0] op_sel_hi:[0,0,1] neg_lo:[1,0,0]
	v_pk_fma_f32 v[12:13], v[78:79], v[84:85], v[16:17] op_sel_hi:[1,0,1]
	v_pk_fma_f32 v[6:7], v[18:19], v[58:59], v[6:7] op_sel_hi:[1,0,1]
	;; [unrolled: 1-line block ×5, first 2 shown]
	v_pk_fma_f32 v[6:7], v[18:19], v[58:59], v[6:7] op_sel:[1,1,0] op_sel_hi:[0,1,1] neg_lo:[1,0,0]
	v_pk_fma_f32 v[8:9], v[72:73], v[58:59], v[8:9] op_sel:[0,1,0]
	v_pk_fma_f32 v[10:11], v[30:31], v[58:59], v[10:11] op_sel:[1,1,0] op_sel_hi:[0,1,1] neg_lo:[1,0,0]
	v_pk_fma_f32 v[12:13], v[80:81], v[58:59], v[12:13] op_sel:[0,1,0]
	s_waitcnt vmcnt(0)
	v_xor_b32_e32 v82, 0x80000000, v69
	v_mov_b32_e32 v83, v68
	v_pk_fma_f32 v[6:7], v[26:27], v[60:61], v[6:7] op_sel_hi:[1,0,1]
	v_pk_fma_f32 v[8:9], v[28:29], v[60:61], v[8:9] op_sel_hi:[1,0,1]
	;; [unrolled: 1-line block ×4, first 2 shown]
	v_pk_fma_f32 v[56:57], v[26:27], v[86:87], v[6:7] op_sel:[1,0,0] op_sel_hi:[0,0,1] neg_lo:[1,0,0]
	v_pk_fma_f32 v[54:55], v[74:75], v[86:87], v[8:9] op_sel_hi:[1,0,1]
	v_pk_fma_f32 v[52:53], v[66:67], v[86:87], v[10:11] op_sel:[1,0,0] op_sel_hi:[0,0,1] neg_lo:[1,0,0]
	v_pk_fma_f32 v[50:51], v[82:83], v[86:87], v[12:13] op_sel_hi:[1,0,1]
	s_andn2_b64 exec, exec, s[10:11]
	s_cbranch_execnz .LBB33_25
; %bb.26:
	s_or_b64 exec, exec, s[10:11]
.LBB33_27:
	s_or_b64 exec, exec, s[4:5]
	s_mov_b64 s[4:5], 0x5f
	v_cmp_lt_u64_e32 vcc, s[4:5], v[0:1]
	s_and_saveexec_b64 s[4:5], vcc
	s_cbranch_execz .LBB33_31
; %bb.28:
	v_lshl_add_u64 v[0:1], v[44:45], 2, s[12:13]
	s_mov_b64 s[10:11], 0x100
	v_lshl_add_u64 v[58:59], v[0:1], 0, s[10:11]
	s_mov_b64 s[10:11], 0
	s_mov_b64 s[12:13], 0x1000
	;; [unrolled: 1-line block ×3, first 2 shown]
	s_movk_i32 s17, 0x2000
	s_mov_b64 s[18:19], 0x3000
	s_movk_i32 s26, 0x3000
	s_mov_b64 s[20:21], 0x80
	s_mov_b64 s[22:23], 0x200
	;; [unrolled: 1-line block ×3, first 2 shown]
.LBB33_29:                              ; =>This Inner Loop Header: Depth=1
	global_load_dword v43, v[58:59], off offset:-256
	global_load_dwordx4 v[28:31], v[48:49], off
	global_load_dwordx4 v[24:27], v[48:49], off offset:16
	global_load_dwordx4 v[8:11], v[48:49], off offset:48
	;; [unrolled: 1-line block ×7, first 2 shown]
	v_lshl_add_u64 v[62:63], v[48:49], 0, s[12:13]
	v_add_co_u32_e32 v96, vcc, s17, v48
	global_load_dword v100, v[58:59], off offset:-128
	global_load_dword v41, v[58:59], off
	global_load_dword v102, v[58:59], off offset:128
	v_addc_co_u32_e32 v97, vcc, 0, v49, vcc
	global_load_dwordx4 v[68:71], v[62:63], off offset:48
	global_load_dwordx4 v[72:75], v[62:63], off offset:32
	;; [unrolled: 1-line block ×4, first 2 shown]
	global_load_dwordx4 v[80:83], v[96:97], off offset:-4096
	v_add_co_u32_e32 v66, vcc, s26, v48
	v_lshl_add_u64 v[60:61], v[48:49], 0, s[14:15]
	v_lshl_add_u64 v[64:65], v[48:49], 0, s[18:19]
	v_addc_co_u32_e32 v67, vcc, 0, v49, vcc
	v_lshl_add_u64 v[44:45], v[44:45], 0, s[20:21]
	v_cmp_ge_i64_e32 vcc, v[44:45], v[46:47]
	v_lshl_add_u64 v[58:59], v[58:59], 0, s[22:23]
	v_lshl_add_u64 v[48:49], v[48:49], 0, s[24:25]
	s_or_b64 s[10:11], vcc, s[10:11]
	s_waitcnt vmcnt(16)
	v_subrev_u32_e32 v43, s16, v43
	v_lshlrev_b32_e32 v84, 2, v43
	v_ashrrev_i32_e32 v85, 31, v84
	v_lshl_add_u64 v[94:95], v[84:85], 3, s[2:3]
	global_load_dwordx4 v[84:87], v[94:95], off
	global_load_dwordx4 v[88:91], v[94:95], off offset:16
	s_waitcnt vmcnt(17)
	v_xor_b32_e32 v92, 0x80000000, v31
	v_mov_b32_e32 v93, v30
	s_waitcnt vmcnt(16)
	v_xor_b32_e32 v94, 0x80000000, v27
	v_mov_b32_e32 v95, v26
	;; [unrolled: 3-line block ×3, first 2 shown]
	s_waitcnt vmcnt(8)
	v_subrev_u32_e32 v41, s16, v41
	s_waitcnt vmcnt(7)
	v_subrev_u32_e32 v43, s16, v102
	s_waitcnt vmcnt(1)
	v_pk_fma_f32 v[56:57], v[28:29], v[84:85], v[56:57] op_sel_hi:[1,0,1]
	v_pk_fma_f32 v[30:31], v[30:31], v[84:85], v[54:55] op_sel_hi:[1,0,1]
	;; [unrolled: 1-line block ×4, first 2 shown]
	v_pk_fma_f32 v[28:29], v[28:29], v[84:85], v[56:57] op_sel:[1,1,0] op_sel_hi:[0,1,1] neg_lo:[1,0,0]
	v_pk_fma_f32 v[24:25], v[24:25], v[84:85], v[52:53] op_sel:[1,1,0] op_sel_hi:[0,1,1] neg_lo:[1,0,0]
	v_pk_fma_f32 v[30:31], v[92:93], v[84:85], v[30:31] op_sel:[0,1,0]
	v_pk_fma_f32 v[26:27], v[94:95], v[84:85], v[26:27] op_sel:[0,1,0]
	global_load_dwordx4 v[50:53], v[62:63], off offset:96
	global_load_dwordx4 v[54:57], v[62:63], off offset:80
	;; [unrolled: 1-line block ×3, first 2 shown]
	v_pk_fma_f32 v[28:29], v[12:13], v[86:87], v[28:29] op_sel_hi:[1,0,1]
	v_pk_fma_f32 v[30:31], v[14:15], v[86:87], v[30:31] op_sel_hi:[1,0,1]
	;; [unrolled: 1-line block ×4, first 2 shown]
	v_mov_b32_e32 v86, v87
	v_pk_fma_f32 v[12:13], v[12:13], v[86:87], v[28:29] op_sel:[1,0,0] op_sel_hi:[0,0,1] neg_lo:[1,0,0]
	v_pk_fma_f32 v[14:15], v[98:99], v[86:87], v[30:31] op_sel_hi:[1,0,1]
	v_xor_b32_e32 v98, 0x80000000, v11
	v_mov_b32_e32 v99, v10
	v_pk_fma_f32 v[8:9], v[8:9], v[86:87], v[62:63] op_sel:[1,0,0] op_sel_hi:[0,0,1] neg_lo:[1,0,0]
	v_pk_fma_f32 v[10:11], v[98:99], v[86:87], v[84:85] op_sel_hi:[1,0,1]
	s_waitcnt vmcnt(3)
	v_pk_fma_f32 v[12:13], v[20:21], v[88:89], v[12:13] op_sel_hi:[1,0,1]
	v_xor_b32_e32 v62, 0x80000000, v23
	v_mov_b32_e32 v63, v22
	v_pk_fma_f32 v[14:15], v[22:23], v[88:89], v[14:15] op_sel_hi:[1,0,1]
	v_pk_fma_f32 v[84:85], v[20:21], v[88:89], v[12:13] op_sel:[1,1,0] op_sel_hi:[0,1,1] neg_lo:[1,0,0]
	v_xor_b32_e32 v12, 0x80000000, v19
	v_mov_b32_e32 v13, v18
	v_pk_fma_f32 v[8:9], v[16:17], v[88:89], v[8:9] op_sel_hi:[1,0,1]
	v_pk_fma_f32 v[18:19], v[18:19], v[88:89], v[10:11] op_sel_hi:[1,0,1]
	v_pk_fma_f32 v[16:17], v[16:17], v[88:89], v[8:9] op_sel:[1,1,0] op_sel_hi:[0,1,1] neg_lo:[1,0,0]
	v_pk_fma_f32 v[62:63], v[62:63], v[88:89], v[14:15] op_sel:[0,1,0]
	v_pk_fma_f32 v[18:19], v[12:13], v[88:89], v[18:19] op_sel:[0,1,0]
	v_pk_fma_f32 v[84:85], v[4:5], v[90:91], v[84:85] op_sel_hi:[1,0,1]
	v_pk_fma_f32 v[62:63], v[6:7], v[90:91], v[62:63] op_sel_hi:[1,0,1]
	;; [unrolled: 1-line block ×4, first 2 shown]
	v_mov_b32_e32 v86, v91
	v_mov_b32_e32 v91, v2
	v_subrev_u32_e32 v2, s16, v100
	v_lshlrev_b32_e32 v2, 2, v2
	v_xor_b32_e32 v90, 0x80000000, v3
	v_ashrrev_i32_e32 v3, 31, v2
	v_xor_b32_e32 v88, 0x80000000, v7
	v_mov_b32_e32 v89, v6
	v_pk_fma_f32 v[84:85], v[4:5], v[86:87], v[84:85] op_sel:[1,0,0] op_sel_hi:[0,0,1] neg_lo:[1,0,0]
	global_load_dwordx4 v[4:7], v[96:97], off
	v_pk_fma_f32 v[96:97], v[0:1], v[86:87], v[16:17] op_sel:[1,0,0] op_sel_hi:[0,0,1] neg_lo:[1,0,0]
	v_lshl_add_u64 v[16:17], v[2:3], 3, s[2:3]
	global_load_dwordx4 v[0:3], v[16:17], off
	v_pk_fma_f32 v[62:63], v[88:89], v[86:87], v[62:63] op_sel_hi:[1,0,1]
	v_pk_fma_f32 v[86:87], v[90:91], v[86:87], v[18:19] op_sel_hi:[1,0,1]
	global_load_dwordx4 v[16:19], v[16:17], off offset:16
	v_xor_b32_e32 v98, 0x80000000, v83
	v_mov_b32_e32 v99, v82
	v_xor_b32_e32 v90, 0x80000000, v79
	v_mov_b32_e32 v91, v78
	global_load_dwordx4 v[24:27], v[60:61], off offset:48
	global_load_dwordx4 v[28:31], v[60:61], off offset:32
	;; [unrolled: 1-line block ×5, first 2 shown]
	s_waitcnt vmcnt(10)
	v_xor_b32_e32 v100, 0x80000000, v53
	v_mov_b32_e32 v101, v52
	s_waitcnt vmcnt(6)
	v_pk_fma_f32 v[84:85], v[80:81], v[0:1], v[84:85] op_sel_hi:[1,0,1]
	v_pk_fma_f32 v[88:89], v[82:83], v[0:1], v[62:63] op_sel_hi:[1,0,1]
	;; [unrolled: 1-line block ×3, first 2 shown]
	v_pk_fma_f32 v[84:85], v[80:81], v[0:1], v[84:85] op_sel:[1,1,0] op_sel_hi:[0,1,1] neg_lo:[1,0,0]
	v_pk_fma_f32 v[86:87], v[78:79], v[0:1], v[86:87] op_sel_hi:[1,0,1]
	v_pk_fma_f32 v[96:97], v[76:77], v[0:1], v[62:63] op_sel:[1,1,0] op_sel_hi:[0,1,1] neg_lo:[1,0,0]
	v_pk_fma_f32 v[88:89], v[98:99], v[0:1], v[88:89] op_sel:[0,1,0]
	v_pk_fma_f32 v[0:1], v[90:91], v[0:1], v[86:87] op_sel:[0,1,0]
	v_xor_b32_e32 v86, 0x80000000, v75
	v_mov_b32_e32 v87, v74
	v_pk_fma_f32 v[84:85], v[72:73], v[2:3], v[84:85] op_sel_hi:[1,0,1]
	v_pk_fma_f32 v[74:75], v[74:75], v[2:3], v[88:89] op_sel_hi:[1,0,1]
	;; [unrolled: 1-line block ×3, first 2 shown]
	v_mov_b32_e32 v96, v3
	v_pk_fma_f32 v[84:85], v[72:73], v[96:97], v[84:85] op_sel:[1,0,0] op_sel_hi:[0,0,1] neg_lo:[1,0,0]
	v_pk_fma_f32 v[90:91], v[70:71], v[2:3], v[0:1] op_sel_hi:[1,0,1]
	v_xor_b32_e32 v72, 0x80000000, v71
	v_mov_b32_e32 v73, v70
	v_pk_fma_f32 v[88:89], v[68:69], v[96:97], v[88:89] op_sel:[1,0,0] op_sel_hi:[0,0,1] neg_lo:[1,0,0]
	s_waitcnt vmcnt(5)
	v_pk_fma_f32 v[84:85], v[92:93], v[16:17], v[84:85] op_sel_hi:[1,0,1]
	v_pk_fma_f32 v[86:87], v[86:87], v[96:97], v[74:75] op_sel_hi:[1,0,1]
	;; [unrolled: 1-line block ×3, first 2 shown]
	v_pk_fma_f32 v[92:93], v[92:93], v[16:17], v[84:85] op_sel:[1,1,0] op_sel_hi:[0,1,1] neg_lo:[1,0,0]
	v_pk_fma_f32 v[84:85], v[54:55], v[16:17], v[88:89] op_sel_hi:[1,0,1]
	v_xor_b32_e32 v96, 0x80000000, v95
	v_mov_b32_e32 v97, v94
	v_pk_fma_f32 v[86:87], v[94:95], v[16:17], v[86:87] op_sel_hi:[1,0,1]
	v_xor_b32_e32 v94, 0x80000000, v57
	v_mov_b32_e32 v95, v56
	v_pk_fma_f32 v[88:89], v[56:57], v[16:17], v[90:91] op_sel_hi:[1,0,1]
	v_pk_fma_f32 v[98:99], v[54:55], v[16:17], v[84:85] op_sel:[1,1,0] op_sel_hi:[0,1,1] neg_lo:[1,0,0]
	v_pk_fma_f32 v[96:97], v[96:97], v[16:17], v[86:87] op_sel:[0,1,0]
	v_pk_fma_f32 v[16:17], v[94:95], v[16:17], v[88:89] op_sel:[0,1,0]
	v_pk_fma_f32 v[94:95], v[32:33], v[18:19], v[98:99] op_sel_hi:[1,0,1]
	v_mov_b32_e32 v98, v19
	global_load_dwordx4 v[80:83], v[60:61], off offset:80
	global_load_dwordx4 v[76:79], v[64:65], off offset:48
	;; [unrolled: 1-line block ×8, first 2 shown]
	v_pk_fma_f32 v[64:65], v[50:51], v[18:19], v[92:93] op_sel_hi:[1,0,1]
	global_load_dwordx4 v[60:63], v[60:61], off offset:64
	v_pk_fma_f32 v[92:93], v[52:53], v[18:19], v[96:97] op_sel_hi:[1,0,1]
	v_pk_fma_f32 v[96:97], v[34:35], v[18:19], v[16:17] op_sel_hi:[1,0,1]
	global_load_dwordx4 v[16:19], v[66:67], off
	v_pk_fma_f32 v[66:67], v[32:33], v[98:99], v[94:95] op_sel:[1,0,0] op_sel_hi:[0,0,1] neg_lo:[1,0,0]
	v_lshlrev_b32_e32 v32, 2, v41
	v_ashrrev_i32_e32 v33, 31, v32
	v_pk_fma_f32 v[64:65], v[50:51], v[98:99], v[64:65] op_sel:[1,0,0] op_sel_hi:[0,0,1] neg_lo:[1,0,0]
	v_xor_b32_e32 v50, 0x80000000, v35
	v_mov_b32_e32 v51, v34
	v_lshl_add_u64 v[102:103], v[32:33], 3, s[2:3]
	v_pk_fma_f32 v[96:97], v[50:51], v[98:99], v[96:97] op_sel_hi:[1,0,1]
	global_load_dwordx4 v[32:35], v[102:103], off
	global_load_dwordx4 v[50:53], v[102:103], off offset:16
	v_pk_fma_f32 v[92:93], v[100:101], v[98:99], v[92:93] op_sel_hi:[1,0,1]
	v_xor_b32_e32 v94, 0x80000000, v7
	v_mov_b32_e32 v95, v6
	s_waitcnt vmcnt(15)
	v_xor_b32_e32 v98, 0x80000000, v31
	v_mov_b32_e32 v99, v30
	s_waitcnt vmcnt(1)
	v_pk_fma_f32 v[64:65], v[4:5], v[32:33], v[64:65] op_sel_hi:[1,0,1]
	s_nop 0
	v_pk_fma_f32 v[64:65], v[4:5], v[32:33], v[64:65] op_sel:[1,1,0] op_sel_hi:[0,1,1] neg_lo:[1,0,0]
	v_lshlrev_b32_e32 v4, 2, v43
	v_pk_fma_f32 v[66:67], v[20:21], v[32:33], v[66:67] op_sel_hi:[1,0,1]
	v_ashrrev_i32_e32 v5, 31, v4
	v_pk_fma_f32 v[6:7], v[6:7], v[32:33], v[92:93] op_sel_hi:[1,0,1]
	v_pk_fma_f32 v[66:67], v[20:21], v[32:33], v[66:67] op_sel:[1,1,0] op_sel_hi:[0,1,1] neg_lo:[1,0,0]
	v_lshl_add_u64 v[20:21], v[4:5], 3, s[2:3]
	v_pk_fma_f32 v[94:95], v[94:95], v[32:33], v[6:7] op_sel:[0,1,0]
	global_load_dwordx4 v[4:7], v[20:21], off
	v_xor_b32_e32 v92, 0x80000000, v23
	v_mov_b32_e32 v93, v22
	v_pk_fma_f32 v[22:23], v[22:23], v[32:33], v[96:97] op_sel_hi:[1,0,1]
	v_xor_b32_e32 v96, 0x80000000, v27
	v_pk_fma_f32 v[32:33], v[92:93], v[32:33], v[22:23] op_sel:[0,1,0]
	global_load_dwordx4 v[20:23], v[20:21], off offset:16
	v_mov_b32_e32 v97, v26
	v_pk_fma_f32 v[64:65], v[28:29], v[34:35], v[64:65] op_sel_hi:[1,0,1]
	v_pk_fma_f32 v[30:31], v[30:31], v[34:35], v[94:95] op_sel_hi:[1,0,1]
	;; [unrolled: 1-line block ×4, first 2 shown]
	v_mov_b32_e32 v32, v35
	v_pk_fma_f32 v[28:29], v[28:29], v[32:33], v[64:65] op_sel:[1,0,0] op_sel_hi:[0,0,1] neg_lo:[1,0,0]
	v_pk_fma_f32 v[24:25], v[24:25], v[32:33], v[66:67] op_sel:[1,0,0] op_sel_hi:[0,0,1] neg_lo:[1,0,0]
	v_pk_fma_f32 v[30:31], v[98:99], v[32:33], v[30:31] op_sel_hi:[1,0,1]
	v_pk_fma_f32 v[26:27], v[96:97], v[32:33], v[26:27] op_sel_hi:[1,0,1]
	v_xor_b32_e32 v34, 0x80000000, v61
	v_xor_b32_e32 v64, 0x80000000, v63
	;; [unrolled: 1-line block ×4, first 2 shown]
	v_mov_b32_e32 v35, v60
	v_mov_b32_e32 v65, v62
	;; [unrolled: 1-line block ×4, first 2 shown]
	s_waitcnt vmcnt(2)
	v_pk_fma_f32 v[28:29], v[60:61], v[50:51], v[28:29] op_sel_hi:[1,0,1]
	v_pk_fma_f32 v[30:31], v[62:63], v[50:51], v[30:31] op_sel_hi:[1,0,1]
	;; [unrolled: 1-line block ×4, first 2 shown]
	v_pk_fma_f32 v[28:29], v[34:35], v[50:51], v[28:29] op_sel:[0,1,0]
	v_pk_fma_f32 v[30:31], v[64:65], v[50:51], v[30:31] op_sel:[0,1,0]
	;; [unrolled: 1-line block ×4, first 2 shown]
	v_xor_b32_e32 v94, 0x80000000, v15
	v_mov_b32_e32 v95, v14
	v_xor_b32_e32 v60, 0x80000000, v11
	v_mov_b32_e32 v61, v10
	v_mov_b32_e32 v92, v53
	v_pk_fma_f32 v[28:29], v[12:13], v[52:53], v[28:29] op_sel_hi:[1,0,1]
	v_pk_fma_f32 v[14:15], v[14:15], v[52:53], v[30:31] op_sel_hi:[1,0,1]
	;; [unrolled: 1-line block ×4, first 2 shown]
	v_pk_fma_f32 v[12:13], v[12:13], v[92:93], v[28:29] op_sel:[1,0,0] op_sel_hi:[0,0,1] neg_lo:[1,0,0]
	v_pk_fma_f32 v[14:15], v[94:95], v[92:93], v[14:15] op_sel_hi:[1,0,1]
	v_pk_fma_f32 v[8:9], v[8:9], v[92:93], v[24:25] op_sel:[1,0,0] op_sel_hi:[0,0,1] neg_lo:[1,0,0]
	v_pk_fma_f32 v[10:11], v[60:61], v[92:93], v[10:11] op_sel_hi:[1,0,1]
	v_xor_b32_e32 v62, 0x80000000, v71
	v_mov_b32_e32 v63, v70
	v_xor_b32_e32 v64, 0x80000000, v19
	v_mov_b32_e32 v65, v18
	;; [unrolled: 2-line block ×8, first 2 shown]
	s_waitcnt vmcnt(1)
	v_pk_fma_f32 v[12:13], v[16:17], v[4:5], v[12:13] op_sel_hi:[1,0,1]
	v_pk_fma_f32 v[14:15], v[18:19], v[4:5], v[14:15] op_sel_hi:[1,0,1]
	v_pk_fma_f32 v[8:9], v[68:69], v[4:5], v[8:9] op_sel_hi:[1,0,1]
	v_pk_fma_f32 v[10:11], v[70:71], v[4:5], v[10:11] op_sel_hi:[1,0,1]
	v_pk_fma_f32 v[12:13], v[16:17], v[4:5], v[12:13] op_sel:[1,1,0] op_sel_hi:[0,1,1] neg_lo:[1,0,0]
	v_pk_fma_f32 v[14:15], v[64:65], v[4:5], v[14:15] op_sel:[0,1,0]
	v_pk_fma_f32 v[8:9], v[68:69], v[4:5], v[8:9] op_sel:[1,1,0] op_sel_hi:[0,1,1] neg_lo:[1,0,0]
	v_pk_fma_f32 v[4:5], v[62:63], v[4:5], v[10:11] op_sel:[0,1,0]
	v_mov_b32_e32 v50, v7
	v_pk_fma_f32 v[10:11], v[0:1], v[6:7], v[12:13] op_sel_hi:[1,0,1]
	v_pk_fma_f32 v[2:3], v[2:3], v[6:7], v[14:15] op_sel_hi:[1,0,1]
	;; [unrolled: 1-line block ×4, first 2 shown]
	v_pk_fma_f32 v[0:1], v[0:1], v[50:51], v[10:11] op_sel:[1,0,0] op_sel_hi:[0,0,1] neg_lo:[1,0,0]
	v_pk_fma_f32 v[2:3], v[98:99], v[50:51], v[2:3] op_sel_hi:[1,0,1]
	v_pk_fma_f32 v[6:7], v[76:77], v[50:51], v[8:9] op_sel:[1,0,0] op_sel_hi:[0,0,1] neg_lo:[1,0,0]
	v_pk_fma_f32 v[4:5], v[80:81], v[50:51], v[4:5] op_sel_hi:[1,0,1]
	s_waitcnt vmcnt(0)
	v_pk_fma_f32 v[0:1], v[88:89], v[20:21], v[0:1] op_sel_hi:[1,0,1]
	v_pk_fma_f32 v[2:3], v[90:91], v[20:21], v[2:3] op_sel_hi:[1,0,1]
	;; [unrolled: 1-line block ×4, first 2 shown]
	v_pk_fma_f32 v[0:1], v[88:89], v[20:21], v[0:1] op_sel:[1,1,0] op_sel_hi:[0,1,1] neg_lo:[1,0,0]
	v_pk_fma_f32 v[2:3], v[32:33], v[20:21], v[2:3] op_sel:[0,1,0]
	v_pk_fma_f32 v[6:7], v[84:85], v[20:21], v[6:7] op_sel:[1,1,0] op_sel_hi:[0,1,1] neg_lo:[1,0,0]
	v_pk_fma_f32 v[4:5], v[82:83], v[20:21], v[4:5] op_sel:[0,1,0]
	v_mov_b32_e32 v26, v23
	v_pk_fma_f32 v[0:1], v[54:55], v[22:23], v[0:1] op_sel_hi:[1,0,1]
	v_pk_fma_f32 v[2:3], v[56:57], v[22:23], v[2:3] op_sel_hi:[1,0,1]
	;; [unrolled: 1-line block ×4, first 2 shown]
	v_pk_fma_f32 v[56:57], v[54:55], v[26:27], v[0:1] op_sel:[1,0,0] op_sel_hi:[0,0,1] neg_lo:[1,0,0]
	v_pk_fma_f32 v[54:55], v[96:97], v[26:27], v[2:3] op_sel_hi:[1,0,1]
	v_pk_fma_f32 v[52:53], v[72:73], v[26:27], v[6:7] op_sel:[1,0,0] op_sel_hi:[0,0,1] neg_lo:[1,0,0]
	v_pk_fma_f32 v[50:51], v[34:35], v[26:27], v[4:5] op_sel_hi:[1,0,1]
	s_andn2_b64 exec, exec, s[10:11]
	s_cbranch_execnz .LBB33_29
; %bb.30:
	s_or_b64 exec, exec, s[10:11]
.LBB33_31:
	s_or_b64 exec, exec, s[4:5]
	v_mov_b32_e32 v43, v57
.LBB33_32:
	s_or_b64 exec, exec, s[8:9]
.LBB33_33:
	v_mov_b32_dpp v6, v55 row_shr:1 row_mask:0xf bank_mask:0xf
	v_add_f32_e32 v6, v55, v6
	v_mov_b32_dpp v0, v56 row_shr:1 row_mask:0xf bank_mask:0xf
	v_mov_b32_dpp v2, v43 row_shr:1 row_mask:0xf bank_mask:0xf
	v_mov_b32_dpp v7, v6 row_shr:2 row_mask:0xf bank_mask:0xf
	v_add_f32_e32 v6, v6, v7
	v_mov_b32_dpp v4, v54 row_shr:1 row_mask:0xf bank_mask:0xf
	v_add_f32_e32 v0, v56, v0
	v_mov_b32_dpp v7, v6 row_shr:4 row_mask:0xf bank_mask:0xe
	v_add_f32_e32 v6, v6, v7
	v_add_f32_e32 v2, v43, v2
	v_add_f32_e32 v4, v54, v4
	v_mov_b32_dpp v7, v6 row_shr:8 row_mask:0xf bank_mask:0xc
	v_add_f32_e32 v7, v6, v7
	v_mov_b32_dpp v6, v52 row_shr:1 row_mask:0xf bank_mask:0xf
	v_add_f32_e32 v6, v52, v6
	v_mov_b32_dpp v1, v0 row_shr:2 row_mask:0xf bank_mask:0xf
	v_mov_b32_dpp v3, v2 row_shr:2 row_mask:0xf bank_mask:0xf
	v_mov_b32_dpp v9, v6 row_shr:2 row_mask:0xf bank_mask:0xf
	v_add_f32_e32 v6, v6, v9
	v_mov_b32_dpp v5, v4 row_shr:2 row_mask:0xf bank_mask:0xf
	v_add_f32_e32 v0, v0, v1
	v_mov_b32_dpp v9, v6 row_shr:4 row_mask:0xf bank_mask:0xe
	v_add_f32_e32 v6, v6, v9
	v_add_f32_e32 v2, v2, v3
	v_add_f32_e32 v4, v4, v5
	v_mov_b32_dpp v9, v6 row_shr:8 row_mask:0xf bank_mask:0xc
	v_add_f32_e32 v9, v6, v9
	;; [unrolled: 14-line block ×4, first 2 shown]
	v_mov_b32_dpp v6, v51 row_shr:1 row_mask:0xf bank_mask:0xf
	v_add_f32_e32 v6, v51, v6
	v_mov_b32_dpp v1, v0 row_bcast:15 row_mask:0xa bank_mask:0xf
	v_mov_b32_dpp v3, v2 row_bcast:15 row_mask:0xa bank_mask:0xf
	v_mov_b32_dpp v12, v6 row_shr:2 row_mask:0xf bank_mask:0xf
	v_add_f32_e32 v6, v6, v12
	v_mov_b32_dpp v5, v4 row_bcast:15 row_mask:0xa bank_mask:0xf
	v_mov_b32_dpp v8, v7 row_bcast:15 row_mask:0xa bank_mask:0xf
	;; [unrolled: 4-line block ×3, first 2 shown]
	v_mov_b32_dpp v12, v6 row_shr:8 row_mask:0xf bank_mask:0xc
	v_add_f32_e32 v17, v6, v12
	v_mov_b32_dpp v16, v15 row_bcast:15 row_mask:0xa bank_mask:0xf
	v_cmp_eq_u32_e32 vcc, 31, v42
	v_mov_b32_dpp v18, v17 row_bcast:15 row_mask:0xa bank_mask:0xf
	s_and_b64 exec, exec, vcc
	s_cbranch_execz .LBB33_6
; %bb.34:
	s_load_dwordx2 s[0:1], s[0:1], 0x50
	v_cmp_eq_f32_e32 vcc, 0, v38
	s_xor_b64 s[2:3], s[6:7], -1
	v_add_f32_e32 v6, v0, v1
	v_add_f32_e32 v14, v2, v3
	;; [unrolled: 1-line block ×8, first 2 shown]
	s_and_b64 s[2:3], vcc, s[2:3]
	v_lshlrev_b32_e32 v16, 2, v40
	s_and_saveexec_b64 s[4:5], s[2:3]
	s_xor_b64 s[2:3], exec, s[4:5]
	s_cbranch_execz .LBB33_36
; %bb.35:
	v_xor_b32_e32 v18, 0x80000000, v37
	v_mov_b32_e32 v19, v36
	v_pk_mul_f32 v[14:15], v[14:15], v[18:19] op_sel_hi:[0,1]
	v_ashrrev_i32_e32 v17, 31, v16
	v_pk_fma_f32 v[14:15], v[36:37], v[6:7], v[14:15] op_sel_hi:[1,0,1]
	v_pk_mul_f32 v[6:7], v[12:13], v[18:19] op_sel_hi:[0,1]
	s_waitcnt lgkmcnt(0)
	v_lshl_add_u64 v[20:21], v[16:17], 3, s[0:1]
	v_pk_fma_f32 v[16:17], v[36:37], v[4:5], v[6:7] op_sel_hi:[1,0,1]
	v_pk_mul_f32 v[4:5], v[10:11], v[18:19] op_sel_hi:[0,1]
	v_pk_fma_f32 v[2:3], v[36:37], v[2:3], v[4:5] op_sel_hi:[1,0,1]
	v_pk_mul_f32 v[4:5], v[8:9], v[18:19] op_sel_hi:[0,1]
	v_pk_fma_f32 v[4:5], v[36:37], v[0:1], v[4:5] op_sel_hi:[1,0,1]
	global_store_dwordx4 v[20:21], v[14:17], off
	global_store_dwordx4 v[20:21], v[2:5], off offset:16
                                        ; implicit-def: $vgpr6
                                        ; implicit-def: $vgpr14
                                        ; implicit-def: $vgpr4
                                        ; implicit-def: $vgpr12
                                        ; implicit-def: $vgpr2
                                        ; implicit-def: $vgpr10
                                        ; implicit-def: $vgpr0
                                        ; implicit-def: $vgpr8
                                        ; implicit-def: $vgpr36_vgpr37
                                        ; implicit-def: $vgpr38_vgpr39
                                        ; implicit-def: $vgpr16
.LBB33_36:
	s_andn2_saveexec_b64 s[2:3], s[2:3]
	s_cbranch_execz .LBB33_6
; %bb.37:
	v_ashrrev_i32_e32 v17, 31, v16
	s_waitcnt lgkmcnt(0)
	v_lshl_add_u64 v[24:25], v[16:17], 3, s[0:1]
	global_load_dwordx4 v[16:19], v[24:25], off
	global_load_dwordx4 v[20:23], v[24:25], off offset:16
	v_xor_b32_e32 v26, 0x80000000, v37
	v_mov_b32_e32 v27, v36
	v_pk_mul_f32 v[14:15], v[14:15], v[26:27] op_sel_hi:[0,1]
	v_pk_mul_f32 v[12:13], v[12:13], v[26:27] op_sel_hi:[0,1]
	;; [unrolled: 1-line block ×4, first 2 shown]
	v_pk_fma_f32 v[6:7], v[36:37], v[6:7], v[14:15] op_sel_hi:[1,0,1]
	v_pk_fma_f32 v[4:5], v[36:37], v[4:5], v[12:13] op_sel_hi:[1,0,1]
	v_xor_b32_e32 v28, 0x80000000, v39
	v_mov_b32_e32 v29, v38
	v_pk_fma_f32 v[2:3], v[36:37], v[2:3], v[10:11] op_sel_hi:[1,0,1]
	v_pk_fma_f32 v[0:1], v[36:37], v[0:1], v[8:9] op_sel_hi:[1,0,1]
	s_waitcnt vmcnt(1)
	v_pk_fma_f32 v[6:7], v[38:39], v[16:17], v[6:7] op_sel_hi:[1,0,1]
	v_pk_fma_f32 v[4:5], v[38:39], v[18:19], v[4:5] op_sel_hi:[1,0,1]
	v_mov_b32_e32 v8, v19
	s_waitcnt vmcnt(0)
	v_pk_fma_f32 v[10:11], v[38:39], v[20:21], v[2:3] op_sel_hi:[1,0,1]
	v_pk_fma_f32 v[12:13], v[38:39], v[22:23], v[0:1] op_sel_hi:[1,0,1]
	v_mov_b32_e32 v14, v23
	v_pk_fma_f32 v[0:1], v[28:29], v[16:17], v[6:7] op_sel:[0,1,0]
	v_pk_fma_f32 v[2:3], v[28:29], v[8:9], v[4:5] op_sel_hi:[1,0,1]
	v_pk_fma_f32 v[4:5], v[28:29], v[20:21], v[10:11] op_sel:[0,1,0]
	v_pk_fma_f32 v[6:7], v[28:29], v[14:15], v[12:13] op_sel_hi:[1,0,1]
	global_store_dwordx4 v[24:25], v[0:3], off
	global_store_dwordx4 v[24:25], v[4:7], off offset:16
	s_endpgm
	.section	.rodata,"a",@progbits
	.p2align	6, 0x0
	.amdhsa_kernel _ZN9rocsparseL18bsrxmvn_4x4_kernelILj128ELj32E21rocsparse_complex_numIfEliS2_S2_S2_EEvT3_20rocsparse_direction_NS_24const_host_device_scalarIT1_EES3_PKS3_PKT2_SC_S9_PKT4_PKT5_S7_PT6_21rocsparse_index_base_b
		.amdhsa_group_segment_fixed_size 0
		.amdhsa_private_segment_fixed_size 0
		.amdhsa_kernarg_size 96
		.amdhsa_user_sgpr_count 2
		.amdhsa_user_sgpr_dispatch_ptr 0
		.amdhsa_user_sgpr_queue_ptr 0
		.amdhsa_user_sgpr_kernarg_segment_ptr 1
		.amdhsa_user_sgpr_dispatch_id 0
		.amdhsa_user_sgpr_kernarg_preload_length 0
		.amdhsa_user_sgpr_kernarg_preload_offset 0
		.amdhsa_user_sgpr_private_segment_size 0
		.amdhsa_uses_dynamic_stack 0
		.amdhsa_enable_private_segment 0
		.amdhsa_system_sgpr_workgroup_id_x 1
		.amdhsa_system_sgpr_workgroup_id_y 0
		.amdhsa_system_sgpr_workgroup_id_z 0
		.amdhsa_system_sgpr_workgroup_info 0
		.amdhsa_system_vgpr_workitem_id 0
		.amdhsa_next_free_vgpr 104
		.amdhsa_next_free_sgpr 31
		.amdhsa_accum_offset 104
		.amdhsa_reserve_vcc 1
		.amdhsa_float_round_mode_32 0
		.amdhsa_float_round_mode_16_64 0
		.amdhsa_float_denorm_mode_32 3
		.amdhsa_float_denorm_mode_16_64 3
		.amdhsa_dx10_clamp 1
		.amdhsa_ieee_mode 1
		.amdhsa_fp16_overflow 0
		.amdhsa_tg_split 0
		.amdhsa_exception_fp_ieee_invalid_op 0
		.amdhsa_exception_fp_denorm_src 0
		.amdhsa_exception_fp_ieee_div_zero 0
		.amdhsa_exception_fp_ieee_overflow 0
		.amdhsa_exception_fp_ieee_underflow 0
		.amdhsa_exception_fp_ieee_inexact 0
		.amdhsa_exception_int_div_zero 0
	.end_amdhsa_kernel
	.section	.text._ZN9rocsparseL18bsrxmvn_4x4_kernelILj128ELj32E21rocsparse_complex_numIfEliS2_S2_S2_EEvT3_20rocsparse_direction_NS_24const_host_device_scalarIT1_EES3_PKS3_PKT2_SC_S9_PKT4_PKT5_S7_PT6_21rocsparse_index_base_b,"axG",@progbits,_ZN9rocsparseL18bsrxmvn_4x4_kernelILj128ELj32E21rocsparse_complex_numIfEliS2_S2_S2_EEvT3_20rocsparse_direction_NS_24const_host_device_scalarIT1_EES3_PKS3_PKT2_SC_S9_PKT4_PKT5_S7_PT6_21rocsparse_index_base_b,comdat
.Lfunc_end33:
	.size	_ZN9rocsparseL18bsrxmvn_4x4_kernelILj128ELj32E21rocsparse_complex_numIfEliS2_S2_S2_EEvT3_20rocsparse_direction_NS_24const_host_device_scalarIT1_EES3_PKS3_PKT2_SC_S9_PKT4_PKT5_S7_PT6_21rocsparse_index_base_b, .Lfunc_end33-_ZN9rocsparseL18bsrxmvn_4x4_kernelILj128ELj32E21rocsparse_complex_numIfEliS2_S2_S2_EEvT3_20rocsparse_direction_NS_24const_host_device_scalarIT1_EES3_PKS3_PKT2_SC_S9_PKT4_PKT5_S7_PT6_21rocsparse_index_base_b
                                        ; -- End function
	.set _ZN9rocsparseL18bsrxmvn_4x4_kernelILj128ELj32E21rocsparse_complex_numIfEliS2_S2_S2_EEvT3_20rocsparse_direction_NS_24const_host_device_scalarIT1_EES3_PKS3_PKT2_SC_S9_PKT4_PKT5_S7_PT6_21rocsparse_index_base_b.num_vgpr, 104
	.set _ZN9rocsparseL18bsrxmvn_4x4_kernelILj128ELj32E21rocsparse_complex_numIfEliS2_S2_S2_EEvT3_20rocsparse_direction_NS_24const_host_device_scalarIT1_EES3_PKS3_PKT2_SC_S9_PKT4_PKT5_S7_PT6_21rocsparse_index_base_b.num_agpr, 0
	.set _ZN9rocsparseL18bsrxmvn_4x4_kernelILj128ELj32E21rocsparse_complex_numIfEliS2_S2_S2_EEvT3_20rocsparse_direction_NS_24const_host_device_scalarIT1_EES3_PKS3_PKT2_SC_S9_PKT4_PKT5_S7_PT6_21rocsparse_index_base_b.numbered_sgpr, 31
	.set _ZN9rocsparseL18bsrxmvn_4x4_kernelILj128ELj32E21rocsparse_complex_numIfEliS2_S2_S2_EEvT3_20rocsparse_direction_NS_24const_host_device_scalarIT1_EES3_PKS3_PKT2_SC_S9_PKT4_PKT5_S7_PT6_21rocsparse_index_base_b.num_named_barrier, 0
	.set _ZN9rocsparseL18bsrxmvn_4x4_kernelILj128ELj32E21rocsparse_complex_numIfEliS2_S2_S2_EEvT3_20rocsparse_direction_NS_24const_host_device_scalarIT1_EES3_PKS3_PKT2_SC_S9_PKT4_PKT5_S7_PT6_21rocsparse_index_base_b.private_seg_size, 0
	.set _ZN9rocsparseL18bsrxmvn_4x4_kernelILj128ELj32E21rocsparse_complex_numIfEliS2_S2_S2_EEvT3_20rocsparse_direction_NS_24const_host_device_scalarIT1_EES3_PKS3_PKT2_SC_S9_PKT4_PKT5_S7_PT6_21rocsparse_index_base_b.uses_vcc, 1
	.set _ZN9rocsparseL18bsrxmvn_4x4_kernelILj128ELj32E21rocsparse_complex_numIfEliS2_S2_S2_EEvT3_20rocsparse_direction_NS_24const_host_device_scalarIT1_EES3_PKS3_PKT2_SC_S9_PKT4_PKT5_S7_PT6_21rocsparse_index_base_b.uses_flat_scratch, 0
	.set _ZN9rocsparseL18bsrxmvn_4x4_kernelILj128ELj32E21rocsparse_complex_numIfEliS2_S2_S2_EEvT3_20rocsparse_direction_NS_24const_host_device_scalarIT1_EES3_PKS3_PKT2_SC_S9_PKT4_PKT5_S7_PT6_21rocsparse_index_base_b.has_dyn_sized_stack, 0
	.set _ZN9rocsparseL18bsrxmvn_4x4_kernelILj128ELj32E21rocsparse_complex_numIfEliS2_S2_S2_EEvT3_20rocsparse_direction_NS_24const_host_device_scalarIT1_EES3_PKS3_PKT2_SC_S9_PKT4_PKT5_S7_PT6_21rocsparse_index_base_b.has_recursion, 0
	.set _ZN9rocsparseL18bsrxmvn_4x4_kernelILj128ELj32E21rocsparse_complex_numIfEliS2_S2_S2_EEvT3_20rocsparse_direction_NS_24const_host_device_scalarIT1_EES3_PKS3_PKT2_SC_S9_PKT4_PKT5_S7_PT6_21rocsparse_index_base_b.has_indirect_call, 0
	.section	.AMDGPU.csdata,"",@progbits
; Kernel info:
; codeLenInByte = 7424
; TotalNumSgprs: 37
; NumVgprs: 104
; NumAgprs: 0
; TotalNumVgprs: 104
; ScratchSize: 0
; MemoryBound: 0
; FloatMode: 240
; IeeeMode: 1
; LDSByteSize: 0 bytes/workgroup (compile time only)
; SGPRBlocks: 4
; VGPRBlocks: 12
; NumSGPRsForWavesPerEU: 37
; NumVGPRsForWavesPerEU: 104
; AccumOffset: 104
; Occupancy: 4
; WaveLimiterHint : 1
; COMPUTE_PGM_RSRC2:SCRATCH_EN: 0
; COMPUTE_PGM_RSRC2:USER_SGPR: 2
; COMPUTE_PGM_RSRC2:TRAP_HANDLER: 0
; COMPUTE_PGM_RSRC2:TGID_X_EN: 1
; COMPUTE_PGM_RSRC2:TGID_Y_EN: 0
; COMPUTE_PGM_RSRC2:TGID_Z_EN: 0
; COMPUTE_PGM_RSRC2:TIDIG_COMP_CNT: 0
; COMPUTE_PGM_RSRC3_GFX90A:ACCUM_OFFSET: 25
; COMPUTE_PGM_RSRC3_GFX90A:TG_SPLIT: 0
	.section	.text._ZN9rocsparseL18bsrxmvn_4x4_kernelILj128ELj64E21rocsparse_complex_numIfEliS2_S2_S2_EEvT3_20rocsparse_direction_NS_24const_host_device_scalarIT1_EES3_PKS3_PKT2_SC_S9_PKT4_PKT5_S7_PT6_21rocsparse_index_base_b,"axG",@progbits,_ZN9rocsparseL18bsrxmvn_4x4_kernelILj128ELj64E21rocsparse_complex_numIfEliS2_S2_S2_EEvT3_20rocsparse_direction_NS_24const_host_device_scalarIT1_EES3_PKS3_PKT2_SC_S9_PKT4_PKT5_S7_PT6_21rocsparse_index_base_b,comdat
	.globl	_ZN9rocsparseL18bsrxmvn_4x4_kernelILj128ELj64E21rocsparse_complex_numIfEliS2_S2_S2_EEvT3_20rocsparse_direction_NS_24const_host_device_scalarIT1_EES3_PKS3_PKT2_SC_S9_PKT4_PKT5_S7_PT6_21rocsparse_index_base_b ; -- Begin function _ZN9rocsparseL18bsrxmvn_4x4_kernelILj128ELj64E21rocsparse_complex_numIfEliS2_S2_S2_EEvT3_20rocsparse_direction_NS_24const_host_device_scalarIT1_EES3_PKS3_PKT2_SC_S9_PKT4_PKT5_S7_PT6_21rocsparse_index_base_b
	.p2align	8
	.type	_ZN9rocsparseL18bsrxmvn_4x4_kernelILj128ELj64E21rocsparse_complex_numIfEliS2_S2_S2_EEvT3_20rocsparse_direction_NS_24const_host_device_scalarIT1_EES3_PKS3_PKT2_SC_S9_PKT4_PKT5_S7_PT6_21rocsparse_index_base_b,@function
_ZN9rocsparseL18bsrxmvn_4x4_kernelILj128ELj64E21rocsparse_complex_numIfEliS2_S2_S2_EEvT3_20rocsparse_direction_NS_24const_host_device_scalarIT1_EES3_PKS3_PKT2_SC_S9_PKT4_PKT5_S7_PT6_21rocsparse_index_base_b: ; @_ZN9rocsparseL18bsrxmvn_4x4_kernelILj128ELj64E21rocsparse_complex_numIfEliS2_S2_S2_EEvT3_20rocsparse_direction_NS_24const_host_device_scalarIT1_EES3_PKS3_PKT2_SC_S9_PKT4_PKT5_S7_PT6_21rocsparse_index_base_b
; %bb.0:
	s_load_dwordx2 s[4:5], s[0:1], 0x8
	s_load_dwordx2 s[16:17], s[0:1], 0x58
	s_add_u32 s3, s0, 8
	s_addc_u32 s8, s1, 0
	s_load_dwordx2 s[6:7], s[0:1], 0x48
	s_add_u32 s9, s0, 0x48
	s_addc_u32 s10, s1, 0
	s_waitcnt lgkmcnt(0)
	s_bitcmp1_b32 s17, 0
	s_cselect_b32 s3, s3, s4
	s_cselect_b32 s5, s8, s5
	v_mov_b32_e32 v2, s3
	s_cselect_b32 s3, s10, s7
	s_cselect_b32 s4, s9, s6
	v_mov_b32_e32 v3, s5
	v_mov_b32_e32 v4, s4
	v_mov_b32_e32 v5, s3
	flat_load_dwordx2 v[44:45], v[2:3]
	flat_load_dwordx2 v[46:47], v[4:5]
	s_waitcnt vmcnt(0) lgkmcnt(0)
	v_cmp_neq_f32_e32 vcc, 0, v44
	v_cmp_neq_f32_e64 s[4:5], 0, v45
	v_cmp_neq_f32_e64 s[8:9], 1.0, v46
	v_cmp_neq_f32_e64 s[6:7], 0, v47
	s_or_b64 s[4:5], vcc, s[4:5]
	s_or_b64 s[8:9], s[8:9], s[6:7]
	s_or_b64 s[4:5], s[4:5], s[8:9]
	s_and_saveexec_b64 s[8:9], s[4:5]
	s_cbranch_execz .LBB34_6
; %bb.1:
	s_load_dwordx2 s[8:9], s[0:1], 0x18
	s_load_dwordx2 s[4:5], s[0:1], 0x0
	v_lshrrev_b32_e32 v1, 6, v0
	v_lshl_or_b32 v48, s2, 1, v1
	s_mov_b64 s[2:3], 0
	s_waitcnt lgkmcnt(0)
	s_cmp_lg_u64 s[8:9], 0
	s_cbranch_scc0 .LBB34_7
; %bb.2:
	s_load_dword s10, s[0:1], 0x10
                                        ; implicit-def: $vgpr1
	s_waitcnt lgkmcnt(0)
	v_cmp_gt_i32_e32 vcc, s10, v48
	s_and_saveexec_b64 s[10:11], vcc
	s_xor_b64 s[10:11], exec, s[10:11]
	s_cbranch_execz .LBB34_4
; %bb.3:
	v_ashrrev_i32_e32 v49, 31, v48
	v_lshl_add_u64 v[2:3], v[48:49], 2, s[8:9]
	global_load_dword v1, v[2:3], off
	s_mov_b64 s[2:3], exec
	s_waitcnt vmcnt(0)
	v_subrev_u32_e32 v1, s16, v1
.LBB34_4:
	s_or_b64 exec, exec, s[10:11]
	s_branch .LBB34_8
.LBB34_5:
	v_cmp_gt_i32_e32 vcc, s4, v48
	s_andn2_b64 s[2:3], s[2:3], exec
	s_and_b64 s[8:9], vcc, exec
	s_or_b64 s[2:3], s[2:3], s[8:9]
	s_and_b64 exec, exec, s[2:3]
	s_cbranch_execnz .LBB34_9
.LBB34_6:
	s_endpgm
.LBB34_7:
                                        ; implicit-def: $vgpr1
	s_cbranch_execnz .LBB34_5
.LBB34_8:
	v_mov_b32_e32 v48, v1
	s_and_b64 exec, exec, s[2:3]
	s_cbranch_execz .LBB34_6
.LBB34_9:
	s_load_dwordx8 s[8:15], s[0:1], 0x20
	v_ashrrev_i32_e32 v49, 31, v48
	v_lshlrev_b64 v[2:3], 3, v[48:49]
	s_load_dwordx2 s[2:3], s[0:1], 0x40
	v_and_b32_e32 v50, 63, v0
	s_waitcnt lgkmcnt(0)
	v_lshl_add_u64 v[4:5], s[8:9], 0, v[2:3]
	s_cmp_eq_u64 s[10:11], 0
	v_lshl_add_u64 v[2:3], s[10:11], 0, v[2:3]
	global_load_dwordx2 v[28:29], v[4:5], off
	v_lshl_add_u64 v[4:5], v[4:5], 0, 8
	s_cselect_b64 vcc, -1, 0
	v_cndmask_b32_e32 v3, v3, v5, vcc
	v_cndmask_b32_e32 v2, v2, v4, vcc
	global_load_dwordx2 v[2:3], v[2:3], off
	v_mov_b32_e32 v51, 0
	s_cmp_eq_u32 s5, 1
	s_waitcnt vmcnt(1)
	v_subrev_co_u32_e32 v0, vcc, s16, v28
	s_nop 1
	v_subbrev_co_u32_e32 v1, vcc, 0, v29, vcc
	v_lshl_add_u64 v[52:53], v[0:1], 0, v[50:51]
	s_waitcnt vmcnt(0)
	v_subrev_co_u32_e32 v54, vcc, s16, v2
	v_lshlrev_b64 v[0:1], 7, v[52:53]
	s_nop 0
	v_subbrev_co_u32_e32 v55, vcc, 0, v3, vcc
	v_lshl_add_u64 v[56:57], s[14:15], 0, v[0:1]
	v_cmp_lt_i64_e64 s[4:5], v[52:53], v[54:55]
	s_cbranch_scc1 .LBB34_21
; %bb.10:
	v_mov_b32_e32 v64, v51
	v_mov_b32_e32 v59, v51
	;; [unrolled: 1-line block ×7, first 2 shown]
	s_and_saveexec_b64 s[8:9], s[4:5]
	s_cbranch_execz .LBB34_20
; %bb.11:
	v_or_b32_e32 v0, 64, v50
	v_subrev_co_u32_e32 v0, vcc, s16, v0
	v_not_b32_e32 v3, v29
	s_nop 0
	v_subb_co_u32_e64 v1, s[10:11], 0, 0, vcc
	v_lshl_add_u64 v[0:1], v[0:1], 0, v[28:29]
	v_cmp_gt_i64_e32 vcc, v[0:1], v[54:55]
	v_not_b32_e32 v2, v28
	v_mov_b32_e32 v63, 0
	v_cndmask_b32_e32 v1, v55, v1, vcc
	v_cndmask_b32_e32 v0, v54, v0, vcc
	v_sub_co_u32_e32 v4, vcc, s16, v50
	v_mov_b32_e32 v61, v63
	s_nop 0
	v_subb_co_u32_e64 v5, s[10:11], 0, 0, vcc
	v_lshl_add_u64 v[2:3], v[4:5], 0, v[2:3]
	v_lshl_add_u64 v[0:1], v[2:3], 0, v[0:1]
	v_and_b32_e32 v62, 0xc0, v0
	s_mov_b64 s[10:11], 0xc0
	v_cmp_ne_u64_e32 vcc, s[10:11], v[62:63]
	v_mov_b32_e32 v62, v63
	v_mov_b32_e32 v60, v63
	;; [unrolled: 1-line block ×6, first 2 shown]
	v_mov_b64_e32 v[30:31], v[56:57]
	v_mov_b64_e32 v[32:33], v[52:53]
	s_and_saveexec_b64 s[10:11], vcc
	s_cbranch_execz .LBB34_15
; %bb.12:
	v_lshrrev_b32_e32 v2, 6, v0
	v_add_u32_e32 v2, 1, v2
	v_and_b32_e32 v4, 3, v2
	v_sub_co_u32_e32 v4, vcc, 0, v4
	v_mov_b32_e32 v62, 0
	s_nop 0
	v_subb_co_u32_e64 v5, s[18:19], 0, 0, vcc
	v_lshl_add_u64 v[2:3], v[52:53], 2, s[12:13]
	s_mov_b64 s[14:15], 0
	s_mov_b64 s[18:19], 0x2000
	;; [unrolled: 1-line block ×3, first 2 shown]
	v_mov_b64_e32 v[32:33], v[52:53]
	v_mov_b64_e32 v[30:31], v[56:57]
	v_mov_b32_e32 v63, v62
	v_mov_b32_e32 v60, v62
	v_mov_b32_e32 v61, v62
	v_mov_b32_e32 v58, v62
	v_mov_b32_e32 v59, v62
	v_mov_b32_e32 v64, v62
	v_mov_b32_e32 v65, v62
.LBB34_13:                              ; =>This Inner Loop Header: Depth=1
	global_load_dword v26, v[2:3], off
	global_load_dwordx4 v[6:9], v[30:31], off
	global_load_dwordx4 v[10:13], v[30:31], off offset:16
	global_load_dwordx4 v[14:17], v[30:31], off offset:32
	;; [unrolled: 1-line block ×7, first 2 shown]
	v_lshl_add_u64 v[4:5], v[4:5], 0, 1
	v_cmp_eq_u64_e32 vcc, 0, v[4:5]
	v_lshl_add_u64 v[30:31], v[30:31], 0, s[18:19]
	v_lshl_add_u64 v[32:33], v[32:33], 0, 64
	;; [unrolled: 1-line block ×3, first 2 shown]
	s_or_b64 s[14:15], vcc, s[14:15]
	s_waitcnt vmcnt(8)
	v_subrev_u32_e32 v26, s16, v26
	v_lshlrev_b32_e32 v26, 2, v26
	v_ashrrev_i32_e32 v27, 31, v26
	v_lshl_add_u64 v[26:27], v[26:27], 3, s[2:3]
	global_load_dwordx4 v[70:73], v[26:27], off
	global_load_dwordx4 v[74:77], v[26:27], off offset:16
	s_waitcnt vmcnt(9)
	v_xor_b32_e32 v26, 0x80000000, v9
	v_mov_b32_e32 v27, v8
	s_waitcnt vmcnt(7)
	v_xor_b32_e32 v78, 0x80000000, v17
	v_mov_b32_e32 v79, v16
	;; [unrolled: 3-line block ×4, first 2 shown]
	v_xor_b32_e32 v42, 0x80000000, v13
	v_mov_b32_e32 v43, v12
	v_xor_b32_e32 v80, 0x80000000, v21
	v_mov_b32_e32 v81, v20
	;; [unrolled: 2-line block ×4, first 2 shown]
	s_waitcnt vmcnt(1)
	v_pk_fma_f32 v[64:65], v[6:7], v[70:71], v[64:65] op_sel_hi:[1,0,1]
	v_pk_fma_f32 v[62:63], v[14:15], v[70:71], v[62:63] op_sel_hi:[1,0,1]
	;; [unrolled: 1-line block ×4, first 2 shown]
	v_pk_fma_f32 v[6:7], v[6:7], v[70:71], v[64:65] op_sel:[1,1,0] op_sel_hi:[0,1,1] neg_lo:[1,0,0]
	v_pk_fma_f32 v[14:15], v[14:15], v[70:71], v[62:63] op_sel:[1,1,0] op_sel_hi:[0,1,1] neg_lo:[1,0,0]
	;; [unrolled: 1-line block ×4, first 2 shown]
	v_mov_b32_e32 v90, v73
	v_pk_fma_f32 v[6:7], v[8:9], v[72:73], v[6:7] op_sel_hi:[1,0,1]
	v_pk_fma_f32 v[8:9], v[16:17], v[72:73], v[14:15] op_sel_hi:[1,0,1]
	;; [unrolled: 1-line block ×8, first 2 shown]
	s_waitcnt vmcnt(0)
	v_pk_fma_f32 v[6:7], v[10:11], v[74:75], v[6:7] op_sel_hi:[1,0,1]
	v_pk_fma_f32 v[8:9], v[18:19], v[74:75], v[8:9] op_sel_hi:[1,0,1]
	v_pk_fma_f32 v[14:15], v[34:35], v[74:75], v[14:15] op_sel_hi:[1,0,1]
	v_pk_fma_f32 v[16:17], v[38:39], v[74:75], v[16:17] op_sel_hi:[1,0,1]
	v_pk_fma_f32 v[6:7], v[10:11], v[74:75], v[6:7] op_sel:[1,1,0] op_sel_hi:[0,1,1] neg_lo:[1,0,0]
	v_pk_fma_f32 v[8:9], v[18:19], v[74:75], v[8:9] op_sel:[1,1,0] op_sel_hi:[0,1,1] neg_lo:[1,0,0]
	;; [unrolled: 1-line block ×4, first 2 shown]
	v_mov_b32_e32 v92, v77
	v_pk_fma_f32 v[6:7], v[12:13], v[76:77], v[6:7] op_sel_hi:[1,0,1]
	v_pk_fma_f32 v[8:9], v[20:21], v[76:77], v[8:9] op_sel_hi:[1,0,1]
	;; [unrolled: 1-line block ×8, first 2 shown]
	s_andn2_b64 exec, exec, s[14:15]
	s_cbranch_execnz .LBB34_13
; %bb.14:
	s_or_b64 exec, exec, s[14:15]
.LBB34_15:
	s_or_b64 exec, exec, s[10:11]
	s_mov_b64 s[10:11], 0xbf
	v_cmp_lt_u64_e32 vcc, s[10:11], v[0:1]
	s_and_saveexec_b64 s[10:11], vcc
	s_cbranch_execz .LBB34_19
; %bb.16:
	v_lshl_add_u64 v[0:1], v[32:33], 2, s[12:13]
	s_mov_b64 s[14:15], 0x200
	v_lshl_add_u64 v[34:35], v[0:1], 0, s[14:15]
	s_mov_b64 s[14:15], 0
	s_mov_b64 s[18:19], 0x2000
	s_movk_i32 s17, 0x2000
	s_mov_b64 s[20:21], 0x4000
	s_movk_i32 s30, 0x4000
	;; [unrolled: 2-line block ×3, first 2 shown]
	s_mov_b64 s[24:25], 0x100
	s_mov_b64 s[26:27], 0x400
	;; [unrolled: 1-line block ×3, first 2 shown]
.LBB34_17:                              ; =>This Inner Loop Header: Depth=1
	global_load_dword v0, v[34:35], off offset:-512
	v_add_co_u32_e32 v70, vcc, s17, v30
	v_lshl_add_u64 v[84:85], v[30:31], 0, s[18:19]
	s_nop 0
	v_addc_co_u32_e32 v71, vcc, 0, v31, vcc
	v_lshl_add_u64 v[32:33], v[32:33], 0, s[24:25]
	s_waitcnt vmcnt(0)
	v_subrev_u32_e32 v0, s16, v0
	v_lshlrev_b32_e32 v0, 2, v0
	v_ashrrev_i32_e32 v1, 31, v0
	v_lshl_add_u64 v[4:5], v[0:1], 3, s[2:3]
	global_load_dwordx4 v[0:3], v[4:5], off offset:16
	global_load_dwordx4 v[12:15], v[4:5], off
	global_load_dword v6, v[34:35], off offset:-256
	s_waitcnt vmcnt(2)
	v_mov_b32_e32 v82, v3
	s_waitcnt vmcnt(1)
	v_mov_b32_e32 v80, v15
	s_waitcnt vmcnt(0)
	v_subrev_u32_e32 v4, s16, v6
	v_lshlrev_b32_e32 v4, 2, v4
	v_ashrrev_i32_e32 v5, 31, v4
	v_lshl_add_u64 v[40:41], v[4:5], 3, s[2:3]
	global_load_dwordx4 v[4:7], v[40:41], off offset:16
	global_load_dwordx4 v[8:11], v[40:41], off
	global_load_dwordx4 v[24:27], v[30:31], off offset:48
	global_load_dwordx4 v[36:39], v[30:31], off offset:32
	;; [unrolled: 1-line block ×3, first 2 shown]
	global_load_dwordx4 v[20:23], v[30:31], off
	s_waitcnt vmcnt(2)
	v_pk_fma_f32 v[62:63], v[36:37], v[12:13], v[62:63] op_sel_hi:[1,0,1]
	s_nop 0
	v_pk_fma_f32 v[36:37], v[36:37], v[12:13], v[62:63] op_sel:[1,1,0] op_sel_hi:[0,1,1] neg_lo:[1,0,0]
	s_waitcnt vmcnt(0)
	v_pk_fma_f32 v[40:41], v[20:21], v[12:13], v[64:65] op_sel_hi:[1,0,1]
	v_xor_b32_e32 v62, 0x80000000, v39
	v_pk_fma_f32 v[20:21], v[20:21], v[12:13], v[40:41] op_sel:[1,1,0] op_sel_hi:[0,1,1] neg_lo:[1,0,0]
	v_xor_b32_e32 v40, 0x80000000, v23
	v_pk_fma_f32 v[20:21], v[22:23], v[14:15], v[20:21] op_sel_hi:[1,0,1]
	v_mov_b32_e32 v41, v22
	v_pk_fma_f32 v[20:21], v[40:41], v[80:81], v[20:21] op_sel_hi:[1,0,1]
	v_pk_fma_f32 v[36:37], v[38:39], v[14:15], v[36:37] op_sel_hi:[1,0,1]
	;; [unrolled: 1-line block ×3, first 2 shown]
	v_mov_b32_e32 v63, v38
	v_pk_fma_f32 v[16:17], v[16:17], v[0:1], v[20:21] op_sel:[1,1,0] op_sel_hi:[0,1,1] neg_lo:[1,0,0]
	v_xor_b32_e32 v20, 0x80000000, v19
	v_pk_fma_f32 v[16:17], v[18:19], v[2:3], v[16:17] op_sel_hi:[1,0,1]
	v_mov_b32_e32 v21, v18
	v_pk_fma_f32 v[68:69], v[20:21], v[82:83], v[16:17] op_sel_hi:[1,0,1]
	global_load_dwordx4 v[40:43], v[70:71], off
	global_load_dwordx4 v[16:19], v[84:85], off offset:48
	global_load_dwordx4 v[20:23], v[84:85], off offset:32
	;; [unrolled: 1-line block ×3, first 2 shown]
	v_pk_fma_f32 v[36:37], v[62:63], v[80:81], v[36:37] op_sel_hi:[1,0,1]
	s_waitcnt vmcnt(3)
	v_pk_fma_f32 v[68:69], v[40:41], v[8:9], v[68:69] op_sel_hi:[1,0,1]
	v_pk_fma_f32 v[36:37], v[24:25], v[0:1], v[36:37] op_sel_hi:[1,0,1]
	v_pk_fma_f32 v[40:41], v[40:41], v[8:9], v[68:69] op_sel:[1,1,0] op_sel_hi:[0,1,1] neg_lo:[1,0,0]
	v_pk_fma_f32 v[24:25], v[24:25], v[0:1], v[36:37] op_sel:[1,1,0] op_sel_hi:[0,1,1] neg_lo:[1,0,0]
	v_xor_b32_e32 v36, 0x80000000, v27
	v_pk_fma_f32 v[24:25], v[26:27], v[2:3], v[24:25] op_sel_hi:[1,0,1]
	v_mov_b32_e32 v37, v26
	v_pk_fma_f32 v[24:25], v[36:37], v[82:83], v[24:25] op_sel_hi:[1,0,1]
	s_waitcnt vmcnt(1)
	v_pk_fma_f32 v[24:25], v[20:21], v[8:9], v[24:25] op_sel_hi:[1,0,1]
	s_nop 0
	v_pk_fma_f32 v[20:21], v[20:21], v[8:9], v[24:25] op_sel:[1,1,0] op_sel_hi:[0,1,1] neg_lo:[1,0,0]
	global_load_dwordx4 v[24:27], v[30:31], off offset:112
	global_load_dwordx4 v[36:39], v[30:31], off offset:96
	global_load_dwordx4 v[68:71], v[30:31], off offset:80
	global_load_dwordx4 v[72:75], v[30:31], off offset:64
	v_pk_fma_f32 v[20:21], v[22:23], v[10:11], v[20:21] op_sel_hi:[1,0,1]
	s_waitcnt vmcnt(2)
	v_pk_fma_f32 v[58:59], v[36:37], v[12:13], v[58:59] op_sel_hi:[1,0,1]
	s_waitcnt vmcnt(0)
	v_pk_fma_f32 v[60:61], v[72:73], v[12:13], v[60:61] op_sel_hi:[1,0,1]
	s_nop 0
	v_pk_fma_f32 v[60:61], v[72:73], v[12:13], v[60:61] op_sel:[1,1,0] op_sel_hi:[0,1,1] neg_lo:[1,0,0]
	v_xor_b32_e32 v62, 0x80000000, v75
	v_pk_fma_f32 v[60:61], v[74:75], v[14:15], v[60:61] op_sel_hi:[1,0,1]
	v_mov_b32_e32 v63, v74
	v_pk_fma_f32 v[60:61], v[62:63], v[80:81], v[60:61] op_sel_hi:[1,0,1]
	v_xor_b32_e32 v62, 0x80000000, v71
	v_pk_fma_f32 v[60:61], v[68:69], v[0:1], v[60:61] op_sel_hi:[1,0,1]
	v_mov_b32_e32 v63, v70
	v_pk_fma_f32 v[60:61], v[68:69], v[0:1], v[60:61] op_sel:[1,1,0] op_sel_hi:[0,1,1] neg_lo:[1,0,0]
	v_pk_fma_f32 v[60:61], v[70:71], v[2:3], v[60:61] op_sel_hi:[1,0,1]
	v_pk_fma_f32 v[12:13], v[36:37], v[12:13], v[58:59] op_sel:[1,1,0] op_sel_hi:[0,1,1] neg_lo:[1,0,0]
	v_pk_fma_f32 v[86:87], v[62:63], v[82:83], v[60:61] op_sel_hi:[1,0,1]
	global_load_dwordx4 v[60:63], v[84:85], off offset:112
	global_load_dwordx4 v[68:71], v[84:85], off offset:96
	;; [unrolled: 1-line block ×4, first 2 shown]
	v_xor_b32_e32 v36, 0x80000000, v39
	v_pk_fma_f32 v[12:13], v[38:39], v[14:15], v[12:13] op_sel_hi:[1,0,1]
	v_mov_b32_e32 v37, v38
	v_pk_fma_f32 v[12:13], v[36:37], v[80:81], v[12:13] op_sel_hi:[1,0,1]
	s_waitcnt vmcnt(0)
	v_pk_fma_f32 v[84:85], v[76:77], v[8:9], v[86:87] op_sel_hi:[1,0,1]
	v_pk_fma_f32 v[12:13], v[24:25], v[0:1], v[12:13] op_sel_hi:[1,0,1]
	v_pk_fma_f32 v[76:77], v[76:77], v[8:9], v[84:85] op_sel:[1,1,0] op_sel_hi:[0,1,1] neg_lo:[1,0,0]
	v_pk_fma_f32 v[0:1], v[24:25], v[0:1], v[12:13] op_sel:[1,1,0] op_sel_hi:[0,1,1] neg_lo:[1,0,0]
	v_xor_b32_e32 v12, 0x80000000, v27
	v_pk_fma_f32 v[0:1], v[26:27], v[2:3], v[0:1] op_sel_hi:[1,0,1]
	v_mov_b32_e32 v13, v26
	v_pk_fma_f32 v[0:1], v[12:13], v[82:83], v[0:1] op_sel_hi:[1,0,1]
	v_pk_fma_f32 v[12:13], v[42:43], v[10:11], v[40:41] op_sel_hi:[1,0,1]
	;; [unrolled: 1-line block ×3, first 2 shown]
	v_mov_b32_e32 v84, v7
	v_pk_fma_f32 v[58:59], v[68:69], v[8:9], v[0:1] op_sel:[1,1,0] op_sel_hi:[0,1,1] neg_lo:[1,0,0]
	global_load_dword v0, v[34:35], off
	v_mov_b32_e32 v68, v11
	v_lshl_add_u64 v[86:87], v[30:31], 0, s[20:21]
	s_waitcnt vmcnt(0)
	v_subrev_u32_e32 v0, s16, v0
	v_lshlrev_b32_e32 v0, 2, v0
	v_ashrrev_i32_e32 v1, 31, v0
	v_lshl_add_u64 v[8:9], v[0:1], 3, s[2:3]
	global_load_dwordx4 v[0:3], v[8:9], off offset:16
	global_load_dwordx4 v[80:83], v[8:9], off
	v_xor_b32_e32 v8, 0x80000000, v43
	v_mov_b32_e32 v9, v42
	v_pk_fma_f32 v[8:9], v[8:9], v[68:69], v[12:13] op_sel_hi:[1,0,1]
	v_xor_b32_e32 v12, 0x80000000, v67
	v_pk_fma_f32 v[8:9], v[64:65], v[4:5], v[8:9] op_sel_hi:[1,0,1]
	v_mov_b32_e32 v13, v66
	v_pk_fma_f32 v[8:9], v[64:65], v[4:5], v[8:9] op_sel:[1,1,0] op_sel_hi:[0,1,1] neg_lo:[1,0,0]
	v_add_co_u32_e32 v64, vcc, s30, v30
	v_pk_fma_f32 v[8:9], v[66:67], v[6:7], v[8:9] op_sel_hi:[1,0,1]
	s_nop 0
	v_addc_co_u32_e32 v65, vcc, 0, v31, vcc
	v_pk_fma_f32 v[8:9], v[12:13], v[84:85], v[8:9] op_sel_hi:[1,0,1]
	global_load_dwordx4 v[36:39], v[64:65], off
	global_load_dwordx4 v[12:15], v[86:87], off offset:48
	global_load_dwordx4 v[40:43], v[86:87], off offset:32
	;; [unrolled: 1-line block ×3, first 2 shown]
	s_waitcnt vmcnt(4)
	v_mov_b32_e32 v88, v83
	s_waitcnt vmcnt(3)
	v_pk_fma_f32 v[8:9], v[36:37], v[80:81], v[8:9] op_sel_hi:[1,0,1]
	s_nop 0
	v_pk_fma_f32 v[8:9], v[36:37], v[80:81], v[8:9] op_sel:[1,1,0] op_sel_hi:[0,1,1] neg_lo:[1,0,0]
	v_xor_b32_e32 v36, 0x80000000, v39
	v_pk_fma_f32 v[8:9], v[38:39], v[82:83], v[8:9] op_sel_hi:[1,0,1]
	v_mov_b32_e32 v37, v38
	v_pk_fma_f32 v[8:9], v[36:37], v[88:89], v[8:9] op_sel_hi:[1,0,1]
	s_waitcnt vmcnt(0)
	v_xor_b32_e32 v90, 0x80000000, v25
	v_pk_fma_f32 v[92:93], v[24:25], v[0:1], v[8:9] op_sel_hi:[1,0,1]
	v_xor_b32_e32 v8, 0x80000000, v23
	v_mov_b32_e32 v9, v22
	v_pk_fma_f32 v[8:9], v[8:9], v[68:69], v[20:21] op_sel_hi:[1,0,1]
	v_mov_b32_e32 v91, v24
	v_pk_fma_f32 v[8:9], v[16:17], v[4:5], v[8:9] op_sel_hi:[1,0,1]
	v_xor_b32_e32 v24, 0x80000000, v27
	v_pk_fma_f32 v[8:9], v[16:17], v[4:5], v[8:9] op_sel:[1,1,0] op_sel_hi:[0,1,1] neg_lo:[1,0,0]
	v_xor_b32_e32 v16, 0x80000000, v19
	v_pk_fma_f32 v[8:9], v[18:19], v[6:7], v[8:9] op_sel_hi:[1,0,1]
	v_mov_b32_e32 v17, v18
	v_pk_fma_f32 v[8:9], v[16:17], v[84:85], v[8:9] op_sel_hi:[1,0,1]
	v_xor_b32_e32 v16, 0x80000000, v43
	v_pk_fma_f32 v[8:9], v[40:41], v[80:81], v[8:9] op_sel_hi:[1,0,1]
	v_mov_b32_e32 v17, v42
	v_pk_fma_f32 v[8:9], v[40:41], v[80:81], v[8:9] op_sel:[1,1,0] op_sel_hi:[0,1,1] neg_lo:[1,0,0]
	v_pk_fma_f32 v[8:9], v[42:43], v[82:83], v[8:9] op_sel_hi:[1,0,1]
	v_pk_fma_f32 v[18:19], v[78:79], v[10:11], v[76:77] op_sel_hi:[1,0,1]
	;; [unrolled: 1-line block ×5, first 2 shown]
	v_xor_b32_e32 v16, 0x80000000, v79
	v_mov_b32_e32 v17, v78
	v_pk_fma_f32 v[16:17], v[16:17], v[68:69], v[18:19] op_sel_hi:[1,0,1]
	v_xor_b32_e32 v18, 0x80000000, v75
	v_pk_fma_f32 v[16:17], v[72:73], v[4:5], v[16:17] op_sel_hi:[1,0,1]
	v_mov_b32_e32 v19, v74
	v_pk_fma_f32 v[16:17], v[72:73], v[4:5], v[16:17] op_sel:[1,1,0] op_sel_hi:[0,1,1] neg_lo:[1,0,0]
	v_pk_fma_f32 v[16:17], v[74:75], v[6:7], v[16:17] op_sel_hi:[1,0,1]
	v_mov_b32_e32 v25, v26
	v_pk_fma_f32 v[42:43], v[18:19], v[84:85], v[16:17] op_sel_hi:[1,0,1]
	global_load_dwordx4 v[16:19], v[86:87], off offset:112
	global_load_dwordx4 v[64:67], v[86:87], off offset:96
	;; [unrolled: 1-line block ×4, first 2 shown]
	v_lshl_add_u64 v[78:79], v[30:31], 0, s[22:23]
	v_xor_b32_e32 v8, 0x80000000, v13
	v_mov_b32_e32 v9, v12
	v_pk_fma_f32 v[8:9], v[8:9], v[0:1], v[36:37] op_sel:[0,1,0]
	s_waitcnt vmcnt(0)
	v_pk_fma_f32 v[42:43], v[38:39], v[80:81], v[42:43] op_sel_hi:[1,0,1]
	s_nop 0
	v_pk_fma_f32 v[38:39], v[38:39], v[80:81], v[42:43] op_sel:[1,1,0] op_sel_hi:[0,1,1] neg_lo:[1,0,0]
	v_xor_b32_e32 v42, 0x80000000, v41
	v_pk_fma_f32 v[38:39], v[40:41], v[82:83], v[38:39] op_sel_hi:[1,0,1]
	v_mov_b32_e32 v43, v40
	v_pk_fma_f32 v[40:41], v[42:43], v[88:89], v[38:39] op_sel_hi:[1,0,1]
	v_xor_b32_e32 v42, 0x80000000, v71
	v_mov_b32_e32 v43, v70
	v_pk_fma_f32 v[10:11], v[42:43], v[68:69], v[10:11] op_sel_hi:[1,0,1]
	v_mov_b32_e32 v42, v3
	v_pk_fma_f32 v[10:11], v[60:61], v[4:5], v[10:11] op_sel_hi:[1,0,1]
	v_pk_fma_f32 v[8:9], v[14:15], v[2:3], v[8:9] op_sel_hi:[1,0,1]
	v_pk_fma_f32 v[4:5], v[60:61], v[4:5], v[10:11] op_sel:[1,1,0] op_sel_hi:[0,1,1] neg_lo:[1,0,0]
	v_xor_b32_e32 v10, 0x80000000, v63
	v_pk_fma_f32 v[4:5], v[62:63], v[6:7], v[4:5] op_sel_hi:[1,0,1]
	v_mov_b32_e32 v11, v62
	v_pk_fma_f32 v[4:5], v[10:11], v[84:85], v[4:5] op_sel_hi:[1,0,1]
	v_xor_b32_e32 v6, 0x80000000, v67
	v_pk_fma_f32 v[4:5], v[64:65], v[80:81], v[4:5] op_sel_hi:[1,0,1]
	v_mov_b32_e32 v7, v66
	v_pk_fma_f32 v[4:5], v[64:65], v[80:81], v[4:5] op_sel:[1,1,0] op_sel_hi:[0,1,1] neg_lo:[1,0,0]
	v_pk_fma_f32 v[4:5], v[66:67], v[82:83], v[4:5] op_sel_hi:[1,0,1]
	v_add_co_u32_e32 v80, vcc, s31, v30
	v_pk_fma_f32 v[6:7], v[6:7], v[88:89], v[4:5] op_sel_hi:[1,0,1]
	global_load_dword v5, v[34:35], off offset:256
	v_addc_co_u32_e32 v81, vcc, 0, v31, vcc
	v_xor_b32_e32 v38, 0x80000000, v21
	v_pk_fma_f32 v[40:41], v[20:21], v[0:1], v[40:41] op_sel_hi:[1,0,1]
	v_mov_b32_e32 v39, v20
	v_xor_b32_e32 v4, 0x80000000, v17
	v_pk_fma_f32 v[6:7], v[16:17], v[0:1], v[6:7] op_sel_hi:[1,0,1]
	v_cmp_ge_i64_e32 vcc, v[32:33], v[54:55]
	v_lshl_add_u64 v[34:35], v[34:35], 0, s[26:27]
	v_lshl_add_u64 v[30:31], v[30:31], 0, s[28:29]
	s_or_b64 s[14:15], vcc, s[14:15]
	s_waitcnt vmcnt(0)
	v_subrev_u32_e32 v5, s16, v5
	v_lshlrev_b32_e32 v10, 2, v5
	v_ashrrev_i32_e32 v11, 31, v10
	v_lshl_add_u64 v[10:11], v[10:11], 3, s[2:3]
	global_load_dwordx4 v[66:69], v[10:11], off offset:16
	global_load_dwordx4 v[70:73], v[10:11], off
	v_pk_fma_f32 v[10:11], v[90:91], v[0:1], v[92:93] op_sel:[0,1,0]
	v_mov_b32_e32 v5, v16
	v_pk_fma_f32 v[10:11], v[26:27], v[2:3], v[10:11] op_sel_hi:[1,0,1]
	s_waitcnt vmcnt(1)
	v_mov_b32_e32 v82, v69
	v_pk_fma_f32 v[10:11], v[24:25], v[42:43], v[10:11] op_sel_hi:[1,0,1]
	global_load_dwordx4 v[24:27], v[80:81], off
	global_load_dwordx4 v[58:61], v[78:79], off offset:48
	global_load_dwordx4 v[74:77], v[78:79], off offset:32
	;; [unrolled: 1-line block ×3, first 2 shown]
	s_waitcnt vmcnt(4)
	v_mov_b32_e32 v80, v73
	s_waitcnt vmcnt(3)
	v_pk_fma_f32 v[10:11], v[24:25], v[70:71], v[10:11] op_sel_hi:[1,0,1]
	s_nop 0
	v_pk_fma_f32 v[10:11], v[24:25], v[70:71], v[10:11] op_sel:[1,1,0] op_sel_hi:[0,1,1] neg_lo:[1,0,0]
	v_xor_b32_e32 v24, 0x80000000, v27
	v_pk_fma_f32 v[10:11], v[26:27], v[72:73], v[10:11] op_sel_hi:[1,0,1]
	v_mov_b32_e32 v25, v26
	v_pk_fma_f32 v[10:11], v[24:25], v[80:81], v[10:11] op_sel_hi:[1,0,1]
	s_waitcnt vmcnt(0)
	v_xor_b32_e32 v24, 0x80000000, v65
	v_pk_fma_f32 v[10:11], v[62:63], v[66:67], v[10:11] op_sel_hi:[1,0,1]
	v_mov_b32_e32 v25, v64
	v_pk_fma_f32 v[10:11], v[62:63], v[66:67], v[10:11] op_sel:[1,1,0] op_sel_hi:[0,1,1] neg_lo:[1,0,0]
	v_pk_fma_f32 v[10:11], v[64:65], v[68:69], v[10:11] op_sel_hi:[1,0,1]
	s_nop 0
	v_pk_fma_f32 v[64:65], v[24:25], v[82:83], v[10:11] op_sel_hi:[1,0,1]
	v_xor_b32_e32 v10, 0x80000000, v15
	v_mov_b32_e32 v11, v14
	v_pk_fma_f32 v[8:9], v[10:11], v[42:43], v[8:9] op_sel_hi:[1,0,1]
	v_xor_b32_e32 v10, 0x80000000, v77
	v_pk_fma_f32 v[8:9], v[74:75], v[70:71], v[8:9] op_sel_hi:[1,0,1]
	v_mov_b32_e32 v11, v76
	v_pk_fma_f32 v[8:9], v[74:75], v[70:71], v[8:9] op_sel:[1,1,0] op_sel_hi:[0,1,1] neg_lo:[1,0,0]
	v_pk_fma_f32 v[8:9], v[76:77], v[72:73], v[8:9] op_sel_hi:[1,0,1]
	s_nop 0
	v_pk_fma_f32 v[8:9], v[10:11], v[80:81], v[8:9] op_sel_hi:[1,0,1]
	v_xor_b32_e32 v10, 0x80000000, v61
	v_pk_fma_f32 v[8:9], v[58:59], v[66:67], v[8:9] op_sel_hi:[1,0,1]
	v_mov_b32_e32 v11, v60
	v_pk_fma_f32 v[8:9], v[58:59], v[66:67], v[8:9] op_sel:[1,1,0] op_sel_hi:[0,1,1] neg_lo:[1,0,0]
	v_pk_fma_f32 v[8:9], v[60:61], v[68:69], v[8:9] op_sel_hi:[1,0,1]
	s_nop 0
	v_pk_fma_f32 v[62:63], v[10:11], v[82:83], v[8:9] op_sel_hi:[1,0,1]
	v_pk_fma_f32 v[8:9], v[38:39], v[0:1], v[40:41] op_sel:[0,1,0]
	v_xor_b32_e32 v10, 0x80000000, v23
	v_pk_fma_f32 v[8:9], v[22:23], v[2:3], v[8:9] op_sel_hi:[1,0,1]
	v_mov_b32_e32 v11, v22
	v_pk_fma_f32 v[36:37], v[10:11], v[42:43], v[8:9] op_sel_hi:[1,0,1]
	global_load_dwordx4 v[8:11], v[78:79], off offset:112
	global_load_dwordx4 v[12:15], v[78:79], off offset:96
	;; [unrolled: 1-line block ×4, first 2 shown]
	v_pk_fma_f32 v[0:1], v[4:5], v[0:1], v[6:7] op_sel:[0,1,0]
	v_xor_b32_e32 v4, 0x80000000, v19
	v_pk_fma_f32 v[0:1], v[18:19], v[2:3], v[0:1] op_sel_hi:[1,0,1]
	v_mov_b32_e32 v5, v18
	v_pk_fma_f32 v[0:1], v[4:5], v[42:43], v[0:1] op_sel_hi:[1,0,1]
	s_waitcnt vmcnt(2)
	v_xor_b32_e32 v2, 0x80000000, v15
	v_pk_fma_f32 v[0:1], v[12:13], v[70:71], v[0:1] op_sel_hi:[1,0,1]
	s_waitcnt vmcnt(0)
	v_pk_fma_f32 v[36:37], v[24:25], v[70:71], v[36:37] op_sel_hi:[1,0,1]
	v_pk_fma_f32 v[0:1], v[12:13], v[70:71], v[0:1] op_sel:[1,1,0] op_sel_hi:[0,1,1] neg_lo:[1,0,0]
	v_pk_fma_f32 v[24:25], v[24:25], v[70:71], v[36:37] op_sel:[1,1,0] op_sel_hi:[0,1,1] neg_lo:[1,0,0]
	v_xor_b32_e32 v36, 0x80000000, v27
	v_pk_fma_f32 v[24:25], v[26:27], v[72:73], v[24:25] op_sel_hi:[1,0,1]
	v_mov_b32_e32 v37, v26
	v_pk_fma_f32 v[0:1], v[14:15], v[72:73], v[0:1] op_sel_hi:[1,0,1]
	v_mov_b32_e32 v3, v14
	v_pk_fma_f32 v[24:25], v[36:37], v[80:81], v[24:25] op_sel_hi:[1,0,1]
	v_pk_fma_f32 v[0:1], v[2:3], v[80:81], v[0:1] op_sel_hi:[1,0,1]
	v_pk_fma_f32 v[24:25], v[20:21], v[66:67], v[24:25] op_sel_hi:[1,0,1]
	v_pk_fma_f32 v[0:1], v[8:9], v[66:67], v[0:1] op_sel_hi:[1,0,1]
	v_pk_fma_f32 v[20:21], v[20:21], v[66:67], v[24:25] op_sel:[1,1,0] op_sel_hi:[0,1,1] neg_lo:[1,0,0]
	v_pk_fma_f32 v[0:1], v[8:9], v[66:67], v[0:1] op_sel:[1,1,0] op_sel_hi:[0,1,1] neg_lo:[1,0,0]
	v_xor_b32_e32 v24, 0x80000000, v23
	v_pk_fma_f32 v[20:21], v[22:23], v[68:69], v[20:21] op_sel_hi:[1,0,1]
	v_mov_b32_e32 v25, v22
	v_xor_b32_e32 v2, 0x80000000, v11
	v_pk_fma_f32 v[0:1], v[10:11], v[68:69], v[0:1] op_sel_hi:[1,0,1]
	v_mov_b32_e32 v3, v10
	v_pk_fma_f32 v[60:61], v[24:25], v[82:83], v[20:21] op_sel_hi:[1,0,1]
	v_pk_fma_f32 v[58:59], v[2:3], v[82:83], v[0:1] op_sel_hi:[1,0,1]
	s_andn2_b64 exec, exec, s[14:15]
	s_cbranch_execnz .LBB34_17
; %bb.18:
	s_or_b64 exec, exec, s[14:15]
.LBB34_19:
	s_or_b64 exec, exec, s[10:11]
	v_mov_b32_e32 v51, v65
.LBB34_20:
	s_or_b64 exec, exec, s[8:9]
	s_cbranch_execz .LBB34_22
	s_branch .LBB34_33
.LBB34_21:
                                        ; implicit-def: $vgpr64
                                        ; implicit-def: $vgpr59
                                        ; implicit-def: $vgpr61
                                        ; implicit-def: $vgpr63
.LBB34_22:
	v_mov_b32_e32 v51, 0
	v_mov_b32_e32 v64, 0
	;; [unrolled: 1-line block ×8, first 2 shown]
	s_and_saveexec_b64 s[8:9], s[4:5]
	s_cbranch_execz .LBB34_32
; %bb.23:
	v_or_b32_e32 v0, 64, v50
	v_subrev_co_u32_e32 v0, vcc, s16, v0
	v_not_b32_e32 v3, v29
	s_nop 0
	v_subb_co_u32_e64 v1, s[4:5], 0, 0, vcc
	v_lshl_add_u64 v[0:1], v[0:1], 0, v[28:29]
	v_cmp_gt_i64_e32 vcc, v[0:1], v[54:55]
	v_not_b32_e32 v2, v28
	v_mov_b32_e32 v63, 0
	v_cndmask_b32_e32 v1, v55, v1, vcc
	v_cndmask_b32_e32 v0, v54, v0, vcc
	v_sub_co_u32_e32 v4, vcc, s16, v50
	v_mov_b32_e32 v61, v63
	s_nop 0
	v_subb_co_u32_e64 v5, s[4:5], 0, 0, vcc
	v_lshl_add_u64 v[2:3], v[4:5], 0, v[2:3]
	v_lshl_add_u64 v[0:1], v[2:3], 0, v[0:1]
	v_and_b32_e32 v62, 0xc0, v0
	s_mov_b64 s[4:5], 0xc0
	v_cmp_ne_u64_e32 vcc, s[4:5], v[62:63]
	v_mov_b32_e32 v62, v63
	v_mov_b32_e32 v60, v63
	;; [unrolled: 1-line block ×6, first 2 shown]
	s_and_saveexec_b64 s[4:5], vcc
	s_cbranch_execz .LBB34_27
; %bb.24:
	v_lshrrev_b32_e32 v2, 6, v0
	v_add_u32_e32 v2, 1, v2
	v_and_b32_e32 v4, 3, v2
	v_sub_co_u32_e32 v4, vcc, 0, v4
	v_mov_b32_e32 v62, 0
	s_nop 0
	v_subb_co_u32_e64 v5, s[14:15], 0, 0, vcc
	v_lshl_add_u64 v[2:3], v[52:53], 2, s[12:13]
	s_mov_b64 s[10:11], 0
	s_mov_b64 s[14:15], 0x2000
	;; [unrolled: 1-line block ×3, first 2 shown]
	v_mov_b32_e32 v63, v62
	v_mov_b32_e32 v60, v62
	;; [unrolled: 1-line block ×7, first 2 shown]
.LBB34_25:                              ; =>This Inner Loop Header: Depth=1
	global_load_dword v34, v[2:3], off
	global_load_dwordx4 v[6:9], v[56:57], off
	global_load_dwordx4 v[10:13], v[56:57], off offset:32
	global_load_dwordx4 v[14:17], v[56:57], off offset:48
	;; [unrolled: 1-line block ×6, first 2 shown]
	v_lshl_add_u64 v[4:5], v[4:5], 0, 1
	v_cmp_eq_u64_e32 vcc, 0, v[4:5]
	v_lshl_add_u64 v[52:53], v[52:53], 0, 64
	v_lshl_add_u64 v[2:3], v[2:3], 0, s[18:19]
	s_or_b64 s[10:11], vcc, s[10:11]
	s_waitcnt vmcnt(7)
	v_subrev_u32_e32 v34, s16, v34
	v_lshlrev_b32_e32 v34, 2, v34
	v_ashrrev_i32_e32 v35, 31, v34
	v_lshl_add_u64 v[42:43], v[34:35], 3, s[2:3]
	global_load_dwordx4 v[34:37], v[42:43], off offset:16
	global_load_dwordx4 v[38:41], v[42:43], off
	global_load_dwordx4 v[66:69], v[56:57], off offset:112
	s_waitcnt vmcnt(9)
	v_xor_b32_e32 v42, 0x80000000, v9
	v_mov_b32_e32 v43, v8
	s_waitcnt vmcnt(5)
	v_xor_b32_e32 v76, 0x80000000, v25
	v_mov_b32_e32 v77, v24
	v_xor_b32_e32 v70, 0x80000000, v13
	v_mov_b32_e32 v71, v12
	;; [unrolled: 2-line block ×4, first 2 shown]
	s_waitcnt vmcnt(3)
	v_xor_b32_e32 v80, 0x80000000, v33
	v_mov_b32_e32 v81, v32
	v_xor_b32_e32 v74, 0x80000000, v29
	v_mov_b32_e32 v75, v28
	v_lshl_add_u64 v[56:57], v[56:57], 0, s[14:15]
	s_waitcnt vmcnt(2)
	v_mov_b32_e32 v86, v37
	s_waitcnt vmcnt(1)
	v_pk_fma_f32 v[64:65], v[6:7], v[38:39], v[64:65] op_sel_hi:[1,0,1]
	v_pk_fma_f32 v[8:9], v[8:9], v[38:39], v[62:63] op_sel_hi:[1,0,1]
	;; [unrolled: 1-line block ×4, first 2 shown]
	v_pk_fma_f32 v[6:7], v[6:7], v[38:39], v[64:65] op_sel:[1,1,0] op_sel_hi:[0,1,1] neg_lo:[1,0,0]
	v_pk_fma_f32 v[8:9], v[42:43], v[38:39], v[8:9] op_sel:[0,1,0]
	v_pk_fma_f32 v[22:23], v[22:23], v[38:39], v[60:61] op_sel:[1,1,0] op_sel_hi:[0,1,1] neg_lo:[1,0,0]
	v_pk_fma_f32 v[24:25], v[76:77], v[38:39], v[24:25] op_sel:[0,1,0]
	v_mov_b32_e32 v84, v41
	v_pk_fma_f32 v[6:7], v[10:11], v[40:41], v[6:7] op_sel_hi:[1,0,1]
	v_pk_fma_f32 v[8:9], v[12:13], v[40:41], v[8:9] op_sel_hi:[1,0,1]
	;; [unrolled: 1-line block ×4, first 2 shown]
	v_pk_fma_f32 v[6:7], v[10:11], v[84:85], v[6:7] op_sel:[1,0,0] op_sel_hi:[0,0,1] neg_lo:[1,0,0]
	v_pk_fma_f32 v[8:9], v[70:71], v[84:85], v[8:9] op_sel_hi:[1,0,1]
	v_pk_fma_f32 v[10:11], v[14:15], v[84:85], v[12:13] op_sel:[1,0,0] op_sel_hi:[0,0,1] neg_lo:[1,0,0]
	v_pk_fma_f32 v[12:13], v[78:79], v[84:85], v[16:17] op_sel_hi:[1,0,1]
	v_pk_fma_f32 v[6:7], v[18:19], v[34:35], v[6:7] op_sel_hi:[1,0,1]
	;; [unrolled: 1-line block ×5, first 2 shown]
	v_pk_fma_f32 v[6:7], v[18:19], v[34:35], v[6:7] op_sel:[1,1,0] op_sel_hi:[0,1,1] neg_lo:[1,0,0]
	v_pk_fma_f32 v[8:9], v[72:73], v[34:35], v[8:9] op_sel:[0,1,0]
	v_pk_fma_f32 v[10:11], v[30:31], v[34:35], v[10:11] op_sel:[1,1,0] op_sel_hi:[0,1,1] neg_lo:[1,0,0]
	v_pk_fma_f32 v[12:13], v[80:81], v[34:35], v[12:13] op_sel:[0,1,0]
	s_waitcnt vmcnt(0)
	v_xor_b32_e32 v82, 0x80000000, v69
	v_mov_b32_e32 v83, v68
	v_pk_fma_f32 v[6:7], v[26:27], v[36:37], v[6:7] op_sel_hi:[1,0,1]
	v_pk_fma_f32 v[8:9], v[28:29], v[36:37], v[8:9] op_sel_hi:[1,0,1]
	;; [unrolled: 1-line block ×4, first 2 shown]
	v_pk_fma_f32 v[64:65], v[26:27], v[86:87], v[6:7] op_sel:[1,0,0] op_sel_hi:[0,0,1] neg_lo:[1,0,0]
	v_pk_fma_f32 v[62:63], v[74:75], v[86:87], v[8:9] op_sel_hi:[1,0,1]
	v_pk_fma_f32 v[60:61], v[66:67], v[86:87], v[10:11] op_sel:[1,0,0] op_sel_hi:[0,0,1] neg_lo:[1,0,0]
	v_pk_fma_f32 v[58:59], v[82:83], v[86:87], v[12:13] op_sel_hi:[1,0,1]
	s_andn2_b64 exec, exec, s[10:11]
	s_cbranch_execnz .LBB34_25
; %bb.26:
	s_or_b64 exec, exec, s[10:11]
.LBB34_27:
	s_or_b64 exec, exec, s[4:5]
	s_mov_b64 s[4:5], 0xbf
	v_cmp_lt_u64_e32 vcc, s[4:5], v[0:1]
	s_and_saveexec_b64 s[4:5], vcc
	s_cbranch_execz .LBB34_31
; %bb.28:
	v_lshl_add_u64 v[0:1], v[52:53], 2, s[12:13]
	s_mov_b64 s[10:11], 0x200
	v_lshl_add_u64 v[66:67], v[0:1], 0, s[10:11]
	s_mov_b64 s[10:11], 0
	s_mov_b64 s[12:13], 0x2000
	s_movk_i32 s17, 0x2000
	s_mov_b64 s[14:15], 0x4000
	s_movk_i32 s26, 0x4000
	;; [unrolled: 2-line block ×3, first 2 shown]
	s_mov_b64 s[20:21], 0x100
	s_mov_b64 s[22:23], 0x400
	;; [unrolled: 1-line block ×3, first 2 shown]
.LBB34_29:                              ; =>This Inner Loop Header: Depth=1
	global_load_dword v51, v[66:67], off offset:-512
	global_load_dwordx4 v[28:31], v[56:57], off
	global_load_dwordx4 v[24:27], v[56:57], off offset:16
	global_load_dwordx4 v[8:11], v[56:57], off offset:48
	global_load_dwordx4 v[12:15], v[56:57], off offset:32
	global_load_dwordx4 v[0:3], v[56:57], off offset:112
	global_load_dwordx4 v[4:7], v[56:57], off offset:96
	global_load_dwordx4 v[16:19], v[56:57], off offset:80
	global_load_dwordx4 v[20:23], v[56:57], off offset:64
	v_lshl_add_u64 v[70:71], v[56:57], 0, s[12:13]
	v_add_co_u32_e32 v84, vcc, s17, v56
	global_load_dword v98, v[66:67], off offset:-256
	global_load_dword v49, v[66:67], off
	global_load_dword v102, v[66:67], off offset:256
	v_addc_co_u32_e32 v85, vcc, 0, v57, vcc
	global_load_dwordx4 v[36:39], v[70:71], off offset:48
	global_load_dwordx4 v[40:43], v[70:71], off offset:32
	;; [unrolled: 1-line block ×4, first 2 shown]
	global_load_dwordx4 v[80:83], v[84:85], off
	v_add_co_u32_e32 v96, vcc, s26, v56
	v_lshl_add_u64 v[68:69], v[56:57], 0, s[14:15]
	s_nop 0
	v_addc_co_u32_e32 v97, vcc, 0, v57, vcc
	v_add_co_u32_e32 v74, vcc, s27, v56
	v_lshl_add_u64 v[72:73], v[56:57], 0, s[18:19]
	s_nop 0
	v_addc_co_u32_e32 v75, vcc, 0, v57, vcc
	v_lshl_add_u64 v[52:53], v[52:53], 0, s[20:21]
	v_cmp_ge_i64_e32 vcc, v[52:53], v[54:55]
	v_lshl_add_u64 v[66:67], v[66:67], 0, s[22:23]
	v_lshl_add_u64 v[56:57], v[56:57], 0, s[24:25]
	s_or_b64 s[10:11], vcc, s[10:11]
	s_waitcnt vmcnt(16)
	v_subrev_u32_e32 v51, s16, v51
	v_lshlrev_b32_e32 v84, 2, v51
	v_ashrrev_i32_e32 v85, 31, v84
	v_lshl_add_u64 v[94:95], v[84:85], 3, s[2:3]
	global_load_dwordx4 v[84:87], v[94:95], off
	global_load_dwordx4 v[88:91], v[94:95], off offset:16
	s_waitcnt vmcnt(17)
	v_xor_b32_e32 v92, 0x80000000, v31
	v_mov_b32_e32 v93, v30
	s_waitcnt vmcnt(16)
	v_xor_b32_e32 v94, 0x80000000, v27
	v_mov_b32_e32 v95, v26
	s_waitcnt vmcnt(8)
	v_subrev_u32_e32 v49, s16, v49
	s_waitcnt vmcnt(7)
	v_subrev_u32_e32 v51, s16, v102
	s_waitcnt vmcnt(2)
	v_mov_b32_e32 v99, v82
	s_waitcnt vmcnt(1)
	v_pk_fma_f32 v[64:65], v[28:29], v[84:85], v[64:65] op_sel_hi:[1,0,1]
	v_pk_fma_f32 v[30:31], v[30:31], v[84:85], v[62:63] op_sel_hi:[1,0,1]
	v_pk_fma_f32 v[28:29], v[28:29], v[84:85], v[64:65] op_sel:[1,1,0] op_sel_hi:[0,1,1] neg_lo:[1,0,0]
	v_pk_fma_f32 v[60:61], v[24:25], v[84:85], v[60:61] op_sel_hi:[1,0,1]
	v_pk_fma_f32 v[26:27], v[26:27], v[84:85], v[58:59] op_sel_hi:[1,0,1]
	v_pk_fma_f32 v[24:25], v[24:25], v[84:85], v[60:61] op_sel:[1,1,0] op_sel_hi:[0,1,1] neg_lo:[1,0,0]
	v_pk_fma_f32 v[30:31], v[92:93], v[84:85], v[30:31] op_sel:[0,1,0]
	v_pk_fma_f32 v[26:27], v[94:95], v[84:85], v[26:27] op_sel:[0,1,0]
	v_pk_fma_f32 v[28:29], v[12:13], v[86:87], v[28:29] op_sel_hi:[1,0,1]
	v_mov_b32_e32 v84, v87
	global_load_dwordx4 v[58:61], v[70:71], off offset:96
	global_load_dwordx4 v[62:65], v[70:71], off offset:80
	;; [unrolled: 1-line block ×3, first 2 shown]
	v_pk_fma_f32 v[30:31], v[14:15], v[86:87], v[30:31] op_sel_hi:[1,0,1]
	v_pk_fma_f32 v[24:25], v[8:9], v[86:87], v[24:25] op_sel_hi:[1,0,1]
	;; [unrolled: 1-line block ×3, first 2 shown]
	v_xor_b32_e32 v86, 0x80000000, v15
	v_mov_b32_e32 v87, v14
	v_pk_fma_f32 v[12:13], v[12:13], v[84:85], v[28:29] op_sel:[1,0,0] op_sel_hi:[0,0,1] neg_lo:[1,0,0]
	v_xor_b32_e32 v14, 0x80000000, v11
	v_mov_b32_e32 v15, v10
	v_pk_fma_f32 v[8:9], v[8:9], v[84:85], v[24:25] op_sel:[1,0,0] op_sel_hi:[0,0,1] neg_lo:[1,0,0]
	v_pk_fma_f32 v[10:11], v[86:87], v[84:85], v[30:31] op_sel_hi:[1,0,1]
	v_pk_fma_f32 v[14:15], v[14:15], v[84:85], v[70:71] op_sel_hi:[1,0,1]
	s_waitcnt vmcnt(3)
	v_pk_fma_f32 v[12:13], v[20:21], v[88:89], v[12:13] op_sel_hi:[1,0,1]
	v_xor_b32_e32 v70, 0x80000000, v23
	v_mov_b32_e32 v71, v22
	v_pk_fma_f32 v[84:85], v[22:23], v[88:89], v[10:11] op_sel_hi:[1,0,1]
	v_pk_fma_f32 v[86:87], v[20:21], v[88:89], v[12:13] op_sel:[1,1,0] op_sel_hi:[0,1,1] neg_lo:[1,0,0]
	v_xor_b32_e32 v12, 0x80000000, v19
	v_mov_b32_e32 v13, v18
	v_pk_fma_f32 v[8:9], v[16:17], v[88:89], v[8:9] op_sel_hi:[1,0,1]
	v_pk_fma_f32 v[14:15], v[18:19], v[88:89], v[14:15] op_sel_hi:[1,0,1]
	v_pk_fma_f32 v[16:17], v[16:17], v[88:89], v[8:9] op_sel:[1,1,0] op_sel_hi:[0,1,1] neg_lo:[1,0,0]
	v_pk_fma_f32 v[18:19], v[70:71], v[88:89], v[84:85] op_sel:[0,1,0]
	v_pk_fma_f32 v[70:71], v[12:13], v[88:89], v[14:15] op_sel:[0,1,0]
	v_pk_fma_f32 v[84:85], v[4:5], v[90:91], v[86:87] op_sel_hi:[1,0,1]
	v_pk_fma_f32 v[18:19], v[6:7], v[90:91], v[18:19] op_sel_hi:[1,0,1]
	;; [unrolled: 1-line block ×4, first 2 shown]
	v_mov_b32_e32 v86, v91
	v_mov_b32_e32 v91, v2
	v_subrev_u32_e32 v2, s16, v98
	v_lshlrev_b32_e32 v2, 2, v2
	v_xor_b32_e32 v90, 0x80000000, v3
	v_ashrrev_i32_e32 v3, 31, v2
	v_xor_b32_e32 v88, 0x80000000, v7
	v_mov_b32_e32 v89, v6
	v_pk_fma_f32 v[84:85], v[4:5], v[86:87], v[84:85] op_sel:[1,0,0] op_sel_hi:[0,0,1] neg_lo:[1,0,0]
	global_load_dwordx4 v[4:7], v[96:97], off
	v_pk_fma_f32 v[96:97], v[0:1], v[86:87], v[16:17] op_sel:[1,0,0] op_sel_hi:[0,0,1] neg_lo:[1,0,0]
	v_lshl_add_u64 v[16:17], v[2:3], 3, s[2:3]
	global_load_dwordx4 v[0:3], v[16:17], off
	v_pk_fma_f32 v[88:89], v[88:89], v[86:87], v[18:19] op_sel_hi:[1,0,1]
	global_load_dwordx4 v[16:19], v[16:17], off offset:16
	v_pk_fma_f32 v[70:71], v[90:91], v[86:87], v[70:71] op_sel_hi:[1,0,1]
	v_xor_b32_e32 v98, 0x80000000, v83
	global_load_dwordx4 v[24:27], v[68:69], off offset:48
	global_load_dwordx4 v[28:31], v[68:69], off offset:32
	;; [unrolled: 1-line block ×5, first 2 shown]
	s_waitcnt vmcnt(10)
	v_xor_b32_e32 v100, 0x80000000, v61
	v_mov_b32_e32 v101, v60
	s_waitcnt vmcnt(6)
	v_pk_fma_f32 v[84:85], v[80:81], v[0:1], v[84:85] op_sel_hi:[1,0,1]
	v_pk_fma_f32 v[86:87], v[82:83], v[0:1], v[88:89] op_sel_hi:[1,0,1]
	v_pk_fma_f32 v[84:85], v[80:81], v[0:1], v[84:85] op_sel:[1,1,0] op_sel_hi:[0,1,1] neg_lo:[1,0,0]
	v_xor_b32_e32 v88, 0x80000000, v79
	v_mov_b32_e32 v89, v78
	v_pk_fma_f32 v[90:91], v[76:77], v[0:1], v[96:97] op_sel_hi:[1,0,1]
	v_pk_fma_f32 v[96:97], v[78:79], v[0:1], v[70:71] op_sel_hi:[1,0,1]
	v_pk_fma_f32 v[90:91], v[76:77], v[0:1], v[90:91] op_sel:[1,1,0] op_sel_hi:[0,1,1] neg_lo:[1,0,0]
	v_pk_fma_f32 v[86:87], v[98:99], v[0:1], v[86:87] op_sel:[0,1,0]
	v_pk_fma_f32 v[0:1], v[88:89], v[0:1], v[96:97] op_sel:[0,1,0]
	v_pk_fma_f32 v[84:85], v[40:41], v[2:3], v[84:85] op_sel_hi:[1,0,1]
	v_mov_b32_e32 v96, v3
	v_xor_b32_e32 v88, 0x80000000, v43
	v_mov_b32_e32 v89, v42
	v_pk_fma_f32 v[42:43], v[42:43], v[2:3], v[86:87] op_sel_hi:[1,0,1]
	v_pk_fma_f32 v[86:87], v[36:37], v[2:3], v[90:91] op_sel_hi:[1,0,1]
	v_pk_fma_f32 v[84:85], v[40:41], v[96:97], v[84:85] op_sel:[1,0,0] op_sel_hi:[0,0,1] neg_lo:[1,0,0]
	v_pk_fma_f32 v[90:91], v[38:39], v[2:3], v[0:1] op_sel_hi:[1,0,1]
	v_xor_b32_e32 v40, 0x80000000, v39
	v_mov_b32_e32 v41, v38
	v_pk_fma_f32 v[86:87], v[36:37], v[96:97], v[86:87] op_sel:[1,0,0] op_sel_hi:[0,0,1] neg_lo:[1,0,0]
	s_waitcnt vmcnt(5)
	v_pk_fma_f32 v[84:85], v[92:93], v[16:17], v[84:85] op_sel_hi:[1,0,1]
	v_pk_fma_f32 v[88:89], v[88:89], v[96:97], v[42:43] op_sel_hi:[1,0,1]
	;; [unrolled: 1-line block ×3, first 2 shown]
	v_pk_fma_f32 v[92:93], v[92:93], v[16:17], v[84:85] op_sel:[1,1,0] op_sel_hi:[0,1,1] neg_lo:[1,0,0]
	v_pk_fma_f32 v[84:85], v[62:63], v[16:17], v[86:87] op_sel_hi:[1,0,1]
	v_xor_b32_e32 v96, 0x80000000, v95
	v_mov_b32_e32 v97, v94
	v_pk_fma_f32 v[88:89], v[94:95], v[16:17], v[88:89] op_sel_hi:[1,0,1]
	v_xor_b32_e32 v94, 0x80000000, v65
	v_mov_b32_e32 v95, v64
	v_pk_fma_f32 v[90:91], v[64:65], v[16:17], v[90:91] op_sel_hi:[1,0,1]
	v_pk_fma_f32 v[98:99], v[62:63], v[16:17], v[84:85] op_sel:[1,1,0] op_sel_hi:[0,1,1] neg_lo:[1,0,0]
	v_pk_fma_f32 v[96:97], v[96:97], v[16:17], v[88:89] op_sel:[0,1,0]
	v_pk_fma_f32 v[16:17], v[94:95], v[16:17], v[90:91] op_sel:[0,1,0]
	v_pk_fma_f32 v[94:95], v[32:33], v[18:19], v[98:99] op_sel_hi:[1,0,1]
	v_mov_b32_e32 v98, v19
	global_load_dwordx4 v[80:83], v[68:69], off offset:80
	global_load_dwordx4 v[76:79], v[72:73], off offset:48
	;; [unrolled: 1-line block ×8, first 2 shown]
	v_pk_fma_f32 v[72:73], v[58:59], v[18:19], v[92:93] op_sel_hi:[1,0,1]
	global_load_dwordx4 v[68:71], v[68:69], off offset:64
	v_pk_fma_f32 v[92:93], v[60:61], v[18:19], v[96:97] op_sel_hi:[1,0,1]
	v_pk_fma_f32 v[96:97], v[34:35], v[18:19], v[16:17] op_sel_hi:[1,0,1]
	global_load_dwordx4 v[16:19], v[74:75], off
	v_pk_fma_f32 v[74:75], v[32:33], v[98:99], v[94:95] op_sel:[1,0,0] op_sel_hi:[0,0,1] neg_lo:[1,0,0]
	v_lshlrev_b32_e32 v32, 2, v49
	v_ashrrev_i32_e32 v33, 31, v32
	v_pk_fma_f32 v[72:73], v[58:59], v[98:99], v[72:73] op_sel:[1,0,0] op_sel_hi:[0,0,1] neg_lo:[1,0,0]
	v_xor_b32_e32 v58, 0x80000000, v35
	v_mov_b32_e32 v59, v34
	v_lshl_add_u64 v[102:103], v[32:33], 3, s[2:3]
	v_pk_fma_f32 v[96:97], v[58:59], v[98:99], v[96:97] op_sel_hi:[1,0,1]
	global_load_dwordx4 v[32:35], v[102:103], off
	global_load_dwordx4 v[58:61], v[102:103], off offset:16
	v_pk_fma_f32 v[92:93], v[100:101], v[98:99], v[92:93] op_sel_hi:[1,0,1]
	v_xor_b32_e32 v94, 0x80000000, v7
	v_mov_b32_e32 v95, v6
	s_waitcnt vmcnt(15)
	v_xor_b32_e32 v98, 0x80000000, v31
	v_mov_b32_e32 v99, v30
	s_waitcnt vmcnt(1)
	v_pk_fma_f32 v[72:73], v[4:5], v[32:33], v[72:73] op_sel_hi:[1,0,1]
	s_nop 0
	v_pk_fma_f32 v[72:73], v[4:5], v[32:33], v[72:73] op_sel:[1,1,0] op_sel_hi:[0,1,1] neg_lo:[1,0,0]
	v_lshlrev_b32_e32 v4, 2, v51
	v_pk_fma_f32 v[74:75], v[20:21], v[32:33], v[74:75] op_sel_hi:[1,0,1]
	v_ashrrev_i32_e32 v5, 31, v4
	v_pk_fma_f32 v[6:7], v[6:7], v[32:33], v[92:93] op_sel_hi:[1,0,1]
	v_pk_fma_f32 v[74:75], v[20:21], v[32:33], v[74:75] op_sel:[1,1,0] op_sel_hi:[0,1,1] neg_lo:[1,0,0]
	v_lshl_add_u64 v[20:21], v[4:5], 3, s[2:3]
	v_pk_fma_f32 v[94:95], v[94:95], v[32:33], v[6:7] op_sel:[0,1,0]
	global_load_dwordx4 v[4:7], v[20:21], off
	v_xor_b32_e32 v92, 0x80000000, v23
	v_mov_b32_e32 v93, v22
	v_pk_fma_f32 v[22:23], v[22:23], v[32:33], v[96:97] op_sel_hi:[1,0,1]
	v_xor_b32_e32 v96, 0x80000000, v27
	v_pk_fma_f32 v[32:33], v[92:93], v[32:33], v[22:23] op_sel:[0,1,0]
	global_load_dwordx4 v[20:23], v[20:21], off offset:16
	v_mov_b32_e32 v97, v26
	v_pk_fma_f32 v[72:73], v[28:29], v[34:35], v[72:73] op_sel_hi:[1,0,1]
	v_pk_fma_f32 v[30:31], v[30:31], v[34:35], v[94:95] op_sel_hi:[1,0,1]
	;; [unrolled: 1-line block ×4, first 2 shown]
	v_mov_b32_e32 v32, v35
	v_pk_fma_f32 v[28:29], v[28:29], v[32:33], v[72:73] op_sel:[1,0,0] op_sel_hi:[0,0,1] neg_lo:[1,0,0]
	v_pk_fma_f32 v[24:25], v[24:25], v[32:33], v[74:75] op_sel:[1,0,0] op_sel_hi:[0,0,1] neg_lo:[1,0,0]
	v_pk_fma_f32 v[30:31], v[98:99], v[32:33], v[30:31] op_sel_hi:[1,0,1]
	v_pk_fma_f32 v[26:27], v[96:97], v[32:33], v[26:27] op_sel_hi:[1,0,1]
	v_xor_b32_e32 v34, 0x80000000, v69
	v_xor_b32_e32 v72, 0x80000000, v71
	;; [unrolled: 1-line block ×4, first 2 shown]
	v_mov_b32_e32 v35, v68
	v_mov_b32_e32 v73, v70
	;; [unrolled: 1-line block ×4, first 2 shown]
	s_waitcnt vmcnt(2)
	v_pk_fma_f32 v[28:29], v[68:69], v[58:59], v[28:29] op_sel_hi:[1,0,1]
	v_pk_fma_f32 v[30:31], v[70:71], v[58:59], v[30:31] op_sel_hi:[1,0,1]
	v_pk_fma_f32 v[24:25], v[80:81], v[58:59], v[24:25] op_sel_hi:[1,0,1]
	v_pk_fma_f32 v[26:27], v[82:83], v[58:59], v[26:27] op_sel_hi:[1,0,1]
	v_pk_fma_f32 v[28:29], v[34:35], v[58:59], v[28:29] op_sel:[0,1,0]
	v_pk_fma_f32 v[30:31], v[72:73], v[58:59], v[30:31] op_sel:[0,1,0]
	;; [unrolled: 1-line block ×4, first 2 shown]
	v_xor_b32_e32 v94, 0x80000000, v15
	v_mov_b32_e32 v95, v14
	v_xor_b32_e32 v68, 0x80000000, v11
	v_mov_b32_e32 v69, v10
	v_mov_b32_e32 v92, v61
	v_pk_fma_f32 v[28:29], v[12:13], v[60:61], v[28:29] op_sel_hi:[1,0,1]
	v_pk_fma_f32 v[14:15], v[14:15], v[60:61], v[30:31] op_sel_hi:[1,0,1]
	;; [unrolled: 1-line block ×4, first 2 shown]
	v_pk_fma_f32 v[12:13], v[12:13], v[92:93], v[28:29] op_sel:[1,0,0] op_sel_hi:[0,0,1] neg_lo:[1,0,0]
	v_pk_fma_f32 v[14:15], v[94:95], v[92:93], v[14:15] op_sel_hi:[1,0,1]
	v_pk_fma_f32 v[8:9], v[8:9], v[92:93], v[24:25] op_sel:[1,0,0] op_sel_hi:[0,0,1] neg_lo:[1,0,0]
	v_pk_fma_f32 v[10:11], v[68:69], v[92:93], v[10:11] op_sel_hi:[1,0,1]
	v_xor_b32_e32 v70, 0x80000000, v39
	v_mov_b32_e32 v71, v38
	v_xor_b32_e32 v72, 0x80000000, v19
	v_mov_b32_e32 v73, v18
	v_xor_b32_e32 v98, 0x80000000, v3
	v_mov_b32_e32 v99, v2
	v_xor_b32_e32 v80, 0x80000000, v79
	v_mov_b32_e32 v81, v78
	v_xor_b32_e32 v32, 0x80000000, v91
	v_mov_b32_e32 v33, v90
	v_xor_b32_e32 v82, 0x80000000, v87
	v_mov_b32_e32 v83, v86
	v_xor_b32_e32 v96, 0x80000000, v65
	v_mov_b32_e32 v97, v64
	v_xor_b32_e32 v34, 0x80000000, v43
	v_mov_b32_e32 v35, v42
	s_waitcnt vmcnt(1)
	v_pk_fma_f32 v[12:13], v[16:17], v[4:5], v[12:13] op_sel_hi:[1,0,1]
	v_pk_fma_f32 v[14:15], v[18:19], v[4:5], v[14:15] op_sel_hi:[1,0,1]
	;; [unrolled: 1-line block ×4, first 2 shown]
	v_pk_fma_f32 v[12:13], v[16:17], v[4:5], v[12:13] op_sel:[1,1,0] op_sel_hi:[0,1,1] neg_lo:[1,0,0]
	v_pk_fma_f32 v[14:15], v[72:73], v[4:5], v[14:15] op_sel:[0,1,0]
	v_pk_fma_f32 v[8:9], v[36:37], v[4:5], v[8:9] op_sel:[1,1,0] op_sel_hi:[0,1,1] neg_lo:[1,0,0]
	v_pk_fma_f32 v[4:5], v[70:71], v[4:5], v[10:11] op_sel:[0,1,0]
	v_mov_b32_e32 v58, v7
	v_pk_fma_f32 v[10:11], v[0:1], v[6:7], v[12:13] op_sel_hi:[1,0,1]
	v_pk_fma_f32 v[2:3], v[2:3], v[6:7], v[14:15] op_sel_hi:[1,0,1]
	;; [unrolled: 1-line block ×4, first 2 shown]
	v_pk_fma_f32 v[0:1], v[0:1], v[58:59], v[10:11] op_sel:[1,0,0] op_sel_hi:[0,0,1] neg_lo:[1,0,0]
	v_pk_fma_f32 v[2:3], v[98:99], v[58:59], v[2:3] op_sel_hi:[1,0,1]
	v_pk_fma_f32 v[6:7], v[76:77], v[58:59], v[8:9] op_sel:[1,0,0] op_sel_hi:[0,0,1] neg_lo:[1,0,0]
	v_pk_fma_f32 v[4:5], v[80:81], v[58:59], v[4:5] op_sel_hi:[1,0,1]
	s_waitcnt vmcnt(0)
	v_pk_fma_f32 v[0:1], v[88:89], v[20:21], v[0:1] op_sel_hi:[1,0,1]
	v_pk_fma_f32 v[2:3], v[90:91], v[20:21], v[2:3] op_sel_hi:[1,0,1]
	;; [unrolled: 1-line block ×4, first 2 shown]
	v_pk_fma_f32 v[0:1], v[88:89], v[20:21], v[0:1] op_sel:[1,1,0] op_sel_hi:[0,1,1] neg_lo:[1,0,0]
	v_pk_fma_f32 v[2:3], v[32:33], v[20:21], v[2:3] op_sel:[0,1,0]
	v_pk_fma_f32 v[6:7], v[84:85], v[20:21], v[6:7] op_sel:[1,1,0] op_sel_hi:[0,1,1] neg_lo:[1,0,0]
	v_pk_fma_f32 v[4:5], v[82:83], v[20:21], v[4:5] op_sel:[0,1,0]
	v_mov_b32_e32 v26, v23
	v_pk_fma_f32 v[0:1], v[62:63], v[22:23], v[0:1] op_sel_hi:[1,0,1]
	v_pk_fma_f32 v[2:3], v[64:65], v[22:23], v[2:3] op_sel_hi:[1,0,1]
	;; [unrolled: 1-line block ×4, first 2 shown]
	v_pk_fma_f32 v[64:65], v[62:63], v[26:27], v[0:1] op_sel:[1,0,0] op_sel_hi:[0,0,1] neg_lo:[1,0,0]
	v_pk_fma_f32 v[62:63], v[96:97], v[26:27], v[2:3] op_sel_hi:[1,0,1]
	v_pk_fma_f32 v[60:61], v[40:41], v[26:27], v[6:7] op_sel:[1,0,0] op_sel_hi:[0,0,1] neg_lo:[1,0,0]
	v_pk_fma_f32 v[58:59], v[34:35], v[26:27], v[4:5] op_sel_hi:[1,0,1]
	s_andn2_b64 exec, exec, s[10:11]
	s_cbranch_execnz .LBB34_29
; %bb.30:
	s_or_b64 exec, exec, s[10:11]
.LBB34_31:
	s_or_b64 exec, exec, s[4:5]
	v_mov_b32_e32 v51, v65
.LBB34_32:
	s_or_b64 exec, exec, s[8:9]
.LBB34_33:
	v_mov_b32_dpp v6, v63 row_shr:1 row_mask:0xf bank_mask:0xf
	v_add_f32_e32 v6, v63, v6
	v_mov_b32_dpp v0, v64 row_shr:1 row_mask:0xf bank_mask:0xf
	v_mov_b32_dpp v2, v51 row_shr:1 row_mask:0xf bank_mask:0xf
	;; [unrolled: 1-line block ×3, first 2 shown]
	v_add_f32_e32 v6, v6, v7
	v_mov_b32_dpp v4, v62 row_shr:1 row_mask:0xf bank_mask:0xf
	v_add_f32_e32 v0, v64, v0
	v_mov_b32_dpp v7, v6 row_shr:4 row_mask:0xf bank_mask:0xe
	v_add_f32_e32 v6, v6, v7
	v_add_f32_e32 v2, v51, v2
	;; [unrolled: 1-line block ×3, first 2 shown]
	v_mov_b32_dpp v7, v6 row_shr:8 row_mask:0xf bank_mask:0xc
	v_add_f32_e32 v6, v6, v7
	v_mov_b32_dpp v1, v0 row_shr:2 row_mask:0xf bank_mask:0xf
	v_mov_b32_dpp v3, v2 row_shr:2 row_mask:0xf bank_mask:0xf
	v_mov_b32_dpp v7, v6 row_bcast:15 row_mask:0xa bank_mask:0xf
	v_add_f32_e32 v7, v6, v7
	v_mov_b32_dpp v6, v60 row_shr:1 row_mask:0xf bank_mask:0xf
	v_add_f32_e32 v6, v60, v6
	v_mov_b32_dpp v5, v4 row_shr:2 row_mask:0xf bank_mask:0xf
	;; [unrolled: 2-line block ×3, first 2 shown]
	v_add_f32_e32 v6, v6, v9
	v_add_f32_e32 v2, v2, v3
	;; [unrolled: 1-line block ×3, first 2 shown]
	v_mov_b32_dpp v9, v6 row_shr:4 row_mask:0xf bank_mask:0xe
	v_add_f32_e32 v6, v6, v9
	v_mov_b32_dpp v1, v0 row_shr:4 row_mask:0xf bank_mask:0xe
	v_mov_b32_dpp v3, v2 row_shr:4 row_mask:0xf bank_mask:0xe
	;; [unrolled: 1-line block ×3, first 2 shown]
	v_add_f32_e32 v6, v6, v9
	v_mov_b32_dpp v5, v4 row_shr:4 row_mask:0xf bank_mask:0xe
	v_add_f32_e32 v0, v0, v1
	v_mov_b32_dpp v9, v6 row_bcast:15 row_mask:0xa bank_mask:0xf
	v_add_f32_e32 v9, v6, v9
	v_mov_b32_dpp v6, v61 row_shr:1 row_mask:0xf bank_mask:0xf
	v_add_f32_e32 v6, v61, v6
	v_add_f32_e32 v2, v2, v3
	;; [unrolled: 1-line block ×3, first 2 shown]
	v_mov_b32_dpp v11, v6 row_shr:2 row_mask:0xf bank_mask:0xf
	v_add_f32_e32 v6, v6, v11
	v_mov_b32_dpp v1, v0 row_shr:8 row_mask:0xf bank_mask:0xc
	v_mov_b32_dpp v3, v2 row_shr:8 row_mask:0xf bank_mask:0xc
	;; [unrolled: 1-line block ×3, first 2 shown]
	v_add_f32_e32 v6, v6, v11
	v_mov_b32_dpp v5, v4 row_shr:8 row_mask:0xf bank_mask:0xc
	v_add_f32_e32 v0, v0, v1
	v_mov_b32_dpp v11, v6 row_shr:8 row_mask:0xf bank_mask:0xc
	v_add_f32_e32 v6, v6, v11
	v_add_f32_e32 v2, v2, v3
	;; [unrolled: 1-line block ×3, first 2 shown]
	v_mov_b32_dpp v11, v6 row_bcast:15 row_mask:0xa bank_mask:0xf
	v_add_f32_e32 v11, v6, v11
	v_mov_b32_dpp v6, v58 row_shr:1 row_mask:0xf bank_mask:0xf
	v_add_f32_e32 v6, v58, v6
	v_mov_b32_dpp v1, v0 row_bcast:15 row_mask:0xa bank_mask:0xf
	v_mov_b32_dpp v3, v2 row_bcast:15 row_mask:0xa bank_mask:0xf
	v_mov_b32_dpp v12, v6 row_shr:2 row_mask:0xf bank_mask:0xf
	v_add_f32_e32 v6, v6, v12
	v_mov_b32_dpp v5, v4 row_bcast:15 row_mask:0xa bank_mask:0xf
	v_add_f32_e32 v0, v0, v1
	v_mov_b32_dpp v12, v6 row_shr:4 row_mask:0xf bank_mask:0xe
	v_add_f32_e32 v6, v6, v12
	v_add_f32_e32 v2, v2, v3
	;; [unrolled: 1-line block ×3, first 2 shown]
	v_mov_b32_dpp v12, v6 row_shr:8 row_mask:0xf bank_mask:0xc
	v_add_f32_e32 v6, v6, v12
	v_mov_b32_dpp v1, v0 row_bcast:31 row_mask:0xc bank_mask:0xf
	v_mov_b32_dpp v3, v2 row_bcast:31 row_mask:0xc bank_mask:0xf
	;; [unrolled: 1-line block ×3, first 2 shown]
	v_add_f32_e32 v15, v6, v12
	v_mov_b32_dpp v6, v59 row_shr:1 row_mask:0xf bank_mask:0xf
	v_add_f32_e32 v6, v59, v6
	v_mov_b32_dpp v5, v4 row_bcast:31 row_mask:0xc bank_mask:0xf
	v_mov_b32_dpp v8, v7 row_bcast:31 row_mask:0xc bank_mask:0xf
	v_mov_b32_dpp v12, v6 row_shr:2 row_mask:0xf bank_mask:0xf
	v_add_f32_e32 v6, v6, v12
	v_mov_b32_dpp v10, v9 row_bcast:31 row_mask:0xc bank_mask:0xf
	v_mov_b32_dpp v13, v11 row_bcast:31 row_mask:0xc bank_mask:0xf
	v_mov_b32_dpp v12, v6 row_shr:4 row_mask:0xf bank_mask:0xe
	v_add_f32_e32 v6, v6, v12
	v_mov_b32_dpp v16, v15 row_bcast:31 row_mask:0xc bank_mask:0xf
	v_cmp_eq_u32_e32 vcc, 63, v50
	v_mov_b32_dpp v12, v6 row_shr:8 row_mask:0xf bank_mask:0xc
	v_add_f32_e32 v6, v6, v12
	s_nop 1
	v_mov_b32_dpp v12, v6 row_bcast:15 row_mask:0xa bank_mask:0xf
	v_add_f32_e32 v17, v6, v12
	s_nop 1
	v_mov_b32_dpp v18, v17 row_bcast:31 row_mask:0xc bank_mask:0xf
	s_and_b64 exec, exec, vcc
	s_cbranch_execz .LBB34_6
; %bb.34:
	s_load_dwordx2 s[0:1], s[0:1], 0x50
	v_cmp_eq_f32_e32 vcc, 0, v46
	s_xor_b64 s[2:3], s[6:7], -1
	v_add_f32_e32 v6, v0, v1
	v_add_f32_e32 v14, v2, v3
	;; [unrolled: 1-line block ×8, first 2 shown]
	s_and_b64 s[2:3], vcc, s[2:3]
	v_lshlrev_b32_e32 v16, 2, v48
	s_and_saveexec_b64 s[4:5], s[2:3]
	s_xor_b64 s[2:3], exec, s[4:5]
	s_cbranch_execz .LBB34_36
; %bb.35:
	v_xor_b32_e32 v18, 0x80000000, v45
	v_mov_b32_e32 v19, v44
	v_pk_mul_f32 v[14:15], v[14:15], v[18:19] op_sel_hi:[0,1]
	v_ashrrev_i32_e32 v17, 31, v16
	v_pk_fma_f32 v[14:15], v[44:45], v[6:7], v[14:15] op_sel_hi:[1,0,1]
	v_pk_mul_f32 v[6:7], v[12:13], v[18:19] op_sel_hi:[0,1]
	s_waitcnt lgkmcnt(0)
	v_lshl_add_u64 v[20:21], v[16:17], 3, s[0:1]
	v_pk_fma_f32 v[16:17], v[44:45], v[4:5], v[6:7] op_sel_hi:[1,0,1]
	v_pk_mul_f32 v[4:5], v[10:11], v[18:19] op_sel_hi:[0,1]
	v_pk_fma_f32 v[2:3], v[44:45], v[2:3], v[4:5] op_sel_hi:[1,0,1]
	v_pk_mul_f32 v[4:5], v[8:9], v[18:19] op_sel_hi:[0,1]
	v_pk_fma_f32 v[4:5], v[44:45], v[0:1], v[4:5] op_sel_hi:[1,0,1]
	global_store_dwordx4 v[20:21], v[14:17], off
	global_store_dwordx4 v[20:21], v[2:5], off offset:16
                                        ; implicit-def: $vgpr6
                                        ; implicit-def: $vgpr14
                                        ; implicit-def: $vgpr4
                                        ; implicit-def: $vgpr12
                                        ; implicit-def: $vgpr2
                                        ; implicit-def: $vgpr10
                                        ; implicit-def: $vgpr0
                                        ; implicit-def: $vgpr8
                                        ; implicit-def: $vgpr44_vgpr45
                                        ; implicit-def: $vgpr46_vgpr47
                                        ; implicit-def: $vgpr16
.LBB34_36:
	s_andn2_saveexec_b64 s[2:3], s[2:3]
	s_cbranch_execz .LBB34_6
; %bb.37:
	v_ashrrev_i32_e32 v17, 31, v16
	s_waitcnt lgkmcnt(0)
	v_lshl_add_u64 v[24:25], v[16:17], 3, s[0:1]
	global_load_dwordx4 v[16:19], v[24:25], off
	global_load_dwordx4 v[20:23], v[24:25], off offset:16
	v_xor_b32_e32 v26, 0x80000000, v45
	v_mov_b32_e32 v27, v44
	v_pk_mul_f32 v[14:15], v[14:15], v[26:27] op_sel_hi:[0,1]
	v_pk_mul_f32 v[12:13], v[12:13], v[26:27] op_sel_hi:[0,1]
	;; [unrolled: 1-line block ×4, first 2 shown]
	v_pk_fma_f32 v[6:7], v[44:45], v[6:7], v[14:15] op_sel_hi:[1,0,1]
	v_pk_fma_f32 v[4:5], v[44:45], v[4:5], v[12:13] op_sel_hi:[1,0,1]
	v_xor_b32_e32 v28, 0x80000000, v47
	v_mov_b32_e32 v29, v46
	v_pk_fma_f32 v[2:3], v[44:45], v[2:3], v[10:11] op_sel_hi:[1,0,1]
	v_pk_fma_f32 v[0:1], v[44:45], v[0:1], v[8:9] op_sel_hi:[1,0,1]
	s_waitcnt vmcnt(1)
	v_pk_fma_f32 v[6:7], v[46:47], v[16:17], v[6:7] op_sel_hi:[1,0,1]
	v_pk_fma_f32 v[4:5], v[46:47], v[18:19], v[4:5] op_sel_hi:[1,0,1]
	v_mov_b32_e32 v8, v19
	s_waitcnt vmcnt(0)
	v_pk_fma_f32 v[10:11], v[46:47], v[20:21], v[2:3] op_sel_hi:[1,0,1]
	v_pk_fma_f32 v[12:13], v[46:47], v[22:23], v[0:1] op_sel_hi:[1,0,1]
	v_mov_b32_e32 v14, v23
	v_pk_fma_f32 v[0:1], v[28:29], v[16:17], v[6:7] op_sel:[0,1,0]
	v_pk_fma_f32 v[2:3], v[28:29], v[8:9], v[4:5] op_sel_hi:[1,0,1]
	v_pk_fma_f32 v[4:5], v[28:29], v[20:21], v[10:11] op_sel:[0,1,0]
	v_pk_fma_f32 v[6:7], v[28:29], v[14:15], v[12:13] op_sel_hi:[1,0,1]
	global_store_dwordx4 v[24:25], v[0:3], off
	global_store_dwordx4 v[24:25], v[4:7], off offset:16
	s_endpgm
	.section	.rodata,"a",@progbits
	.p2align	6, 0x0
	.amdhsa_kernel _ZN9rocsparseL18bsrxmvn_4x4_kernelILj128ELj64E21rocsparse_complex_numIfEliS2_S2_S2_EEvT3_20rocsparse_direction_NS_24const_host_device_scalarIT1_EES3_PKS3_PKT2_SC_S9_PKT4_PKT5_S7_PT6_21rocsparse_index_base_b
		.amdhsa_group_segment_fixed_size 0
		.amdhsa_private_segment_fixed_size 0
		.amdhsa_kernarg_size 96
		.amdhsa_user_sgpr_count 2
		.amdhsa_user_sgpr_dispatch_ptr 0
		.amdhsa_user_sgpr_queue_ptr 0
		.amdhsa_user_sgpr_kernarg_segment_ptr 1
		.amdhsa_user_sgpr_dispatch_id 0
		.amdhsa_user_sgpr_kernarg_preload_length 0
		.amdhsa_user_sgpr_kernarg_preload_offset 0
		.amdhsa_user_sgpr_private_segment_size 0
		.amdhsa_uses_dynamic_stack 0
		.amdhsa_enable_private_segment 0
		.amdhsa_system_sgpr_workgroup_id_x 1
		.amdhsa_system_sgpr_workgroup_id_y 0
		.amdhsa_system_sgpr_workgroup_id_z 0
		.amdhsa_system_sgpr_workgroup_info 0
		.amdhsa_system_vgpr_workitem_id 0
		.amdhsa_next_free_vgpr 104
		.amdhsa_next_free_sgpr 32
		.amdhsa_accum_offset 104
		.amdhsa_reserve_vcc 1
		.amdhsa_float_round_mode_32 0
		.amdhsa_float_round_mode_16_64 0
		.amdhsa_float_denorm_mode_32 3
		.amdhsa_float_denorm_mode_16_64 3
		.amdhsa_dx10_clamp 1
		.amdhsa_ieee_mode 1
		.amdhsa_fp16_overflow 0
		.amdhsa_tg_split 0
		.amdhsa_exception_fp_ieee_invalid_op 0
		.amdhsa_exception_fp_denorm_src 0
		.amdhsa_exception_fp_ieee_div_zero 0
		.amdhsa_exception_fp_ieee_overflow 0
		.amdhsa_exception_fp_ieee_underflow 0
		.amdhsa_exception_fp_ieee_inexact 0
		.amdhsa_exception_int_div_zero 0
	.end_amdhsa_kernel
	.section	.text._ZN9rocsparseL18bsrxmvn_4x4_kernelILj128ELj64E21rocsparse_complex_numIfEliS2_S2_S2_EEvT3_20rocsparse_direction_NS_24const_host_device_scalarIT1_EES3_PKS3_PKT2_SC_S9_PKT4_PKT5_S7_PT6_21rocsparse_index_base_b,"axG",@progbits,_ZN9rocsparseL18bsrxmvn_4x4_kernelILj128ELj64E21rocsparse_complex_numIfEliS2_S2_S2_EEvT3_20rocsparse_direction_NS_24const_host_device_scalarIT1_EES3_PKS3_PKT2_SC_S9_PKT4_PKT5_S7_PT6_21rocsparse_index_base_b,comdat
.Lfunc_end34:
	.size	_ZN9rocsparseL18bsrxmvn_4x4_kernelILj128ELj64E21rocsparse_complex_numIfEliS2_S2_S2_EEvT3_20rocsparse_direction_NS_24const_host_device_scalarIT1_EES3_PKS3_PKT2_SC_S9_PKT4_PKT5_S7_PT6_21rocsparse_index_base_b, .Lfunc_end34-_ZN9rocsparseL18bsrxmvn_4x4_kernelILj128ELj64E21rocsparse_complex_numIfEliS2_S2_S2_EEvT3_20rocsparse_direction_NS_24const_host_device_scalarIT1_EES3_PKS3_PKT2_SC_S9_PKT4_PKT5_S7_PT6_21rocsparse_index_base_b
                                        ; -- End function
	.set _ZN9rocsparseL18bsrxmvn_4x4_kernelILj128ELj64E21rocsparse_complex_numIfEliS2_S2_S2_EEvT3_20rocsparse_direction_NS_24const_host_device_scalarIT1_EES3_PKS3_PKT2_SC_S9_PKT4_PKT5_S7_PT6_21rocsparse_index_base_b.num_vgpr, 104
	.set _ZN9rocsparseL18bsrxmvn_4x4_kernelILj128ELj64E21rocsparse_complex_numIfEliS2_S2_S2_EEvT3_20rocsparse_direction_NS_24const_host_device_scalarIT1_EES3_PKS3_PKT2_SC_S9_PKT4_PKT5_S7_PT6_21rocsparse_index_base_b.num_agpr, 0
	.set _ZN9rocsparseL18bsrxmvn_4x4_kernelILj128ELj64E21rocsparse_complex_numIfEliS2_S2_S2_EEvT3_20rocsparse_direction_NS_24const_host_device_scalarIT1_EES3_PKS3_PKT2_SC_S9_PKT4_PKT5_S7_PT6_21rocsparse_index_base_b.numbered_sgpr, 32
	.set _ZN9rocsparseL18bsrxmvn_4x4_kernelILj128ELj64E21rocsparse_complex_numIfEliS2_S2_S2_EEvT3_20rocsparse_direction_NS_24const_host_device_scalarIT1_EES3_PKS3_PKT2_SC_S9_PKT4_PKT5_S7_PT6_21rocsparse_index_base_b.num_named_barrier, 0
	.set _ZN9rocsparseL18bsrxmvn_4x4_kernelILj128ELj64E21rocsparse_complex_numIfEliS2_S2_S2_EEvT3_20rocsparse_direction_NS_24const_host_device_scalarIT1_EES3_PKS3_PKT2_SC_S9_PKT4_PKT5_S7_PT6_21rocsparse_index_base_b.private_seg_size, 0
	.set _ZN9rocsparseL18bsrxmvn_4x4_kernelILj128ELj64E21rocsparse_complex_numIfEliS2_S2_S2_EEvT3_20rocsparse_direction_NS_24const_host_device_scalarIT1_EES3_PKS3_PKT2_SC_S9_PKT4_PKT5_S7_PT6_21rocsparse_index_base_b.uses_vcc, 1
	.set _ZN9rocsparseL18bsrxmvn_4x4_kernelILj128ELj64E21rocsparse_complex_numIfEliS2_S2_S2_EEvT3_20rocsparse_direction_NS_24const_host_device_scalarIT1_EES3_PKS3_PKT2_SC_S9_PKT4_PKT5_S7_PT6_21rocsparse_index_base_b.uses_flat_scratch, 0
	.set _ZN9rocsparseL18bsrxmvn_4x4_kernelILj128ELj64E21rocsparse_complex_numIfEliS2_S2_S2_EEvT3_20rocsparse_direction_NS_24const_host_device_scalarIT1_EES3_PKS3_PKT2_SC_S9_PKT4_PKT5_S7_PT6_21rocsparse_index_base_b.has_dyn_sized_stack, 0
	.set _ZN9rocsparseL18bsrxmvn_4x4_kernelILj128ELj64E21rocsparse_complex_numIfEliS2_S2_S2_EEvT3_20rocsparse_direction_NS_24const_host_device_scalarIT1_EES3_PKS3_PKT2_SC_S9_PKT4_PKT5_S7_PT6_21rocsparse_index_base_b.has_recursion, 0
	.set _ZN9rocsparseL18bsrxmvn_4x4_kernelILj128ELj64E21rocsparse_complex_numIfEliS2_S2_S2_EEvT3_20rocsparse_direction_NS_24const_host_device_scalarIT1_EES3_PKS3_PKT2_SC_S9_PKT4_PKT5_S7_PT6_21rocsparse_index_base_b.has_indirect_call, 0
	.section	.AMDGPU.csdata,"",@progbits
; Kernel info:
; codeLenInByte = 7556
; TotalNumSgprs: 38
; NumVgprs: 104
; NumAgprs: 0
; TotalNumVgprs: 104
; ScratchSize: 0
; MemoryBound: 0
; FloatMode: 240
; IeeeMode: 1
; LDSByteSize: 0 bytes/workgroup (compile time only)
; SGPRBlocks: 4
; VGPRBlocks: 12
; NumSGPRsForWavesPerEU: 38
; NumVGPRsForWavesPerEU: 104
; AccumOffset: 104
; Occupancy: 4
; WaveLimiterHint : 1
; COMPUTE_PGM_RSRC2:SCRATCH_EN: 0
; COMPUTE_PGM_RSRC2:USER_SGPR: 2
; COMPUTE_PGM_RSRC2:TRAP_HANDLER: 0
; COMPUTE_PGM_RSRC2:TGID_X_EN: 1
; COMPUTE_PGM_RSRC2:TGID_Y_EN: 0
; COMPUTE_PGM_RSRC2:TGID_Z_EN: 0
; COMPUTE_PGM_RSRC2:TIDIG_COMP_CNT: 0
; COMPUTE_PGM_RSRC3_GFX90A:ACCUM_OFFSET: 25
; COMPUTE_PGM_RSRC3_GFX90A:TG_SPLIT: 0
	.section	.text._ZN9rocsparseL18bsrxmvn_4x4_kernelILj128ELj4E21rocsparse_complex_numIdEliS2_S2_S2_EEvT3_20rocsparse_direction_NS_24const_host_device_scalarIT1_EES3_PKS3_PKT2_SC_S9_PKT4_PKT5_S7_PT6_21rocsparse_index_base_b,"axG",@progbits,_ZN9rocsparseL18bsrxmvn_4x4_kernelILj128ELj4E21rocsparse_complex_numIdEliS2_S2_S2_EEvT3_20rocsparse_direction_NS_24const_host_device_scalarIT1_EES3_PKS3_PKT2_SC_S9_PKT4_PKT5_S7_PT6_21rocsparse_index_base_b,comdat
	.globl	_ZN9rocsparseL18bsrxmvn_4x4_kernelILj128ELj4E21rocsparse_complex_numIdEliS2_S2_S2_EEvT3_20rocsparse_direction_NS_24const_host_device_scalarIT1_EES3_PKS3_PKT2_SC_S9_PKT4_PKT5_S7_PT6_21rocsparse_index_base_b ; -- Begin function _ZN9rocsparseL18bsrxmvn_4x4_kernelILj128ELj4E21rocsparse_complex_numIdEliS2_S2_S2_EEvT3_20rocsparse_direction_NS_24const_host_device_scalarIT1_EES3_PKS3_PKT2_SC_S9_PKT4_PKT5_S7_PT6_21rocsparse_index_base_b
	.p2align	8
	.type	_ZN9rocsparseL18bsrxmvn_4x4_kernelILj128ELj4E21rocsparse_complex_numIdEliS2_S2_S2_EEvT3_20rocsparse_direction_NS_24const_host_device_scalarIT1_EES3_PKS3_PKT2_SC_S9_PKT4_PKT5_S7_PT6_21rocsparse_index_base_b,@function
_ZN9rocsparseL18bsrxmvn_4x4_kernelILj128ELj4E21rocsparse_complex_numIdEliS2_S2_S2_EEvT3_20rocsparse_direction_NS_24const_host_device_scalarIT1_EES3_PKS3_PKT2_SC_S9_PKT4_PKT5_S7_PT6_21rocsparse_index_base_b: ; @_ZN9rocsparseL18bsrxmvn_4x4_kernelILj128ELj4E21rocsparse_complex_numIdEliS2_S2_S2_EEvT3_20rocsparse_direction_NS_24const_host_device_scalarIT1_EES3_PKS3_PKT2_SC_S9_PKT4_PKT5_S7_PT6_21rocsparse_index_base_b
; %bb.0:
	s_load_dwordx2 s[4:5], s[0:1], 0x8
	s_load_dwordx2 s[12:13], s[0:1], 0x68
	s_add_u32 s3, s0, 8
	s_addc_u32 s8, s1, 0
	s_add_u32 s9, s0, 0x50
	s_load_dwordx2 s[6:7], s[0:1], 0x50
	s_addc_u32 s10, s1, 0
	s_waitcnt lgkmcnt(0)
	s_bitcmp1_b32 s13, 0
	s_cselect_b32 s5, s8, s5
	s_cselect_b32 s3, s3, s4
	v_mov_b32_e32 v2, s3
	v_mov_b32_e32 v3, s5
	flat_load_dwordx4 v[6:9], v[2:3]
	s_cselect_b32 s3, s10, s7
	s_cselect_b32 s4, s9, s6
	v_mov_b32_e32 v2, s4
	v_mov_b32_e32 v3, s3
	flat_load_dwordx4 v[2:5], v[2:3]
	s_waitcnt vmcnt(0) lgkmcnt(0)
	v_cmp_eq_f64_e32 vcc, 0, v[6:7]
	v_cmp_eq_f64_e64 s[4:5], 0, v[8:9]
	s_and_b64 s[8:9], vcc, s[4:5]
	s_mov_b64 s[4:5], -1
	s_and_saveexec_b64 s[6:7], s[8:9]
; %bb.1:
	v_cmp_neq_f64_e32 vcc, 1.0, v[2:3]
	v_cmp_neq_f64_e64 s[4:5], 0, v[4:5]
	s_or_b64 s[4:5], vcc, s[4:5]
	s_orn2_b64 s[4:5], s[4:5], exec
; %bb.2:
	s_or_b64 exec, exec, s[6:7]
	s_and_saveexec_b64 s[6:7], s[4:5]
	s_cbranch_execz .LBB35_8
; %bb.3:
	s_load_dwordx2 s[4:5], s[0:1], 0x20
	s_load_dwordx2 s[14:15], s[0:1], 0x0
	v_lshrrev_b32_e32 v1, 2, v0
	v_lshl_or_b32 v26, s2, 5, v1
	s_mov_b64 s[2:3], 0
	s_waitcnt lgkmcnt(0)
	s_cmp_lg_u64 s[4:5], 0
	s_cbranch_scc0 .LBB35_9
; %bb.4:
	s_load_dword s6, s[0:1], 0x18
                                        ; implicit-def: $vgpr1
	s_waitcnt lgkmcnt(0)
	v_cmp_gt_i32_e32 vcc, s6, v26
	s_and_saveexec_b64 s[6:7], vcc
	s_xor_b64 s[6:7], exec, s[6:7]
	s_cbranch_execz .LBB35_6
; %bb.5:
	v_ashrrev_i32_e32 v27, 31, v26
	v_lshl_add_u64 v[10:11], v[26:27], 2, s[4:5]
	global_load_dword v1, v[10:11], off
	s_mov_b64 s[2:3], exec
	s_waitcnt vmcnt(0)
	v_subrev_u32_e32 v1, s12, v1
.LBB35_6:
	s_or_b64 exec, exec, s[6:7]
	s_branch .LBB35_10
.LBB35_7:
	v_cmp_gt_i32_e32 vcc, s14, v26
	s_andn2_b64 s[2:3], s[2:3], exec
	s_and_b64 s[4:5], vcc, exec
	s_or_b64 s[2:3], s[2:3], s[4:5]
	s_and_b64 exec, exec, s[2:3]
	s_cbranch_execnz .LBB35_11
.LBB35_8:
	s_endpgm
.LBB35_9:
                                        ; implicit-def: $vgpr1
	s_cbranch_execnz .LBB35_7
.LBB35_10:
	v_mov_b32_e32 v26, v1
	s_and_b64 exec, exec, s[2:3]
	s_cbranch_execz .LBB35_8
.LBB35_11:
	s_load_dwordx8 s[4:11], s[0:1], 0x28
	v_ashrrev_i32_e32 v27, 31, v26
	v_lshlrev_b64 v[10:11], 3, v[26:27]
	v_and_b32_e32 v0, 3, v0
	v_mov_b32_e32 v1, 0
	s_waitcnt lgkmcnt(0)
	v_lshl_add_u64 v[12:13], s[4:5], 0, v[10:11]
	s_cmp_eq_u64 s[6:7], 0
	v_lshl_add_u64 v[10:11], s[6:7], 0, v[10:11]
	global_load_dwordx2 v[42:43], v[12:13], off
	v_lshl_add_u64 v[12:13], v[12:13], 0, 8
	s_cselect_b64 vcc, -1, 0
	v_cndmask_b32_e32 v11, v11, v13, vcc
	v_cndmask_b32_e32 v10, v10, v12, vcc
	global_load_dwordx2 v[10:11], v[10:11], off
	s_load_dwordx2 s[4:5], s[0:1], 0x48
	s_cmp_eq_u32 s15, 1
	s_waitcnt vmcnt(1)
	v_subrev_co_u32_e32 v12, vcc, s12, v42
	s_nop 1
	v_subbrev_co_u32_e32 v13, vcc, 0, v43, vcc
	v_lshl_add_u64 v[28:29], v[12:13], 0, v[0:1]
	s_waitcnt vmcnt(0)
	v_subrev_co_u32_e32 v30, vcc, s12, v10
	s_nop 1
	v_subbrev_co_u32_e32 v31, vcc, 0, v11, vcc
	v_lshlrev_b64 v[10:11], 8, v[28:29]
	v_lshl_add_u64 v[32:33], s[10:11], 0, v[10:11]
	v_cmp_lt_i64_e64 s[2:3], v[28:29], v[30:31]
	s_cbranch_scc1 .LBB35_23
; %bb.12:
	v_mov_b64_e32 v[36:37], 0
	v_mov_b64_e32 v[50:51], 0
	;; [unrolled: 1-line block ×8, first 2 shown]
	s_and_saveexec_b64 s[6:7], s[2:3]
	s_cbranch_execz .LBB35_22
; %bb.13:
	v_or_b32_e32 v1, 4, v0
	v_subrev_co_u32_e32 v10, vcc, s12, v1
	v_not_b32_e32 v13, v43
	s_nop 0
	v_subb_co_u32_e64 v11, s[10:11], 0, 0, vcc
	v_lshl_add_u64 v[10:11], v[10:11], 0, v[42:43]
	v_cmp_gt_i64_e32 vcc, v[10:11], v[30:31]
	v_not_b32_e32 v12, v42
	v_mov_b64_e32 v[40:41], 0
	v_cndmask_b32_e32 v11, v31, v11, vcc
	v_cndmask_b32_e32 v10, v30, v10, vcc
	v_sub_co_u32_e32 v14, vcc, s12, v0
	v_mov_b64_e32 v[52:53], 0
	s_nop 0
	v_subb_co_u32_e64 v15, s[10:11], 0, 0, vcc
	v_lshl_add_u64 v[12:13], v[14:15], 0, v[12:13]
	v_lshl_add_u64 v[18:19], v[12:13], 0, v[10:11]
	v_and_b32_e32 v10, 12, v18
	v_mov_b32_e32 v11, 0
	v_cmp_ne_u64_e32 vcc, 12, v[10:11]
	v_mov_b64_e32 v[38:39], 0
	v_mov_b64_e32 v[54:55], 0
	;; [unrolled: 1-line block ×8, first 2 shown]
	s_and_saveexec_b64 s[10:11], vcc
	s_cbranch_execz .LBB35_17
; %bb.14:
	v_lshrrev_b32_e32 v1, 2, v18
	v_add_u32_e32 v1, 1, v1
	v_and_b32_e32 v1, 3, v1
	v_sub_co_u32_e32 v22, vcc, 0, v1
	v_lshl_add_u64 v[20:21], v[28:29], 2, s[8:9]
	s_nop 0
	v_subb_co_u32_e64 v23, s[16:17], 0, 0, vcc
	s_mov_b64 s[14:15], 0
	v_mov_b64_e32 v[36:37], 0
	s_mov_b64 s[16:17], 0x400
	v_mov_b64_e32 v[46:47], v[28:29]
	v_mov_b64_e32 v[44:45], v[32:33]
	;; [unrolled: 1-line block ×9, first 2 shown]
.LBB35_15:                              ; =>This Inner Loop Header: Depth=1
	global_load_dword v1, v[20:21], off
	global_load_dwordx4 v[10:13], v[44:45], off offset:16
	global_load_dwordx4 v[14:17], v[44:45], off
	global_load_dwordx4 v[58:61], v[44:45], off offset:80
	global_load_dwordx4 v[62:65], v[44:45], off offset:64
	;; [unrolled: 1-line block ×14, first 2 shown]
	v_lshl_add_u64 v[22:23], v[22:23], 0, 1
	v_cmp_eq_u64_e32 vcc, 0, v[22:23]
	v_lshl_add_u64 v[44:45], v[44:45], 0, s[16:17]
	v_lshl_add_u64 v[46:47], v[46:47], 0, 4
	;; [unrolled: 1-line block ×3, first 2 shown]
	s_or_b64 s[14:15], vcc, s[14:15]
	s_waitcnt vmcnt(16)
	v_subrev_u32_e32 v1, s12, v1
	v_lshlrev_b32_e32 v24, 2, v1
	v_ashrrev_i32_e32 v25, 31, v24
	s_waitcnt lgkmcnt(0)
	v_lshl_add_u64 v[24:25], v[24:25], 4, s[4:5]
	global_load_dwordx4 v[114:117], v[24:25], off
	global_load_dwordx4 v[118:121], v[24:25], off offset:16
	global_load_dwordx4 v[122:125], v[24:25], off offset:32
	;; [unrolled: 1-line block ×3, first 2 shown]
	s_waitcnt vmcnt(3)
	v_fmac_f64_e32 v[50:51], v[14:15], v[114:115]
	v_fmac_f64_e32 v[36:37], v[16:17], v[114:115]
	v_fmac_f64_e32 v[52:53], v[62:63], v[114:115]
	v_fmac_f64_e32 v[40:41], v[64:65], v[114:115]
	v_fmac_f64_e32 v[54:55], v[70:71], v[114:115]
	v_fmac_f64_e32 v[38:39], v[72:73], v[114:115]
	v_fmac_f64_e32 v[56:57], v[74:75], v[114:115]
	v_fmac_f64_e32 v[34:35], v[76:77], v[114:115]
	v_fma_f64 v[16:17], -v[16:17], v[116:117], v[50:51]
	v_fmac_f64_e32 v[36:37], v[14:15], v[116:117]
	v_fma_f64 v[14:15], -v[64:65], v[116:117], v[52:53]
	v_fmac_f64_e32 v[40:41], v[62:63], v[116:117]
	v_fma_f64 v[24:25], -v[72:73], v[116:117], v[54:55]
	v_fmac_f64_e32 v[38:39], v[70:71], v[116:117]
	v_fma_f64 v[48:49], -v[76:77], v[116:117], v[56:57]
	v_fmac_f64_e32 v[34:35], v[74:75], v[116:117]
	s_waitcnt vmcnt(2)
	v_fmac_f64_e32 v[16:17], v[10:11], v[118:119]
	v_fmac_f64_e32 v[36:37], v[12:13], v[118:119]
	v_fmac_f64_e32 v[14:15], v[58:59], v[118:119]
	v_fmac_f64_e32 v[40:41], v[60:61], v[118:119]
	v_fmac_f64_e32 v[24:25], v[66:67], v[118:119]
	v_fmac_f64_e32 v[38:39], v[68:69], v[118:119]
	v_fmac_f64_e32 v[48:49], v[78:79], v[118:119]
	v_fmac_f64_e32 v[34:35], v[80:81], v[118:119]
	v_fma_f64 v[12:13], -v[12:13], v[120:121], v[16:17]
	v_fmac_f64_e32 v[36:37], v[10:11], v[120:121]
	v_fma_f64 v[10:11], -v[60:61], v[120:121], v[14:15]
	v_fmac_f64_e32 v[40:41], v[58:59], v[120:121]
	v_fma_f64 v[14:15], -v[68:69], v[120:121], v[24:25]
	v_fmac_f64_e32 v[38:39], v[66:67], v[120:121]
	v_fma_f64 v[16:17], -v[80:81], v[120:121], v[48:49]
	v_fmac_f64_e32 v[34:35], v[78:79], v[120:121]
	;; [unrolled: 17-line block ×4, first 2 shown]
	s_andn2_b64 exec, exec, s[14:15]
	s_cbranch_execnz .LBB35_15
; %bb.16:
	s_or_b64 exec, exec, s[14:15]
.LBB35_17:
	s_or_b64 exec, exec, s[10:11]
	v_cmp_lt_u64_e32 vcc, 11, v[18:19]
	s_and_saveexec_b64 s[10:11], vcc
	s_cbranch_execz .LBB35_21
; %bb.18:
	v_lshl_add_u64 v[10:11], v[46:47], 2, s[8:9]
	v_lshl_add_u64 v[48:49], v[10:11], 0, 32
	s_mov_b64 s[14:15], 0
	s_mov_b64 s[16:17], 0x1000
.LBB35_19:                              ; =>This Inner Loop Header: Depth=1
	global_load_dword v1, v[48:49], off offset:-32
	global_load_dwordx4 v[58:61], v[44:45], off offset:48
	global_load_dwordx4 v[62:65], v[44:45], off offset:32
	;; [unrolled: 1-line block ×3, first 2 shown]
	global_load_dwordx4 v[70:73], v[44:45], off
	v_lshl_add_u64 v[46:47], v[46:47], 0, 16
	v_cmp_ge_i64_e32 vcc, v[46:47], v[30:31]
	s_or_b64 s[14:15], vcc, s[14:15]
	s_waitcnt vmcnt(4)
	v_subrev_u32_e32 v1, s12, v1
	v_lshlrev_b32_e32 v10, 2, v1
	v_ashrrev_i32_e32 v11, 31, v10
	s_waitcnt lgkmcnt(0)
	v_lshl_add_u64 v[74:75], v[10:11], 4, s[4:5]
	global_load_dwordx4 v[10:13], v[74:75], off offset:48
	global_load_dwordx4 v[14:17], v[74:75], off offset:32
	;; [unrolled: 1-line block ×3, first 2 shown]
	global_load_dwordx4 v[22:25], v[74:75], off
	s_waitcnt vmcnt(0)
	v_fmac_f64_e32 v[50:51], v[70:71], v[22:23]
	v_fmac_f64_e32 v[36:37], v[72:73], v[22:23]
	v_fma_f64 v[50:51], -v[72:73], v[24:25], v[50:51]
	v_fmac_f64_e32 v[36:37], v[70:71], v[24:25]
	v_fmac_f64_e32 v[50:51], v[66:67], v[18:19]
	v_fmac_f64_e32 v[36:37], v[68:69], v[18:19]
	v_fma_f64 v[50:51], -v[68:69], v[20:21], v[50:51]
	v_fmac_f64_e32 v[36:37], v[66:67], v[20:21]
	v_fmac_f64_e32 v[50:51], v[62:63], v[14:15]
	v_fmac_f64_e32 v[36:37], v[64:65], v[14:15]
	v_fma_f64 v[50:51], -v[64:65], v[16:17], v[50:51]
	v_fmac_f64_e32 v[36:37], v[62:63], v[16:17]
	v_fmac_f64_e32 v[50:51], v[58:59], v[10:11]
	v_fmac_f64_e32 v[36:37], v[60:61], v[10:11]
	v_fma_f64 v[50:51], -v[60:61], v[12:13], v[50:51]
	v_fmac_f64_e32 v[36:37], v[58:59], v[12:13]
	global_load_dwordx4 v[58:61], v[44:45], off offset:112
	global_load_dwordx4 v[62:65], v[44:45], off offset:96
	global_load_dwordx4 v[66:69], v[44:45], off offset:80
	global_load_dwordx4 v[70:73], v[44:45], off offset:64
	s_waitcnt vmcnt(0)
	v_fmac_f64_e32 v[52:53], v[70:71], v[22:23]
	v_fmac_f64_e32 v[40:41], v[72:73], v[22:23]
	v_fma_f64 v[52:53], -v[72:73], v[24:25], v[52:53]
	v_fmac_f64_e32 v[40:41], v[70:71], v[24:25]
	v_fmac_f64_e32 v[52:53], v[66:67], v[18:19]
	v_fmac_f64_e32 v[40:41], v[68:69], v[18:19]
	v_fma_f64 v[52:53], -v[68:69], v[20:21], v[52:53]
	v_fmac_f64_e32 v[40:41], v[66:67], v[20:21]
	v_fmac_f64_e32 v[52:53], v[62:63], v[14:15]
	v_fmac_f64_e32 v[40:41], v[64:65], v[14:15]
	v_fma_f64 v[52:53], -v[64:65], v[16:17], v[52:53]
	v_fmac_f64_e32 v[40:41], v[62:63], v[16:17]
	v_fmac_f64_e32 v[52:53], v[58:59], v[10:11]
	v_fmac_f64_e32 v[40:41], v[60:61], v[10:11]
	v_fma_f64 v[52:53], -v[60:61], v[12:13], v[52:53]
	v_fmac_f64_e32 v[40:41], v[58:59], v[12:13]
	global_load_dwordx4 v[58:61], v[44:45], off offset:176
	global_load_dwordx4 v[62:65], v[44:45], off offset:160
	global_load_dwordx4 v[66:69], v[44:45], off offset:144
	global_load_dwordx4 v[70:73], v[44:45], off offset:128
	;; [unrolled: 21-line block ×3, first 2 shown]
	global_load_dword v1, v[48:49], off offset:-16
	s_waitcnt vmcnt(1)
	v_fmac_f64_e32 v[56:57], v[70:71], v[22:23]
	v_fmac_f64_e32 v[34:35], v[72:73], v[22:23]
	v_fma_f64 v[56:57], -v[72:73], v[24:25], v[56:57]
	v_fmac_f64_e32 v[34:35], v[70:71], v[24:25]
	v_fmac_f64_e32 v[56:57], v[66:67], v[18:19]
	v_fmac_f64_e32 v[34:35], v[68:69], v[18:19]
	v_fma_f64 v[22:23], -v[68:69], v[20:21], v[56:57]
	v_fmac_f64_e32 v[34:35], v[66:67], v[20:21]
	;; [unrolled: 4-line block ×3, first 2 shown]
	s_waitcnt vmcnt(0)
	v_subrev_u32_e32 v1, s12, v1
	v_fmac_f64_e32 v[18:19], v[58:59], v[10:11]
	v_fmac_f64_e32 v[34:35], v[60:61], v[10:11]
	v_lshlrev_b32_e32 v10, 2, v1
	v_ashrrev_i32_e32 v11, 31, v10
	v_lshl_add_u64 v[10:11], v[10:11], 4, s[4:5]
	v_fma_f64 v[76:77], -v[60:61], v[12:13], v[18:19]
	v_fmac_f64_e32 v[34:35], v[58:59], v[12:13]
	global_load_dwordx4 v[12:15], v[44:45], off offset:1072
	global_load_dwordx4 v[16:19], v[44:45], off offset:1056
	;; [unrolled: 1-line block ×7, first 2 shown]
	global_load_dwordx4 v[72:75], v[10:11], off
	s_waitcnt vmcnt(0)
	v_fmac_f64_e32 v[50:51], v[56:57], v[72:73]
	v_fma_f64 v[10:11], -v[58:59], v[74:75], v[50:51]
	v_fmac_f64_e32 v[36:37], v[58:59], v[72:73]
	v_fmac_f64_e32 v[36:37], v[56:57], v[74:75]
	v_fmac_f64_e32 v[10:11], v[20:21], v[68:69]
	v_fma_f64 v[10:11], -v[22:23], v[70:71], v[10:11]
	v_fmac_f64_e32 v[36:37], v[22:23], v[68:69]
	v_fmac_f64_e32 v[36:37], v[20:21], v[70:71]
	;; [unrolled: 4-line block ×3, first 2 shown]
	v_fmac_f64_e32 v[10:11], v[12:13], v[60:61]
	v_fma_f64 v[10:11], -v[14:15], v[62:63], v[10:11]
	v_fmac_f64_e32 v[36:37], v[14:15], v[60:61]
	global_load_dwordx4 v[14:17], v[44:45], off offset:1136
	global_load_dwordx4 v[18:21], v[44:45], off offset:1120
	;; [unrolled: 1-line block ×4, first 2 shown]
	v_fmac_f64_e32 v[36:37], v[12:13], v[62:63]
	s_waitcnt vmcnt(0)
	v_fmac_f64_e32 v[52:53], v[56:57], v[72:73]
	v_fma_f64 v[12:13], -v[58:59], v[74:75], v[52:53]
	v_fmac_f64_e32 v[40:41], v[58:59], v[72:73]
	v_fmac_f64_e32 v[40:41], v[56:57], v[74:75]
	v_fmac_f64_e32 v[12:13], v[22:23], v[68:69]
	v_fma_f64 v[12:13], -v[24:25], v[70:71], v[12:13]
	v_fmac_f64_e32 v[40:41], v[24:25], v[68:69]
	v_fmac_f64_e32 v[40:41], v[22:23], v[70:71]
	;; [unrolled: 4-line block ×3, first 2 shown]
	v_fmac_f64_e32 v[12:13], v[14:15], v[60:61]
	v_fma_f64 v[12:13], -v[16:17], v[62:63], v[12:13]
	v_fmac_f64_e32 v[40:41], v[16:17], v[60:61]
	global_load_dwordx4 v[16:19], v[44:45], off offset:1200
	global_load_dwordx4 v[20:23], v[44:45], off offset:1184
	;; [unrolled: 1-line block ×4, first 2 shown]
	v_fmac_f64_e32 v[40:41], v[14:15], v[62:63]
	s_waitcnt vmcnt(0)
	v_fmac_f64_e32 v[54:55], v[56:57], v[72:73]
	v_fma_f64 v[14:15], -v[58:59], v[74:75], v[54:55]
	v_fmac_f64_e32 v[38:39], v[58:59], v[72:73]
	v_fmac_f64_e32 v[38:39], v[56:57], v[74:75]
	v_fmac_f64_e32 v[14:15], v[50:51], v[68:69]
	v_fma_f64 v[14:15], -v[52:53], v[70:71], v[14:15]
	v_fmac_f64_e32 v[38:39], v[52:53], v[68:69]
	v_fmac_f64_e32 v[38:39], v[50:51], v[70:71]
	;; [unrolled: 4-line block ×3, first 2 shown]
	v_fmac_f64_e32 v[14:15], v[16:17], v[60:61]
	v_fma_f64 v[14:15], -v[18:19], v[62:63], v[14:15]
	v_fmac_f64_e32 v[38:39], v[18:19], v[60:61]
	global_load_dwordx4 v[18:21], v[44:45], off offset:1264
	global_load_dwordx4 v[22:25], v[44:45], off offset:1248
	;; [unrolled: 1-line block ×4, first 2 shown]
	global_load_dword v1, v[48:49], off
	v_fmac_f64_e32 v[38:39], v[16:17], v[62:63]
	s_waitcnt vmcnt(1)
	v_fmac_f64_e32 v[76:77], v[54:55], v[72:73]
	v_fmac_f64_e32 v[34:35], v[56:57], v[72:73]
	v_fma_f64 v[16:17], -v[56:57], v[74:75], v[76:77]
	v_fmac_f64_e32 v[34:35], v[54:55], v[74:75]
	v_fmac_f64_e32 v[16:17], v[50:51], v[68:69]
	;; [unrolled: 1-line block ×3, first 2 shown]
	v_fma_f64 v[16:17], -v[52:53], v[70:71], v[16:17]
	v_fmac_f64_e32 v[34:35], v[50:51], v[70:71]
	s_waitcnt vmcnt(0)
	v_subrev_u32_e32 v1, s12, v1
	v_fmac_f64_e32 v[16:17], v[22:23], v[64:65]
	v_fmac_f64_e32 v[34:35], v[24:25], v[64:65]
	v_lshlrev_b32_e32 v58, 2, v1
	v_fma_f64 v[16:17], -v[24:25], v[66:67], v[16:17]
	v_fmac_f64_e32 v[34:35], v[22:23], v[66:67]
	v_ashrrev_i32_e32 v59, 31, v58
	v_fmac_f64_e32 v[16:17], v[18:19], v[60:61]
	v_fmac_f64_e32 v[34:35], v[20:21], v[60:61]
	v_lshl_add_u64 v[74:75], v[58:59], 4, s[4:5]
	v_fma_f64 v[16:17], -v[20:21], v[62:63], v[16:17]
	v_fmac_f64_e32 v[34:35], v[18:19], v[62:63]
	global_load_dwordx4 v[18:21], v[44:45], off offset:2096
	global_load_dwordx4 v[22:25], v[44:45], off offset:2080
	;; [unrolled: 1-line block ×7, first 2 shown]
	global_load_dwordx4 v[70:73], v[74:75], off
	s_waitcnt vmcnt(0)
	v_fmac_f64_e32 v[10:11], v[54:55], v[70:71]
	v_fmac_f64_e32 v[36:37], v[56:57], v[70:71]
	v_fma_f64 v[10:11], -v[56:57], v[72:73], v[10:11]
	v_fmac_f64_e32 v[36:37], v[54:55], v[72:73]
	v_fmac_f64_e32 v[10:11], v[50:51], v[66:67]
	v_fmac_f64_e32 v[36:37], v[52:53], v[66:67]
	v_fma_f64 v[10:11], -v[52:53], v[68:69], v[10:11]
	v_fmac_f64_e32 v[36:37], v[50:51], v[68:69]
	v_fmac_f64_e32 v[10:11], v[22:23], v[62:63]
	v_fmac_f64_e32 v[36:37], v[24:25], v[62:63]
	v_fma_f64 v[10:11], -v[24:25], v[64:65], v[10:11]
	v_fmac_f64_e32 v[36:37], v[22:23], v[64:65]
	v_fmac_f64_e32 v[10:11], v[18:19], v[58:59]
	v_fmac_f64_e32 v[36:37], v[20:21], v[58:59]
	v_fma_f64 v[50:51], -v[20:21], v[60:61], v[10:11]
	v_fmac_f64_e32 v[36:37], v[18:19], v[60:61]
	global_load_dwordx4 v[18:21], v[44:45], off offset:2160
	global_load_dwordx4 v[22:25], v[44:45], off offset:2144
	global_load_dwordx4 v[52:55], v[44:45], off offset:2128
	global_load_dwordx4 v[74:77], v[44:45], off offset:2112
	s_waitcnt vmcnt(0)
	v_fmac_f64_e32 v[12:13], v[74:75], v[70:71]
	v_fmac_f64_e32 v[40:41], v[76:77], v[70:71]
	v_fma_f64 v[10:11], -v[76:77], v[72:73], v[12:13]
	v_fmac_f64_e32 v[40:41], v[74:75], v[72:73]
	v_fmac_f64_e32 v[10:11], v[52:53], v[66:67]
	v_fmac_f64_e32 v[40:41], v[54:55], v[66:67]
	v_fma_f64 v[10:11], -v[54:55], v[68:69], v[10:11]
	v_fmac_f64_e32 v[40:41], v[52:53], v[68:69]
	v_fmac_f64_e32 v[10:11], v[22:23], v[62:63]
	v_fmac_f64_e32 v[40:41], v[24:25], v[62:63]
	v_fma_f64 v[10:11], -v[24:25], v[64:65], v[10:11]
	v_fmac_f64_e32 v[40:41], v[22:23], v[64:65]
	v_fmac_f64_e32 v[10:11], v[18:19], v[58:59]
	v_fmac_f64_e32 v[40:41], v[20:21], v[58:59]
	v_fma_f64 v[52:53], -v[20:21], v[60:61], v[10:11]
	v_fmac_f64_e32 v[40:41], v[18:19], v[60:61]
	global_load_dwordx4 v[10:13], v[44:45], off offset:2224
	global_load_dwordx4 v[18:21], v[44:45], off offset:2208
	global_load_dwordx4 v[22:25], v[44:45], off offset:2192
	global_load_dwordx4 v[54:57], v[44:45], off offset:2176
	;; [unrolled: 21-line block ×3, first 2 shown]
	global_load_dword v1, v[48:49], off offset:16
	v_lshl_add_u64 v[48:49], v[48:49], 0, 64
	s_waitcnt vmcnt(1)
	v_fmac_f64_e32 v[34:35], v[76:77], v[70:71]
	v_fmac_f64_e32 v[16:17], v[74:75], v[70:71]
	v_fmac_f64_e32 v[34:35], v[74:75], v[72:73]
	v_fma_f64 v[14:15], -v[76:77], v[72:73], v[16:17]
	v_fmac_f64_e32 v[34:35], v[24:25], v[66:67]
	v_fmac_f64_e32 v[14:15], v[22:23], v[66:67]
	v_fmac_f64_e32 v[34:35], v[22:23], v[68:69]
	v_fma_f64 v[14:15], -v[24:25], v[68:69], v[14:15]
	;; [unrolled: 4-line block ×3, first 2 shown]
	v_fmac_f64_e32 v[34:35], v[12:13], v[58:59]
	s_waitcnt vmcnt(0)
	v_subrev_u32_e32 v1, s12, v1
	v_fmac_f64_e32 v[14:15], v[10:11], v[58:59]
	v_fmac_f64_e32 v[34:35], v[10:11], v[60:61]
	v_lshlrev_b32_e32 v10, 2, v1
	v_ashrrev_i32_e32 v11, 31, v10
	v_lshl_add_u64 v[74:75], v[10:11], 4, s[4:5]
	v_fma_f64 v[56:57], -v[12:13], v[60:61], v[14:15]
	global_load_dwordx4 v[58:61], v[44:45], off offset:3120
	global_load_dwordx4 v[62:65], v[44:45], off offset:3104
	;; [unrolled: 1-line block ×7, first 2 shown]
	global_load_dwordx4 v[22:25], v[74:75], off
	s_waitcnt vmcnt(0)
	v_fmac_f64_e32 v[50:51], v[70:71], v[22:23]
	v_fmac_f64_e32 v[36:37], v[72:73], v[22:23]
	v_fma_f64 v[50:51], -v[72:73], v[24:25], v[50:51]
	v_fmac_f64_e32 v[36:37], v[70:71], v[24:25]
	v_fmac_f64_e32 v[50:51], v[66:67], v[18:19]
	v_fmac_f64_e32 v[36:37], v[68:69], v[18:19]
	v_fma_f64 v[50:51], -v[68:69], v[20:21], v[50:51]
	v_fmac_f64_e32 v[36:37], v[66:67], v[20:21]
	v_fmac_f64_e32 v[50:51], v[62:63], v[14:15]
	v_fmac_f64_e32 v[36:37], v[64:65], v[14:15]
	v_fma_f64 v[50:51], -v[64:65], v[16:17], v[50:51]
	v_fmac_f64_e32 v[36:37], v[62:63], v[16:17]
	v_fmac_f64_e32 v[50:51], v[58:59], v[10:11]
	v_fmac_f64_e32 v[36:37], v[60:61], v[10:11]
	v_fma_f64 v[50:51], -v[60:61], v[12:13], v[50:51]
	v_fmac_f64_e32 v[36:37], v[58:59], v[12:13]
	global_load_dwordx4 v[58:61], v[44:45], off offset:3184
	global_load_dwordx4 v[62:65], v[44:45], off offset:3168
	global_load_dwordx4 v[66:69], v[44:45], off offset:3152
	global_load_dwordx4 v[70:73], v[44:45], off offset:3136
	s_waitcnt vmcnt(0)
	v_fmac_f64_e32 v[52:53], v[70:71], v[22:23]
	v_fmac_f64_e32 v[40:41], v[72:73], v[22:23]
	v_fma_f64 v[52:53], -v[72:73], v[24:25], v[52:53]
	v_fmac_f64_e32 v[40:41], v[70:71], v[24:25]
	v_fmac_f64_e32 v[52:53], v[66:67], v[18:19]
	v_fmac_f64_e32 v[40:41], v[68:69], v[18:19]
	v_fma_f64 v[52:53], -v[68:69], v[20:21], v[52:53]
	v_fmac_f64_e32 v[40:41], v[66:67], v[20:21]
	v_fmac_f64_e32 v[52:53], v[62:63], v[14:15]
	v_fmac_f64_e32 v[40:41], v[64:65], v[14:15]
	v_fma_f64 v[52:53], -v[64:65], v[16:17], v[52:53]
	v_fmac_f64_e32 v[40:41], v[62:63], v[16:17]
	v_fmac_f64_e32 v[52:53], v[58:59], v[10:11]
	v_fmac_f64_e32 v[40:41], v[60:61], v[10:11]
	v_fma_f64 v[52:53], -v[60:61], v[12:13], v[52:53]
	v_fmac_f64_e32 v[40:41], v[58:59], v[12:13]
	global_load_dwordx4 v[58:61], v[44:45], off offset:3248
	global_load_dwordx4 v[62:65], v[44:45], off offset:3232
	global_load_dwordx4 v[66:69], v[44:45], off offset:3216
	global_load_dwordx4 v[70:73], v[44:45], off offset:3200
	s_waitcnt vmcnt(0)
	v_fmac_f64_e32 v[54:55], v[70:71], v[22:23]
	v_fmac_f64_e32 v[38:39], v[72:73], v[22:23]
	v_fma_f64 v[54:55], -v[72:73], v[24:25], v[54:55]
	v_fmac_f64_e32 v[38:39], v[70:71], v[24:25]
	v_fmac_f64_e32 v[54:55], v[66:67], v[18:19]
	v_fmac_f64_e32 v[38:39], v[68:69], v[18:19]
	v_fma_f64 v[54:55], -v[68:69], v[20:21], v[54:55]
	v_fmac_f64_e32 v[38:39], v[66:67], v[20:21]
	v_fmac_f64_e32 v[54:55], v[62:63], v[14:15]
	v_fmac_f64_e32 v[38:39], v[64:65], v[14:15]
	v_fma_f64 v[54:55], -v[64:65], v[16:17], v[54:55]
	v_fmac_f64_e32 v[38:39], v[62:63], v[16:17]
	v_fmac_f64_e32 v[54:55], v[58:59], v[10:11]
	v_fmac_f64_e32 v[38:39], v[60:61], v[10:11]
	v_fma_f64 v[54:55], -v[60:61], v[12:13], v[54:55]
	v_fmac_f64_e32 v[38:39], v[58:59], v[12:13]
	global_load_dwordx4 v[58:61], v[44:45], off offset:3312
	global_load_dwordx4 v[62:65], v[44:45], off offset:3296
	global_load_dwordx4 v[66:69], v[44:45], off offset:3280
	global_load_dwordx4 v[70:73], v[44:45], off offset:3264
	v_lshl_add_u64 v[44:45], v[44:45], 0, s[16:17]
	s_waitcnt vmcnt(0)
	v_fmac_f64_e32 v[56:57], v[70:71], v[22:23]
	v_fmac_f64_e32 v[34:35], v[72:73], v[22:23]
	v_fma_f64 v[56:57], -v[72:73], v[24:25], v[56:57]
	v_fmac_f64_e32 v[34:35], v[70:71], v[24:25]
	v_fmac_f64_e32 v[56:57], v[66:67], v[18:19]
	v_fmac_f64_e32 v[34:35], v[68:69], v[18:19]
	v_fma_f64 v[22:23], -v[68:69], v[20:21], v[56:57]
	v_fmac_f64_e32 v[34:35], v[66:67], v[20:21]
	;; [unrolled: 4-line block ×4, first 2 shown]
	s_andn2_b64 exec, exec, s[14:15]
	s_cbranch_execnz .LBB35_19
; %bb.20:
	s_or_b64 exec, exec, s[14:15]
.LBB35_21:
	s_or_b64 exec, exec, s[10:11]
.LBB35_22:
	s_or_b64 exec, exec, s[6:7]
	s_cbranch_execz .LBB35_24
	s_branch .LBB35_35
.LBB35_23:
                                        ; implicit-def: $vgpr36_vgpr37
                                        ; implicit-def: $vgpr50_vgpr51
                                        ; implicit-def: $vgpr56_vgpr57
                                        ; implicit-def: $vgpr34_vgpr35
                                        ; implicit-def: $vgpr54_vgpr55
                                        ; implicit-def: $vgpr38_vgpr39
                                        ; implicit-def: $vgpr52_vgpr53
                                        ; implicit-def: $vgpr40_vgpr41
.LBB35_24:
	v_mov_b64_e32 v[36:37], 0
	v_mov_b64_e32 v[50:51], 0
	;; [unrolled: 1-line block ×8, first 2 shown]
	s_and_saveexec_b64 s[6:7], s[2:3]
	s_cbranch_execz .LBB35_34
; %bb.25:
	v_or_b32_e32 v1, 4, v0
	v_subrev_co_u32_e32 v10, vcc, s12, v1
	v_not_b32_e32 v13, v43
	s_nop 0
	v_subb_co_u32_e64 v11, s[2:3], 0, 0, vcc
	v_lshl_add_u64 v[10:11], v[10:11], 0, v[42:43]
	v_cmp_gt_i64_e32 vcc, v[10:11], v[30:31]
	v_not_b32_e32 v12, v42
	v_mov_b64_e32 v[40:41], 0
	v_cndmask_b32_e32 v11, v31, v11, vcc
	v_cndmask_b32_e32 v10, v30, v10, vcc
	v_sub_co_u32_e32 v14, vcc, s12, v0
	v_mov_b64_e32 v[52:53], 0
	s_nop 0
	v_subb_co_u32_e64 v15, s[2:3], 0, 0, vcc
	v_lshl_add_u64 v[12:13], v[14:15], 0, v[12:13]
	v_lshl_add_u64 v[42:43], v[12:13], 0, v[10:11]
	v_and_b32_e32 v10, 12, v42
	v_mov_b32_e32 v11, 0
	v_cmp_ne_u64_e32 vcc, 12, v[10:11]
	v_mov_b64_e32 v[38:39], 0
	v_mov_b64_e32 v[54:55], 0
	;; [unrolled: 1-line block ×6, first 2 shown]
	s_and_saveexec_b64 s[2:3], vcc
	s_cbranch_execz .LBB35_29
; %bb.26:
	v_lshrrev_b32_e32 v1, 2, v42
	v_add_u32_e32 v1, 1, v1
	v_and_b32_e32 v1, 3, v1
	v_sub_co_u32_e32 v46, vcc, 0, v1
	v_lshl_add_u64 v[44:45], v[28:29], 2, s[8:9]
	s_nop 0
	v_subb_co_u32_e64 v47, s[14:15], 0, 0, vcc
	s_mov_b64 s[10:11], 0
	v_mov_b64_e32 v[36:37], 0
	s_mov_b64 s[14:15], 0x400
	v_mov_b64_e32 v[50:51], 0
	v_mov_b64_e32 v[56:57], 0
	;; [unrolled: 1-line block ×7, first 2 shown]
.LBB35_27:                              ; =>This Inner Loop Header: Depth=1
	global_load_dword v1, v[44:45], off
	global_load_dwordx4 v[10:13], v[32:33], off offset:48
	global_load_dwordx4 v[14:17], v[32:33], off offset:32
	;; [unrolled: 1-line block ×3, first 2 shown]
	global_load_dwordx4 v[22:25], v[32:33], off
	global_load_dwordx4 v[58:61], v[32:33], off offset:112
	global_load_dwordx4 v[62:65], v[32:33], off offset:96
	;; [unrolled: 1-line block ×12, first 2 shown]
	v_lshl_add_u64 v[46:47], v[46:47], 0, 1
	v_cmp_eq_u64_e32 vcc, 0, v[46:47]
	v_lshl_add_u64 v[32:33], v[32:33], 0, s[14:15]
	v_lshl_add_u64 v[28:29], v[28:29], 0, 4
	v_lshl_add_u64 v[44:45], v[44:45], 0, 16
	s_or_b64 s[10:11], vcc, s[10:11]
	s_waitcnt vmcnt(16)
	v_subrev_u32_e32 v1, s12, v1
	v_lshlrev_b32_e32 v48, 2, v1
	v_ashrrev_i32_e32 v49, 31, v48
	s_waitcnt lgkmcnt(0)
	v_lshl_add_u64 v[48:49], v[48:49], 4, s[4:5]
	global_load_dwordx4 v[106:109], v[48:49], off
	global_load_dwordx4 v[110:113], v[48:49], off offset:16
	global_load_dwordx4 v[114:117], v[48:49], off offset:32
	global_load_dwordx4 v[118:121], v[48:49], off offset:48
	s_waitcnt vmcnt(3)
	v_fmac_f64_e32 v[50:51], v[22:23], v[106:107]
	v_fmac_f64_e32 v[36:37], v[24:25], v[106:107]
	v_fmac_f64_e32 v[52:53], v[18:19], v[106:107]
	v_fmac_f64_e32 v[40:41], v[20:21], v[106:107]
	v_fmac_f64_e32 v[54:55], v[14:15], v[106:107]
	v_fmac_f64_e32 v[38:39], v[16:17], v[106:107]
	v_fmac_f64_e32 v[56:57], v[10:11], v[106:107]
	v_fmac_f64_e32 v[34:35], v[12:13], v[106:107]
	v_fma_f64 v[24:25], -v[24:25], v[108:109], v[50:51]
	v_fmac_f64_e32 v[36:37], v[22:23], v[108:109]
	v_fma_f64 v[20:21], -v[20:21], v[108:109], v[52:53]
	v_fmac_f64_e32 v[40:41], v[18:19], v[108:109]
	v_fma_f64 v[16:17], -v[16:17], v[108:109], v[54:55]
	v_fmac_f64_e32 v[38:39], v[14:15], v[108:109]
	v_fma_f64 v[12:13], -v[12:13], v[108:109], v[56:57]
	v_fmac_f64_e32 v[34:35], v[10:11], v[108:109]
	s_waitcnt vmcnt(2)
	v_fmac_f64_e32 v[24:25], v[70:71], v[110:111]
	v_fmac_f64_e32 v[36:37], v[72:73], v[110:111]
	v_fmac_f64_e32 v[20:21], v[66:67], v[110:111]
	v_fmac_f64_e32 v[40:41], v[68:69], v[110:111]
	v_fmac_f64_e32 v[16:17], v[62:63], v[110:111]
	v_fmac_f64_e32 v[38:39], v[64:65], v[110:111]
	v_fmac_f64_e32 v[12:13], v[58:59], v[110:111]
	v_fmac_f64_e32 v[34:35], v[60:61], v[110:111]
	v_fma_f64 v[10:11], -v[72:73], v[112:113], v[24:25]
	v_fmac_f64_e32 v[36:37], v[70:71], v[112:113]
	v_fma_f64 v[14:15], -v[68:69], v[112:113], v[20:21]
	v_fmac_f64_e32 v[40:41], v[66:67], v[112:113]
	v_fma_f64 v[16:17], -v[64:65], v[112:113], v[16:17]
	v_fmac_f64_e32 v[38:39], v[62:63], v[112:113]
	v_fma_f64 v[12:13], -v[60:61], v[112:113], v[12:13]
	v_fmac_f64_e32 v[34:35], v[58:59], v[112:113]
	;; [unrolled: 17-line block ×4, first 2 shown]
	s_andn2_b64 exec, exec, s[10:11]
	s_cbranch_execnz .LBB35_27
; %bb.28:
	s_or_b64 exec, exec, s[10:11]
.LBB35_29:
	s_or_b64 exec, exec, s[2:3]
	v_cmp_lt_u64_e32 vcc, 11, v[42:43]
	s_and_saveexec_b64 s[2:3], vcc
	s_cbranch_execz .LBB35_33
; %bb.30:
	v_lshl_add_u64 v[10:11], v[28:29], 2, s[8:9]
	v_lshl_add_u64 v[18:19], v[10:11], 0, 32
	s_mov_b64 s[8:9], 0
	s_mov_b64 s[10:11], 0x1000
.LBB35_31:                              ; =>This Inner Loop Header: Depth=1
	global_load_dword v1, v[18:19], off offset:-32
	global_load_dwordx4 v[14:17], v[32:33], off offset:48
	global_load_dwordx4 v[20:23], v[32:33], off offset:32
	;; [unrolled: 1-line block ×3, first 2 shown]
	global_load_dwordx4 v[46:49], v[32:33], off
	v_lshl_add_u64 v[28:29], v[28:29], 0, 16
	v_cmp_ge_i64_e32 vcc, v[28:29], v[30:31]
	s_or_b64 s[8:9], vcc, s[8:9]
	s_waitcnt vmcnt(4)
	v_subrev_u32_e32 v1, s12, v1
	v_lshlrev_b32_e32 v10, 2, v1
	v_ashrrev_i32_e32 v11, 31, v10
	s_waitcnt lgkmcnt(0)
	v_lshl_add_u64 v[24:25], v[10:11], 4, s[4:5]
	global_load_dwordx4 v[10:13], v[24:25], off offset:48
	global_load_dwordx4 v[58:61], v[24:25], off offset:32
	;; [unrolled: 1-line block ×3, first 2 shown]
	global_load_dwordx4 v[66:69], v[24:25], off
	s_waitcnt vmcnt(0)
	v_fmac_f64_e32 v[50:51], v[46:47], v[66:67]
	v_fmac_f64_e32 v[36:37], v[48:49], v[66:67]
	;; [unrolled: 1-line block ×8, first 2 shown]
	v_fma_f64 v[24:25], -v[48:49], v[68:69], v[50:51]
	v_fmac_f64_e32 v[36:37], v[46:47], v[68:69]
	v_fma_f64 v[50:51], -v[44:45], v[68:69], v[52:53]
	v_fmac_f64_e32 v[40:41], v[42:43], v[68:69]
	;; [unrolled: 2-line block ×4, first 2 shown]
	global_load_dwordx4 v[14:17], v[32:33], off offset:112
	global_load_dwordx4 v[20:23], v[32:33], off offset:96
	;; [unrolled: 1-line block ×4, first 2 shown]
	s_waitcnt vmcnt(3)
	v_fmac_f64_e32 v[54:55], v[14:15], v[62:63]
	s_waitcnt vmcnt(2)
	v_fmac_f64_e32 v[52:53], v[20:21], v[62:63]
	;; [unrolled: 2-line block ×4, first 2 shown]
	v_fmac_f64_e32 v[36:37], v[48:49], v[62:63]
	v_fmac_f64_e32 v[40:41], v[44:45], v[62:63]
	;; [unrolled: 1-line block ×4, first 2 shown]
	v_fma_f64 v[24:25], -v[48:49], v[64:65], v[24:25]
	v_fmac_f64_e32 v[36:37], v[46:47], v[64:65]
	v_fma_f64 v[50:51], -v[44:45], v[64:65], v[50:51]
	v_fmac_f64_e32 v[40:41], v[42:43], v[64:65]
	;; [unrolled: 2-line block ×4, first 2 shown]
	global_load_dwordx4 v[14:17], v[32:33], off offset:176
	global_load_dwordx4 v[20:23], v[32:33], off offset:160
	;; [unrolled: 1-line block ×4, first 2 shown]
	s_waitcnt vmcnt(3)
	v_fmac_f64_e32 v[54:55], v[14:15], v[58:59]
	s_waitcnt vmcnt(2)
	v_fmac_f64_e32 v[52:53], v[20:21], v[58:59]
	s_waitcnt vmcnt(1)
	v_fmac_f64_e32 v[50:51], v[42:43], v[58:59]
	s_waitcnt vmcnt(0)
	v_fmac_f64_e32 v[24:25], v[46:47], v[58:59]
	v_fmac_f64_e32 v[36:37], v[48:49], v[58:59]
	v_fmac_f64_e32 v[40:41], v[44:45], v[58:59]
	;; [unrolled: 1-line block ×4, first 2 shown]
	v_fma_f64 v[24:25], -v[48:49], v[60:61], v[24:25]
	v_fmac_f64_e32 v[36:37], v[46:47], v[60:61]
	v_fma_f64 v[50:51], -v[44:45], v[60:61], v[50:51]
	v_fmac_f64_e32 v[40:41], v[42:43], v[60:61]
	;; [unrolled: 2-line block ×4, first 2 shown]
	global_load_dwordx4 v[14:17], v[32:33], off offset:240
	global_load_dwordx4 v[20:23], v[32:33], off offset:224
	;; [unrolled: 1-line block ×4, first 2 shown]
	global_load_dword v1, v[18:19], off offset:-16
	s_waitcnt vmcnt(4)
	v_fmac_f64_e32 v[54:55], v[14:15], v[10:11]
	s_waitcnt vmcnt(3)
	v_fmac_f64_e32 v[52:53], v[20:21], v[10:11]
	;; [unrolled: 2-line block ×4, first 2 shown]
	s_waitcnt vmcnt(0)
	v_subrev_u32_e32 v1, s12, v1
	v_fmac_f64_e32 v[24:25], v[46:47], v[10:11]
	v_fmac_f64_e32 v[36:37], v[46:47], v[12:13]
	v_lshlrev_b32_e32 v46, 2, v1
	v_ashrrev_i32_e32 v47, 31, v46
	v_fmac_f64_e32 v[40:41], v[44:45], v[10:11]
	v_fmac_f64_e32 v[38:39], v[22:23], v[10:11]
	;; [unrolled: 1-line block ×3, first 2 shown]
	v_lshl_add_u64 v[68:69], v[46:47], 4, s[4:5]
	v_fma_f64 v[24:25], -v[48:49], v[12:13], v[24:25]
	v_fma_f64 v[62:63], -v[44:45], v[12:13], v[50:51]
	v_fmac_f64_e32 v[40:41], v[42:43], v[12:13]
	v_fma_f64 v[64:65], -v[22:23], v[12:13], v[52:53]
	v_fmac_f64_e32 v[38:39], v[20:21], v[12:13]
	;; [unrolled: 2-line block ×3, first 2 shown]
	global_load_dwordx4 v[10:13], v[32:33], off offset:1072
	global_load_dwordx4 v[14:17], v[32:33], off offset:1056
	;; [unrolled: 1-line block ×7, first 2 shown]
	global_load_dwordx4 v[58:61], v[68:69], off
	s_waitcnt vmcnt(0)
	v_fmac_f64_e32 v[24:25], v[42:43], v[58:59]
	v_fmac_f64_e32 v[36:37], v[44:45], v[58:59]
	;; [unrolled: 1-line block ×8, first 2 shown]
	v_fma_f64 v[24:25], -v[44:45], v[60:61], v[24:25]
	v_fmac_f64_e32 v[36:37], v[42:43], v[60:61]
	v_fma_f64 v[62:63], -v[22:23], v[60:61], v[62:63]
	v_fmac_f64_e32 v[40:41], v[20:21], v[60:61]
	v_fma_f64 v[64:65], -v[16:17], v[60:61], v[64:65]
	v_fmac_f64_e32 v[38:39], v[14:15], v[60:61]
	v_fma_f64 v[66:67], -v[12:13], v[60:61], v[66:67]
	v_fmac_f64_e32 v[34:35], v[10:11], v[60:61]
	global_load_dwordx4 v[10:13], v[32:33], off offset:1136
	global_load_dwordx4 v[14:17], v[32:33], off offset:1120
	;; [unrolled: 1-line block ×4, first 2 shown]
	s_waitcnt vmcnt(3)
	v_fmac_f64_e32 v[66:67], v[10:11], v[54:55]
	s_waitcnt vmcnt(2)
	v_fmac_f64_e32 v[64:65], v[14:15], v[54:55]
	;; [unrolled: 2-line block ×4, first 2 shown]
	v_fmac_f64_e32 v[36:37], v[44:45], v[54:55]
	v_fmac_f64_e32 v[40:41], v[22:23], v[54:55]
	;; [unrolled: 1-line block ×4, first 2 shown]
	v_fma_f64 v[24:25], -v[44:45], v[56:57], v[24:25]
	v_fmac_f64_e32 v[36:37], v[42:43], v[56:57]
	v_fma_f64 v[58:59], -v[22:23], v[56:57], v[62:63]
	v_fmac_f64_e32 v[40:41], v[20:21], v[56:57]
	;; [unrolled: 2-line block ×4, first 2 shown]
	global_load_dwordx4 v[10:13], v[32:33], off offset:1200
	global_load_dwordx4 v[14:17], v[32:33], off offset:1184
	;; [unrolled: 1-line block ×4, first 2 shown]
	s_waitcnt vmcnt(3)
	v_fmac_f64_e32 v[62:63], v[10:11], v[50:51]
	s_waitcnt vmcnt(2)
	v_fmac_f64_e32 v[60:61], v[14:15], v[50:51]
	;; [unrolled: 2-line block ×4, first 2 shown]
	v_fmac_f64_e32 v[36:37], v[44:45], v[50:51]
	v_fmac_f64_e32 v[40:41], v[22:23], v[50:51]
	;; [unrolled: 1-line block ×4, first 2 shown]
	v_fma_f64 v[24:25], -v[44:45], v[52:53], v[24:25]
	v_fmac_f64_e32 v[36:37], v[42:43], v[52:53]
	v_fma_f64 v[54:55], -v[22:23], v[52:53], v[58:59]
	v_fmac_f64_e32 v[40:41], v[20:21], v[52:53]
	;; [unrolled: 2-line block ×4, first 2 shown]
	global_load_dwordx4 v[10:13], v[32:33], off offset:1264
	global_load_dwordx4 v[14:17], v[32:33], off offset:1248
	;; [unrolled: 1-line block ×4, first 2 shown]
	global_load_dword v1, v[18:19], off
	s_waitcnt vmcnt(4)
	v_fmac_f64_e32 v[58:59], v[10:11], v[46:47]
	s_waitcnt vmcnt(3)
	v_fmac_f64_e32 v[56:57], v[14:15], v[46:47]
	;; [unrolled: 2-line block ×4, first 2 shown]
	s_waitcnt vmcnt(0)
	v_subrev_u32_e32 v1, s12, v1
	v_fmac_f64_e32 v[36:37], v[44:45], v[46:47]
	v_fmac_f64_e32 v[40:41], v[22:23], v[46:47]
	;; [unrolled: 1-line block ×4, first 2 shown]
	v_lshlrev_b32_e32 v46, 2, v1
	v_ashrrev_i32_e32 v47, 31, v46
	v_lshl_add_u64 v[68:69], v[46:47], 4, s[4:5]
	v_fma_f64 v[24:25], -v[44:45], v[48:49], v[24:25]
	v_fmac_f64_e32 v[36:37], v[42:43], v[48:49]
	v_fma_f64 v[62:63], -v[22:23], v[48:49], v[54:55]
	v_fmac_f64_e32 v[40:41], v[20:21], v[48:49]
	;; [unrolled: 2-line block ×4, first 2 shown]
	global_load_dwordx4 v[10:13], v[32:33], off offset:2096
	global_load_dwordx4 v[14:17], v[32:33], off offset:2080
	;; [unrolled: 1-line block ×7, first 2 shown]
	global_load_dwordx4 v[58:61], v[68:69], off
	s_waitcnt vmcnt(0)
	v_fmac_f64_e32 v[24:25], v[42:43], v[58:59]
	v_fmac_f64_e32 v[36:37], v[44:45], v[58:59]
	;; [unrolled: 1-line block ×8, first 2 shown]
	v_fma_f64 v[24:25], -v[44:45], v[60:61], v[24:25]
	v_fmac_f64_e32 v[36:37], v[42:43], v[60:61]
	v_fma_f64 v[62:63], -v[22:23], v[60:61], v[62:63]
	v_fmac_f64_e32 v[40:41], v[20:21], v[60:61]
	;; [unrolled: 2-line block ×4, first 2 shown]
	global_load_dwordx4 v[10:13], v[32:33], off offset:2160
	global_load_dwordx4 v[14:17], v[32:33], off offset:2144
	global_load_dwordx4 v[20:23], v[32:33], off offset:2128
	global_load_dwordx4 v[42:45], v[32:33], off offset:2112
	s_waitcnt vmcnt(3)
	v_fmac_f64_e32 v[66:67], v[10:11], v[54:55]
	s_waitcnt vmcnt(2)
	v_fmac_f64_e32 v[64:65], v[14:15], v[54:55]
	s_waitcnt vmcnt(1)
	v_fmac_f64_e32 v[62:63], v[20:21], v[54:55]
	s_waitcnt vmcnt(0)
	v_fmac_f64_e32 v[24:25], v[42:43], v[54:55]
	v_fmac_f64_e32 v[36:37], v[44:45], v[54:55]
	v_fmac_f64_e32 v[40:41], v[22:23], v[54:55]
	;; [unrolled: 1-line block ×4, first 2 shown]
	v_fma_f64 v[24:25], -v[44:45], v[56:57], v[24:25]
	v_fmac_f64_e32 v[36:37], v[42:43], v[56:57]
	v_fma_f64 v[58:59], -v[22:23], v[56:57], v[62:63]
	v_fmac_f64_e32 v[40:41], v[20:21], v[56:57]
	;; [unrolled: 2-line block ×4, first 2 shown]
	global_load_dwordx4 v[10:13], v[32:33], off offset:2224
	global_load_dwordx4 v[14:17], v[32:33], off offset:2208
	;; [unrolled: 1-line block ×4, first 2 shown]
	s_waitcnt vmcnt(3)
	v_fmac_f64_e32 v[62:63], v[10:11], v[50:51]
	s_waitcnt vmcnt(2)
	v_fmac_f64_e32 v[60:61], v[14:15], v[50:51]
	;; [unrolled: 2-line block ×4, first 2 shown]
	v_fmac_f64_e32 v[36:37], v[44:45], v[50:51]
	v_fmac_f64_e32 v[38:39], v[16:17], v[50:51]
	;; [unrolled: 1-line block ×3, first 2 shown]
	v_fma_f64 v[54:55], -v[44:45], v[52:53], v[24:25]
	v_fmac_f64_e32 v[36:37], v[42:43], v[52:53]
	v_fma_f64 v[56:57], -v[22:23], v[52:53], v[58:59]
	v_fmac_f64_e32 v[40:41], v[22:23], v[50:51]
	;; [unrolled: 2-line block ×4, first 2 shown]
	global_load_dwordx4 v[10:13], v[32:33], off offset:2288
	global_load_dwordx4 v[14:17], v[32:33], off offset:2272
	;; [unrolled: 1-line block ×4, first 2 shown]
	global_load_dword v1, v[18:19], off offset:16
	v_fmac_f64_e32 v[40:41], v[20:21], v[52:53]
	v_lshl_add_u64 v[18:19], v[18:19], 0, 64
	s_waitcnt vmcnt(4)
	v_fmac_f64_e32 v[34:35], v[12:13], v[46:47]
	v_fmac_f64_e32 v[60:61], v[10:11], v[46:47]
	;; [unrolled: 1-line block ×3, first 2 shown]
	s_waitcnt vmcnt(1)
	v_fmac_f64_e32 v[54:55], v[22:23], v[46:47]
	s_waitcnt vmcnt(0)
	v_subrev_u32_e32 v1, s12, v1
	v_lshlrev_b32_e32 v10, 2, v1
	v_ashrrev_i32_e32 v11, 31, v10
	v_fmac_f64_e32 v[36:37], v[24:25], v[46:47]
	v_fmac_f64_e32 v[56:57], v[42:43], v[46:47]
	;; [unrolled: 1-line block ×5, first 2 shown]
	v_lshl_add_u64 v[68:69], v[10:11], 4, s[4:5]
	v_fma_f64 v[20:21], -v[24:25], v[48:49], v[54:55]
	v_fmac_f64_e32 v[36:37], v[22:23], v[48:49]
	v_fma_f64 v[22:23], -v[44:45], v[48:49], v[56:57]
	v_fmac_f64_e32 v[40:41], v[42:43], v[48:49]
	;; [unrolled: 2-line block ×3, first 2 shown]
	v_fma_f64 v[42:43], -v[12:13], v[48:49], v[60:61]
	global_load_dwordx4 v[44:47], v[32:33], off offset:3120
	global_load_dwordx4 v[48:51], v[32:33], off offset:3104
	global_load_dwordx4 v[52:55], v[32:33], off offset:3088
	global_load_dwordx4 v[56:59], v[32:33], off offset:3072
	global_load_dwordx4 v[10:13], v[68:69], off offset:48
	global_load_dwordx4 v[14:17], v[68:69], off offset:32
	global_load_dwordx4 v[60:63], v[68:69], off offset:16
	global_load_dwordx4 v[64:67], v[68:69], off
	s_waitcnt vmcnt(0)
	v_fmac_f64_e32 v[20:21], v[56:57], v[64:65]
	v_fmac_f64_e32 v[36:37], v[58:59], v[64:65]
	;; [unrolled: 1-line block ×8, first 2 shown]
	v_fma_f64 v[68:69], -v[58:59], v[66:67], v[20:21]
	v_fmac_f64_e32 v[36:37], v[56:57], v[66:67]
	v_fma_f64 v[56:57], -v[54:55], v[66:67], v[22:23]
	v_fmac_f64_e32 v[40:41], v[52:53], v[66:67]
	;; [unrolled: 2-line block ×4, first 2 shown]
	global_load_dwordx4 v[20:23], v[32:33], off offset:3184
	global_load_dwordx4 v[42:45], v[32:33], off offset:3168
	;; [unrolled: 1-line block ×4, first 2 shown]
	s_waitcnt vmcnt(3)
	v_fmac_f64_e32 v[54:55], v[20:21], v[60:61]
	s_waitcnt vmcnt(2)
	v_fmac_f64_e32 v[24:25], v[42:43], v[60:61]
	;; [unrolled: 2-line block ×4, first 2 shown]
	v_fmac_f64_e32 v[36:37], v[52:53], v[60:61]
	v_fmac_f64_e32 v[40:41], v[48:49], v[60:61]
	;; [unrolled: 1-line block ×4, first 2 shown]
	v_fma_f64 v[58:59], -v[52:53], v[62:63], v[68:69]
	v_fmac_f64_e32 v[36:37], v[50:51], v[62:63]
	v_fma_f64 v[56:57], -v[48:49], v[62:63], v[56:57]
	v_fmac_f64_e32 v[40:41], v[46:47], v[62:63]
	;; [unrolled: 2-line block ×4, first 2 shown]
	global_load_dwordx4 v[20:23], v[32:33], off offset:3248
	global_load_dwordx4 v[42:45], v[32:33], off offset:3232
	;; [unrolled: 1-line block ×4, first 2 shown]
	s_waitcnt vmcnt(3)
	v_fmac_f64_e32 v[54:55], v[20:21], v[14:15]
	s_waitcnt vmcnt(2)
	v_fmac_f64_e32 v[24:25], v[42:43], v[14:15]
	;; [unrolled: 2-line block ×4, first 2 shown]
	v_fmac_f64_e32 v[36:37], v[52:53], v[14:15]
	v_fmac_f64_e32 v[40:41], v[48:49], v[14:15]
	;; [unrolled: 1-line block ×4, first 2 shown]
	v_fma_f64 v[58:59], -v[52:53], v[16:17], v[58:59]
	v_fmac_f64_e32 v[36:37], v[50:51], v[16:17]
	v_fma_f64 v[52:53], -v[48:49], v[16:17], v[56:57]
	v_fmac_f64_e32 v[40:41], v[46:47], v[16:17]
	v_fma_f64 v[24:25], -v[44:45], v[16:17], v[24:25]
	v_fmac_f64_e32 v[38:39], v[42:43], v[16:17]
	v_fma_f64 v[56:57], -v[22:23], v[16:17], v[54:55]
	v_fmac_f64_e32 v[34:35], v[20:21], v[16:17]
	global_load_dwordx4 v[14:17], v[32:33], off offset:3312
	global_load_dwordx4 v[20:23], v[32:33], off offset:3296
	;; [unrolled: 1-line block ×4, first 2 shown]
	v_lshl_add_u64 v[32:33], v[32:33], 0, s[10:11]
	s_waitcnt vmcnt(3)
	v_fmac_f64_e32 v[56:57], v[14:15], v[10:11]
	s_waitcnt vmcnt(2)
	v_fmac_f64_e32 v[24:25], v[20:21], v[10:11]
	;; [unrolled: 2-line block ×4, first 2 shown]
	v_fmac_f64_e32 v[36:37], v[48:49], v[10:11]
	v_fmac_f64_e32 v[40:41], v[44:45], v[10:11]
	;; [unrolled: 1-line block ×4, first 2 shown]
	v_fma_f64 v[50:51], -v[48:49], v[12:13], v[58:59]
	v_fmac_f64_e32 v[36:37], v[46:47], v[12:13]
	v_fma_f64 v[52:53], -v[44:45], v[12:13], v[52:53]
	v_fmac_f64_e32 v[40:41], v[42:43], v[12:13]
	;; [unrolled: 2-line block ×4, first 2 shown]
	s_andn2_b64 exec, exec, s[8:9]
	s_cbranch_execnz .LBB35_31
; %bb.32:
	s_or_b64 exec, exec, s[8:9]
.LBB35_33:
	s_or_b64 exec, exec, s[2:3]
.LBB35_34:
	s_or_b64 exec, exec, s[6:7]
.LBB35_35:
	v_mov_b32_dpp v32, v38 row_shr:1 row_mask:0xf bank_mask:0xf
	v_mov_b32_dpp v33, v39 row_shr:1 row_mask:0xf bank_mask:0xf
	;; [unrolled: 1-line block ×12, first 2 shown]
	v_add_f64 v[32:33], v[38:39], v[32:33]
	v_mov_b32_dpp v38, v56 row_shr:1 row_mask:0xf bank_mask:0xf
	v_mov_b32_dpp v39, v57 row_shr:1 row_mask:0xf bank_mask:0xf
	v_mov_b32_dpp v42, v34 row_shr:1 row_mask:0xf bank_mask:0xf
	v_mov_b32_dpp v43, v35 row_shr:1 row_mask:0xf bank_mask:0xf
	v_add_f64 v[10:11], v[50:51], v[10:11]
	v_add_f64 v[14:15], v[36:37], v[14:15]
	;; [unrolled: 1-line block ×7, first 2 shown]
	v_mov_b32_dpp v12, v10 row_shr:2 row_mask:0xf bank_mask:0xf
	v_mov_b32_dpp v13, v11 row_shr:2 row_mask:0xf bank_mask:0xf
	;; [unrolled: 1-line block ×16, first 2 shown]
	v_cmp_eq_u32_e32 vcc, 3, v0
	s_and_b64 exec, exec, vcc
	s_cbranch_execz .LBB35_8
; %bb.36:
	s_load_dwordx2 s[2:3], s[0:1], 0x60
	v_add_f64 v[0:1], v[10:11], v[12:13]
	v_add_f64 v[10:11], v[14:15], v[16:17]
	;; [unrolled: 1-line block ×8, first 2 shown]
	v_cmp_eq_f64_e32 vcc, 0, v[2:3]
	v_cmp_eq_f64_e64 s[0:1], 0, v[4:5]
	v_mul_f64 v[22:23], v[10:11], -v[8:9]
	v_mul_f64 v[24:25], v[6:7], v[10:11]
	v_mul_f64 v[18:19], v[12:13], -v[8:9]
	v_mul_f64 v[20:21], v[6:7], v[12:13]
	;; [unrolled: 2-line block ×4, first 2 shown]
	s_and_b64 s[0:1], vcc, s[0:1]
	v_fmac_f64_e32 v[22:23], v[6:7], v[0:1]
	v_fmac_f64_e32 v[24:25], v[8:9], v[0:1]
	v_lshlrev_b32_e32 v0, 2, v26
	v_fmac_f64_e32 v[18:19], v[6:7], v[44:45]
	v_fmac_f64_e32 v[20:21], v[8:9], v[44:45]
	;; [unrolled: 1-line block ×6, first 2 shown]
	s_waitcnt lgkmcnt(0)
	s_and_saveexec_b64 s[4:5], s[0:1]
	s_xor_b64 s[0:1], exec, s[4:5]
	s_cbranch_execz .LBB35_38
; %bb.37:
	v_ashrrev_i32_e32 v1, 31, v0
	v_lshl_add_u64 v[0:1], v[0:1], 4, s[2:3]
	global_store_dwordx4 v[0:1], v[22:25], off
	global_store_dwordx4 v[0:1], v[18:21], off offset:16
	global_store_dwordx4 v[0:1], v[14:17], off offset:32
	;; [unrolled: 1-line block ×3, first 2 shown]
                                        ; implicit-def: $vgpr4_vgpr5
                                        ; implicit-def: $vgpr22_vgpr23
                                        ; implicit-def: $vgpr0
                                        ; implicit-def: $vgpr18_vgpr19
                                        ; implicit-def: $vgpr14_vgpr15
                                        ; implicit-def: $vgpr10_vgpr11
.LBB35_38:
	s_andn2_saveexec_b64 s[0:1], s[0:1]
	s_cbranch_execz .LBB35_8
; %bb.39:
	v_ashrrev_i32_e32 v1, 31, v0
	v_lshl_add_u64 v[0:1], v[0:1], 4, s[2:3]
	global_load_dwordx4 v[6:9], v[0:1], off
	global_load_dwordx4 v[26:29], v[0:1], off offset:16
	global_load_dwordx4 v[30:33], v[0:1], off offset:32
	;; [unrolled: 1-line block ×3, first 2 shown]
	s_waitcnt vmcnt(3)
	v_fmac_f64_e32 v[22:23], v[2:3], v[6:7]
	v_fmac_f64_e32 v[24:25], v[4:5], v[6:7]
	s_waitcnt vmcnt(2)
	v_fmac_f64_e32 v[18:19], v[2:3], v[26:27]
	v_fmac_f64_e32 v[20:21], v[4:5], v[26:27]
	;; [unrolled: 3-line block ×4, first 2 shown]
	v_fma_f64 v[22:23], -v[4:5], v[8:9], v[22:23]
	v_fmac_f64_e32 v[24:25], v[2:3], v[8:9]
	v_fma_f64 v[18:19], -v[4:5], v[28:29], v[18:19]
	v_fmac_f64_e32 v[20:21], v[2:3], v[28:29]
	;; [unrolled: 2-line block ×4, first 2 shown]
	global_store_dwordx4 v[0:1], v[22:25], off
	global_store_dwordx4 v[0:1], v[18:21], off offset:16
	global_store_dwordx4 v[0:1], v[14:17], off offset:32
	;; [unrolled: 1-line block ×3, first 2 shown]
	s_endpgm
	.section	.rodata,"a",@progbits
	.p2align	6, 0x0
	.amdhsa_kernel _ZN9rocsparseL18bsrxmvn_4x4_kernelILj128ELj4E21rocsparse_complex_numIdEliS2_S2_S2_EEvT3_20rocsparse_direction_NS_24const_host_device_scalarIT1_EES3_PKS3_PKT2_SC_S9_PKT4_PKT5_S7_PT6_21rocsparse_index_base_b
		.amdhsa_group_segment_fixed_size 0
		.amdhsa_private_segment_fixed_size 0
		.amdhsa_kernarg_size 112
		.amdhsa_user_sgpr_count 2
		.amdhsa_user_sgpr_dispatch_ptr 0
		.amdhsa_user_sgpr_queue_ptr 0
		.amdhsa_user_sgpr_kernarg_segment_ptr 1
		.amdhsa_user_sgpr_dispatch_id 0
		.amdhsa_user_sgpr_kernarg_preload_length 0
		.amdhsa_user_sgpr_kernarg_preload_offset 0
		.amdhsa_user_sgpr_private_segment_size 0
		.amdhsa_uses_dynamic_stack 0
		.amdhsa_enable_private_segment 0
		.amdhsa_system_sgpr_workgroup_id_x 1
		.amdhsa_system_sgpr_workgroup_id_y 0
		.amdhsa_system_sgpr_workgroup_id_z 0
		.amdhsa_system_sgpr_workgroup_info 0
		.amdhsa_system_vgpr_workitem_id 0
		.amdhsa_next_free_vgpr 130
		.amdhsa_next_free_sgpr 18
		.amdhsa_accum_offset 132
		.amdhsa_reserve_vcc 1
		.amdhsa_float_round_mode_32 0
		.amdhsa_float_round_mode_16_64 0
		.amdhsa_float_denorm_mode_32 3
		.amdhsa_float_denorm_mode_16_64 3
		.amdhsa_dx10_clamp 1
		.amdhsa_ieee_mode 1
		.amdhsa_fp16_overflow 0
		.amdhsa_tg_split 0
		.amdhsa_exception_fp_ieee_invalid_op 0
		.amdhsa_exception_fp_denorm_src 0
		.amdhsa_exception_fp_ieee_div_zero 0
		.amdhsa_exception_fp_ieee_overflow 0
		.amdhsa_exception_fp_ieee_underflow 0
		.amdhsa_exception_fp_ieee_inexact 0
		.amdhsa_exception_int_div_zero 0
	.end_amdhsa_kernel
	.section	.text._ZN9rocsparseL18bsrxmvn_4x4_kernelILj128ELj4E21rocsparse_complex_numIdEliS2_S2_S2_EEvT3_20rocsparse_direction_NS_24const_host_device_scalarIT1_EES3_PKS3_PKT2_SC_S9_PKT4_PKT5_S7_PT6_21rocsparse_index_base_b,"axG",@progbits,_ZN9rocsparseL18bsrxmvn_4x4_kernelILj128ELj4E21rocsparse_complex_numIdEliS2_S2_S2_EEvT3_20rocsparse_direction_NS_24const_host_device_scalarIT1_EES3_PKS3_PKT2_SC_S9_PKT4_PKT5_S7_PT6_21rocsparse_index_base_b,comdat
.Lfunc_end35:
	.size	_ZN9rocsparseL18bsrxmvn_4x4_kernelILj128ELj4E21rocsparse_complex_numIdEliS2_S2_S2_EEvT3_20rocsparse_direction_NS_24const_host_device_scalarIT1_EES3_PKS3_PKT2_SC_S9_PKT4_PKT5_S7_PT6_21rocsparse_index_base_b, .Lfunc_end35-_ZN9rocsparseL18bsrxmvn_4x4_kernelILj128ELj4E21rocsparse_complex_numIdEliS2_S2_S2_EEvT3_20rocsparse_direction_NS_24const_host_device_scalarIT1_EES3_PKS3_PKT2_SC_S9_PKT4_PKT5_S7_PT6_21rocsparse_index_base_b
                                        ; -- End function
	.set _ZN9rocsparseL18bsrxmvn_4x4_kernelILj128ELj4E21rocsparse_complex_numIdEliS2_S2_S2_EEvT3_20rocsparse_direction_NS_24const_host_device_scalarIT1_EES3_PKS3_PKT2_SC_S9_PKT4_PKT5_S7_PT6_21rocsparse_index_base_b.num_vgpr, 130
	.set _ZN9rocsparseL18bsrxmvn_4x4_kernelILj128ELj4E21rocsparse_complex_numIdEliS2_S2_S2_EEvT3_20rocsparse_direction_NS_24const_host_device_scalarIT1_EES3_PKS3_PKT2_SC_S9_PKT4_PKT5_S7_PT6_21rocsparse_index_base_b.num_agpr, 0
	.set _ZN9rocsparseL18bsrxmvn_4x4_kernelILj128ELj4E21rocsparse_complex_numIdEliS2_S2_S2_EEvT3_20rocsparse_direction_NS_24const_host_device_scalarIT1_EES3_PKS3_PKT2_SC_S9_PKT4_PKT5_S7_PT6_21rocsparse_index_base_b.numbered_sgpr, 18
	.set _ZN9rocsparseL18bsrxmvn_4x4_kernelILj128ELj4E21rocsparse_complex_numIdEliS2_S2_S2_EEvT3_20rocsparse_direction_NS_24const_host_device_scalarIT1_EES3_PKS3_PKT2_SC_S9_PKT4_PKT5_S7_PT6_21rocsparse_index_base_b.num_named_barrier, 0
	.set _ZN9rocsparseL18bsrxmvn_4x4_kernelILj128ELj4E21rocsparse_complex_numIdEliS2_S2_S2_EEvT3_20rocsparse_direction_NS_24const_host_device_scalarIT1_EES3_PKS3_PKT2_SC_S9_PKT4_PKT5_S7_PT6_21rocsparse_index_base_b.private_seg_size, 0
	.set _ZN9rocsparseL18bsrxmvn_4x4_kernelILj128ELj4E21rocsparse_complex_numIdEliS2_S2_S2_EEvT3_20rocsparse_direction_NS_24const_host_device_scalarIT1_EES3_PKS3_PKT2_SC_S9_PKT4_PKT5_S7_PT6_21rocsparse_index_base_b.uses_vcc, 1
	.set _ZN9rocsparseL18bsrxmvn_4x4_kernelILj128ELj4E21rocsparse_complex_numIdEliS2_S2_S2_EEvT3_20rocsparse_direction_NS_24const_host_device_scalarIT1_EES3_PKS3_PKT2_SC_S9_PKT4_PKT5_S7_PT6_21rocsparse_index_base_b.uses_flat_scratch, 0
	.set _ZN9rocsparseL18bsrxmvn_4x4_kernelILj128ELj4E21rocsparse_complex_numIdEliS2_S2_S2_EEvT3_20rocsparse_direction_NS_24const_host_device_scalarIT1_EES3_PKS3_PKT2_SC_S9_PKT4_PKT5_S7_PT6_21rocsparse_index_base_b.has_dyn_sized_stack, 0
	.set _ZN9rocsparseL18bsrxmvn_4x4_kernelILj128ELj4E21rocsparse_complex_numIdEliS2_S2_S2_EEvT3_20rocsparse_direction_NS_24const_host_device_scalarIT1_EES3_PKS3_PKT2_SC_S9_PKT4_PKT5_S7_PT6_21rocsparse_index_base_b.has_recursion, 0
	.set _ZN9rocsparseL18bsrxmvn_4x4_kernelILj128ELj4E21rocsparse_complex_numIdEliS2_S2_S2_EEvT3_20rocsparse_direction_NS_24const_host_device_scalarIT1_EES3_PKS3_PKT2_SC_S9_PKT4_PKT5_S7_PT6_21rocsparse_index_base_b.has_indirect_call, 0
	.section	.AMDGPU.csdata,"",@progbits
; Kernel info:
; codeLenInByte = 7504
; TotalNumSgprs: 24
; NumVgprs: 130
; NumAgprs: 0
; TotalNumVgprs: 130
; ScratchSize: 0
; MemoryBound: 1
; FloatMode: 240
; IeeeMode: 1
; LDSByteSize: 0 bytes/workgroup (compile time only)
; SGPRBlocks: 2
; VGPRBlocks: 16
; NumSGPRsForWavesPerEU: 24
; NumVGPRsForWavesPerEU: 130
; AccumOffset: 132
; Occupancy: 3
; WaveLimiterHint : 1
; COMPUTE_PGM_RSRC2:SCRATCH_EN: 0
; COMPUTE_PGM_RSRC2:USER_SGPR: 2
; COMPUTE_PGM_RSRC2:TRAP_HANDLER: 0
; COMPUTE_PGM_RSRC2:TGID_X_EN: 1
; COMPUTE_PGM_RSRC2:TGID_Y_EN: 0
; COMPUTE_PGM_RSRC2:TGID_Z_EN: 0
; COMPUTE_PGM_RSRC2:TIDIG_COMP_CNT: 0
; COMPUTE_PGM_RSRC3_GFX90A:ACCUM_OFFSET: 32
; COMPUTE_PGM_RSRC3_GFX90A:TG_SPLIT: 0
	.section	.text._ZN9rocsparseL18bsrxmvn_4x4_kernelILj128ELj8E21rocsparse_complex_numIdEliS2_S2_S2_EEvT3_20rocsparse_direction_NS_24const_host_device_scalarIT1_EES3_PKS3_PKT2_SC_S9_PKT4_PKT5_S7_PT6_21rocsparse_index_base_b,"axG",@progbits,_ZN9rocsparseL18bsrxmvn_4x4_kernelILj128ELj8E21rocsparse_complex_numIdEliS2_S2_S2_EEvT3_20rocsparse_direction_NS_24const_host_device_scalarIT1_EES3_PKS3_PKT2_SC_S9_PKT4_PKT5_S7_PT6_21rocsparse_index_base_b,comdat
	.globl	_ZN9rocsparseL18bsrxmvn_4x4_kernelILj128ELj8E21rocsparse_complex_numIdEliS2_S2_S2_EEvT3_20rocsparse_direction_NS_24const_host_device_scalarIT1_EES3_PKS3_PKT2_SC_S9_PKT4_PKT5_S7_PT6_21rocsparse_index_base_b ; -- Begin function _ZN9rocsparseL18bsrxmvn_4x4_kernelILj128ELj8E21rocsparse_complex_numIdEliS2_S2_S2_EEvT3_20rocsparse_direction_NS_24const_host_device_scalarIT1_EES3_PKS3_PKT2_SC_S9_PKT4_PKT5_S7_PT6_21rocsparse_index_base_b
	.p2align	8
	.type	_ZN9rocsparseL18bsrxmvn_4x4_kernelILj128ELj8E21rocsparse_complex_numIdEliS2_S2_S2_EEvT3_20rocsparse_direction_NS_24const_host_device_scalarIT1_EES3_PKS3_PKT2_SC_S9_PKT4_PKT5_S7_PT6_21rocsparse_index_base_b,@function
_ZN9rocsparseL18bsrxmvn_4x4_kernelILj128ELj8E21rocsparse_complex_numIdEliS2_S2_S2_EEvT3_20rocsparse_direction_NS_24const_host_device_scalarIT1_EES3_PKS3_PKT2_SC_S9_PKT4_PKT5_S7_PT6_21rocsparse_index_base_b: ; @_ZN9rocsparseL18bsrxmvn_4x4_kernelILj128ELj8E21rocsparse_complex_numIdEliS2_S2_S2_EEvT3_20rocsparse_direction_NS_24const_host_device_scalarIT1_EES3_PKS3_PKT2_SC_S9_PKT4_PKT5_S7_PT6_21rocsparse_index_base_b
; %bb.0:
	s_load_dwordx2 s[4:5], s[0:1], 0x8
	s_load_dwordx2 s[12:13], s[0:1], 0x68
	s_add_u32 s3, s0, 8
	s_addc_u32 s8, s1, 0
	s_add_u32 s9, s0, 0x50
	s_load_dwordx2 s[6:7], s[0:1], 0x50
	s_addc_u32 s10, s1, 0
	s_waitcnt lgkmcnt(0)
	s_bitcmp1_b32 s13, 0
	s_cselect_b32 s5, s8, s5
	s_cselect_b32 s3, s3, s4
	v_mov_b32_e32 v2, s3
	v_mov_b32_e32 v3, s5
	flat_load_dwordx4 v[6:9], v[2:3]
	s_cselect_b32 s3, s10, s7
	s_cselect_b32 s4, s9, s6
	v_mov_b32_e32 v2, s4
	v_mov_b32_e32 v3, s3
	flat_load_dwordx4 v[2:5], v[2:3]
	s_waitcnt vmcnt(0) lgkmcnt(0)
	v_cmp_eq_f64_e32 vcc, 0, v[6:7]
	v_cmp_eq_f64_e64 s[4:5], 0, v[8:9]
	s_and_b64 s[8:9], vcc, s[4:5]
	s_mov_b64 s[4:5], -1
	s_and_saveexec_b64 s[6:7], s[8:9]
; %bb.1:
	v_cmp_neq_f64_e32 vcc, 1.0, v[2:3]
	v_cmp_neq_f64_e64 s[4:5], 0, v[4:5]
	s_or_b64 s[4:5], vcc, s[4:5]
	s_orn2_b64 s[4:5], s[4:5], exec
; %bb.2:
	s_or_b64 exec, exec, s[6:7]
	s_and_saveexec_b64 s[6:7], s[4:5]
	s_cbranch_execz .LBB36_8
; %bb.3:
	s_load_dwordx2 s[4:5], s[0:1], 0x20
	s_load_dwordx2 s[14:15], s[0:1], 0x0
	v_lshrrev_b32_e32 v1, 3, v0
	v_lshl_or_b32 v26, s2, 4, v1
	s_mov_b64 s[2:3], 0
	s_waitcnt lgkmcnt(0)
	s_cmp_lg_u64 s[4:5], 0
	s_cbranch_scc0 .LBB36_9
; %bb.4:
	s_load_dword s6, s[0:1], 0x18
                                        ; implicit-def: $vgpr1
	s_waitcnt lgkmcnt(0)
	v_cmp_gt_i32_e32 vcc, s6, v26
	s_and_saveexec_b64 s[6:7], vcc
	s_xor_b64 s[6:7], exec, s[6:7]
	s_cbranch_execz .LBB36_6
; %bb.5:
	v_ashrrev_i32_e32 v27, 31, v26
	v_lshl_add_u64 v[10:11], v[26:27], 2, s[4:5]
	global_load_dword v1, v[10:11], off
	s_mov_b64 s[2:3], exec
	s_waitcnt vmcnt(0)
	v_subrev_u32_e32 v1, s12, v1
.LBB36_6:
	s_or_b64 exec, exec, s[6:7]
	s_branch .LBB36_10
.LBB36_7:
	v_cmp_gt_i32_e32 vcc, s14, v26
	s_andn2_b64 s[2:3], s[2:3], exec
	s_and_b64 s[4:5], vcc, exec
	s_or_b64 s[2:3], s[2:3], s[4:5]
	s_and_b64 exec, exec, s[2:3]
	s_cbranch_execnz .LBB36_11
.LBB36_8:
	s_endpgm
.LBB36_9:
                                        ; implicit-def: $vgpr1
	s_cbranch_execnz .LBB36_7
.LBB36_10:
	v_mov_b32_e32 v26, v1
	s_and_b64 exec, exec, s[2:3]
	s_cbranch_execz .LBB36_8
.LBB36_11:
	s_load_dwordx8 s[4:11], s[0:1], 0x28
	v_ashrrev_i32_e32 v27, 31, v26
	v_lshlrev_b64 v[10:11], 3, v[26:27]
	v_and_b32_e32 v0, 7, v0
	v_mov_b32_e32 v1, 0
	s_waitcnt lgkmcnt(0)
	v_lshl_add_u64 v[12:13], s[4:5], 0, v[10:11]
	s_cmp_eq_u64 s[6:7], 0
	v_lshl_add_u64 v[10:11], s[6:7], 0, v[10:11]
	global_load_dwordx2 v[50:51], v[12:13], off
	v_lshl_add_u64 v[12:13], v[12:13], 0, 8
	s_cselect_b64 vcc, -1, 0
	v_cndmask_b32_e32 v11, v11, v13, vcc
	v_cndmask_b32_e32 v10, v10, v12, vcc
	global_load_dwordx2 v[10:11], v[10:11], off
	s_load_dwordx2 s[4:5], s[0:1], 0x48
	s_cmp_eq_u32 s15, 1
	s_waitcnt vmcnt(1)
	v_subrev_co_u32_e32 v12, vcc, s12, v50
	s_nop 1
	v_subbrev_co_u32_e32 v13, vcc, 0, v51, vcc
	v_lshl_add_u64 v[30:31], v[12:13], 0, v[0:1]
	s_waitcnt vmcnt(0)
	v_subrev_co_u32_e32 v32, vcc, s12, v10
	s_nop 1
	v_subbrev_co_u32_e32 v33, vcc, 0, v11, vcc
	v_lshlrev_b64 v[10:11], 8, v[30:31]
	v_lshl_add_u64 v[34:35], s[10:11], 0, v[10:11]
	v_cmp_lt_i64_e64 s[2:3], v[30:31], v[32:33]
	s_cbranch_scc1 .LBB36_23
; %bb.12:
	v_mov_b64_e32 v[40:41], 0
	v_mov_b64_e32 v[48:49], 0
	;; [unrolled: 1-line block ×8, first 2 shown]
	s_and_saveexec_b64 s[6:7], s[2:3]
	s_cbranch_execz .LBB36_22
; %bb.13:
	v_or_b32_e32 v1, 8, v0
	v_subrev_co_u32_e32 v10, vcc, s12, v1
	v_not_b32_e32 v13, v51
	s_nop 0
	v_subb_co_u32_e64 v11, s[10:11], 0, 0, vcc
	v_lshl_add_u64 v[10:11], v[10:11], 0, v[50:51]
	v_cmp_gt_i64_e32 vcc, v[10:11], v[32:33]
	v_not_b32_e32 v12, v50
	v_mov_b64_e32 v[38:39], 0
	v_cndmask_b32_e32 v11, v33, v11, vcc
	v_cndmask_b32_e32 v10, v32, v10, vcc
	v_sub_co_u32_e32 v14, vcc, s12, v0
	v_mov_b64_e32 v[46:47], 0
	s_nop 0
	v_subb_co_u32_e64 v15, s[10:11], 0, 0, vcc
	v_lshl_add_u64 v[12:13], v[14:15], 0, v[12:13]
	v_lshl_add_u64 v[18:19], v[12:13], 0, v[10:11]
	v_and_b32_e32 v10, 24, v18
	v_mov_b32_e32 v11, 0
	v_cmp_ne_u64_e32 vcc, 24, v[10:11]
	v_mov_b64_e32 v[36:37], 0
	v_mov_b64_e32 v[44:45], 0
	;; [unrolled: 1-line block ×8, first 2 shown]
	s_and_saveexec_b64 s[10:11], vcc
	s_cbranch_execz .LBB36_17
; %bb.14:
	v_lshrrev_b32_e32 v1, 3, v18
	v_add_u32_e32 v1, 1, v1
	v_and_b32_e32 v1, 3, v1
	v_sub_co_u32_e32 v22, vcc, 0, v1
	v_lshl_add_u64 v[20:21], v[30:31], 2, s[8:9]
	s_nop 0
	v_subb_co_u32_e64 v23, s[16:17], 0, 0, vcc
	s_mov_b64 s[14:15], 0
	v_mov_b64_e32 v[40:41], 0
	s_mov_b64 s[16:17], 0x800
	v_mov_b64_e32 v[54:55], v[30:31]
	v_mov_b64_e32 v[52:53], v[34:35]
	;; [unrolled: 1-line block ×9, first 2 shown]
.LBB36_15:                              ; =>This Inner Loop Header: Depth=1
	global_load_dword v1, v[20:21], off
	global_load_dwordx4 v[10:13], v[52:53], off offset:16
	global_load_dwordx4 v[14:17], v[52:53], off
	global_load_dwordx4 v[56:59], v[52:53], off offset:80
	global_load_dwordx4 v[60:63], v[52:53], off offset:64
	;; [unrolled: 1-line block ×14, first 2 shown]
	v_lshl_add_u64 v[22:23], v[22:23], 0, 1
	v_cmp_eq_u64_e32 vcc, 0, v[22:23]
	v_lshl_add_u64 v[52:53], v[52:53], 0, s[16:17]
	v_lshl_add_u64 v[54:55], v[54:55], 0, 8
	;; [unrolled: 1-line block ×3, first 2 shown]
	s_or_b64 s[14:15], vcc, s[14:15]
	s_waitcnt vmcnt(16)
	v_subrev_u32_e32 v1, s12, v1
	v_lshlrev_b32_e32 v24, 2, v1
	v_ashrrev_i32_e32 v25, 31, v24
	s_waitcnt lgkmcnt(0)
	v_lshl_add_u64 v[24:25], v[24:25], 4, s[4:5]
	global_load_dwordx4 v[112:115], v[24:25], off
	global_load_dwordx4 v[116:119], v[24:25], off offset:16
	global_load_dwordx4 v[120:123], v[24:25], off offset:32
	;; [unrolled: 1-line block ×3, first 2 shown]
	s_waitcnt vmcnt(3)
	v_fmac_f64_e32 v[48:49], v[14:15], v[112:113]
	v_fmac_f64_e32 v[40:41], v[16:17], v[112:113]
	v_fmac_f64_e32 v[46:47], v[60:61], v[112:113]
	v_fmac_f64_e32 v[38:39], v[62:63], v[112:113]
	v_fmac_f64_e32 v[44:45], v[68:69], v[112:113]
	v_fmac_f64_e32 v[36:37], v[70:71], v[112:113]
	v_fmac_f64_e32 v[42:43], v[72:73], v[112:113]
	v_fmac_f64_e32 v[28:29], v[74:75], v[112:113]
	v_fma_f64 v[16:17], -v[16:17], v[114:115], v[48:49]
	v_fmac_f64_e32 v[40:41], v[14:15], v[114:115]
	v_fma_f64 v[14:15], -v[62:63], v[114:115], v[46:47]
	v_fmac_f64_e32 v[38:39], v[60:61], v[114:115]
	v_fma_f64 v[24:25], -v[70:71], v[114:115], v[44:45]
	v_fmac_f64_e32 v[36:37], v[68:69], v[114:115]
	v_fma_f64 v[42:43], -v[74:75], v[114:115], v[42:43]
	v_fmac_f64_e32 v[28:29], v[72:73], v[114:115]
	s_waitcnt vmcnt(2)
	v_fmac_f64_e32 v[16:17], v[10:11], v[116:117]
	v_fmac_f64_e32 v[40:41], v[12:13], v[116:117]
	v_fmac_f64_e32 v[14:15], v[56:57], v[116:117]
	v_fmac_f64_e32 v[38:39], v[58:59], v[116:117]
	v_fmac_f64_e32 v[24:25], v[64:65], v[116:117]
	v_fmac_f64_e32 v[36:37], v[66:67], v[116:117]
	v_fmac_f64_e32 v[42:43], v[76:77], v[116:117]
	v_fmac_f64_e32 v[28:29], v[78:79], v[116:117]
	v_fma_f64 v[12:13], -v[12:13], v[118:119], v[16:17]
	v_fmac_f64_e32 v[40:41], v[10:11], v[118:119]
	v_fma_f64 v[10:11], -v[58:59], v[118:119], v[14:15]
	v_fmac_f64_e32 v[38:39], v[56:57], v[118:119]
	v_fma_f64 v[14:15], -v[66:67], v[118:119], v[24:25]
	v_fmac_f64_e32 v[36:37], v[64:65], v[118:119]
	v_fma_f64 v[16:17], -v[78:79], v[118:119], v[42:43]
	v_fmac_f64_e32 v[28:29], v[76:77], v[118:119]
	;; [unrolled: 17-line block ×4, first 2 shown]
	s_andn2_b64 exec, exec, s[14:15]
	s_cbranch_execnz .LBB36_15
; %bb.16:
	s_or_b64 exec, exec, s[14:15]
.LBB36_17:
	s_or_b64 exec, exec, s[10:11]
	v_cmp_lt_u64_e32 vcc, 23, v[18:19]
	s_and_saveexec_b64 s[10:11], vcc
	s_cbranch_execz .LBB36_21
; %bb.18:
	v_lshl_add_u64 v[10:11], v[54:55], 2, s[8:9]
	v_lshl_add_u64 v[56:57], v[10:11], 0, 64
	s_mov_b64 s[14:15], 0
	s_mov_b64 s[16:17], 0x1000
	s_movk_i32 s13, 0x1000
	s_mov_b64 s[18:19], 0x80
	s_mov_b64 s[20:21], 0x2000
.LBB36_19:                              ; =>This Inner Loop Header: Depth=1
	global_load_dword v1, v[56:57], off offset:-64
	global_load_dwordx4 v[58:61], v[52:53], off offset:48
	global_load_dwordx4 v[62:65], v[52:53], off offset:32
	;; [unrolled: 1-line block ×3, first 2 shown]
	global_load_dwordx4 v[70:73], v[52:53], off
	v_lshl_add_u64 v[54:55], v[54:55], 0, 32
	s_waitcnt vmcnt(4)
	v_subrev_u32_e32 v1, s12, v1
	v_lshlrev_b32_e32 v10, 2, v1
	v_ashrrev_i32_e32 v11, 31, v10
	s_waitcnt lgkmcnt(0)
	v_lshl_add_u64 v[74:75], v[10:11], 4, s[4:5]
	global_load_dwordx4 v[10:13], v[74:75], off offset:48
	global_load_dwordx4 v[14:17], v[74:75], off offset:32
	;; [unrolled: 1-line block ×3, first 2 shown]
	global_load_dwordx4 v[22:25], v[74:75], off
	s_waitcnt vmcnt(0)
	v_fmac_f64_e32 v[48:49], v[70:71], v[22:23]
	v_fmac_f64_e32 v[40:41], v[72:73], v[22:23]
	v_fma_f64 v[48:49], -v[72:73], v[24:25], v[48:49]
	v_fmac_f64_e32 v[40:41], v[70:71], v[24:25]
	v_fmac_f64_e32 v[48:49], v[66:67], v[18:19]
	v_fmac_f64_e32 v[40:41], v[68:69], v[18:19]
	v_fma_f64 v[48:49], -v[68:69], v[20:21], v[48:49]
	v_fmac_f64_e32 v[40:41], v[66:67], v[20:21]
	v_fmac_f64_e32 v[48:49], v[62:63], v[14:15]
	v_fmac_f64_e32 v[40:41], v[64:65], v[14:15]
	v_fma_f64 v[48:49], -v[64:65], v[16:17], v[48:49]
	v_fmac_f64_e32 v[40:41], v[62:63], v[16:17]
	v_fmac_f64_e32 v[48:49], v[58:59], v[10:11]
	v_fmac_f64_e32 v[40:41], v[60:61], v[10:11]
	v_fma_f64 v[48:49], -v[60:61], v[12:13], v[48:49]
	v_fmac_f64_e32 v[40:41], v[58:59], v[12:13]
	global_load_dwordx4 v[58:61], v[52:53], off offset:112
	global_load_dwordx4 v[62:65], v[52:53], off offset:96
	global_load_dwordx4 v[66:69], v[52:53], off offset:80
	global_load_dwordx4 v[70:73], v[52:53], off offset:64
	s_waitcnt vmcnt(0)
	v_fmac_f64_e32 v[46:47], v[70:71], v[22:23]
	v_fmac_f64_e32 v[38:39], v[72:73], v[22:23]
	v_fma_f64 v[46:47], -v[72:73], v[24:25], v[46:47]
	v_fmac_f64_e32 v[38:39], v[70:71], v[24:25]
	v_fmac_f64_e32 v[46:47], v[66:67], v[18:19]
	v_fmac_f64_e32 v[38:39], v[68:69], v[18:19]
	v_fma_f64 v[46:47], -v[68:69], v[20:21], v[46:47]
	v_fmac_f64_e32 v[38:39], v[66:67], v[20:21]
	v_fmac_f64_e32 v[46:47], v[62:63], v[14:15]
	v_fmac_f64_e32 v[38:39], v[64:65], v[14:15]
	v_fma_f64 v[46:47], -v[64:65], v[16:17], v[46:47]
	v_fmac_f64_e32 v[38:39], v[62:63], v[16:17]
	v_fmac_f64_e32 v[46:47], v[58:59], v[10:11]
	v_fmac_f64_e32 v[38:39], v[60:61], v[10:11]
	v_fma_f64 v[46:47], -v[60:61], v[12:13], v[46:47]
	v_fmac_f64_e32 v[38:39], v[58:59], v[12:13]
	global_load_dwordx4 v[58:61], v[52:53], off offset:176
	global_load_dwordx4 v[62:65], v[52:53], off offset:160
	global_load_dwordx4 v[66:69], v[52:53], off offset:144
	global_load_dwordx4 v[70:73], v[52:53], off offset:128
	;; [unrolled: 21-line block ×3, first 2 shown]
	global_load_dword v1, v[56:57], off offset:-32
	s_waitcnt vmcnt(1)
	v_fmac_f64_e32 v[42:43], v[70:71], v[22:23]
	v_fmac_f64_e32 v[28:29], v[72:73], v[22:23]
	v_fma_f64 v[42:43], -v[72:73], v[24:25], v[42:43]
	v_fmac_f64_e32 v[28:29], v[70:71], v[24:25]
	v_fmac_f64_e32 v[42:43], v[66:67], v[18:19]
	v_fmac_f64_e32 v[28:29], v[68:69], v[18:19]
	v_fma_f64 v[22:23], -v[68:69], v[20:21], v[42:43]
	v_fmac_f64_e32 v[28:29], v[66:67], v[20:21]
	s_waitcnt vmcnt(0)
	v_subrev_u32_e32 v1, s12, v1
	v_fmac_f64_e32 v[22:23], v[62:63], v[14:15]
	v_fmac_f64_e32 v[28:29], v[64:65], v[14:15]
	v_lshlrev_b32_e32 v42, 2, v1
	v_fma_f64 v[18:19], -v[64:65], v[16:17], v[22:23]
	v_fmac_f64_e32 v[28:29], v[62:63], v[16:17]
	v_ashrrev_i32_e32 v43, 31, v42
	v_fmac_f64_e32 v[18:19], v[58:59], v[10:11]
	v_fmac_f64_e32 v[28:29], v[60:61], v[10:11]
	v_lshl_add_u64 v[42:43], v[42:43], 4, s[4:5]
	v_fma_f64 v[82:83], -v[60:61], v[12:13], v[18:19]
	v_fmac_f64_e32 v[28:29], v[58:59], v[12:13]
	global_load_dwordx4 v[14:17], v[52:53], off offset:2096
	global_load_dwordx4 v[10:13], v[52:53], off offset:2080
	;; [unrolled: 1-line block ×7, first 2 shown]
	global_load_dwordx4 v[70:73], v[42:43], off
	s_waitcnt vmcnt(0)
	v_fmac_f64_e32 v[48:49], v[22:23], v[70:71]
	v_fmac_f64_e32 v[40:41], v[24:25], v[70:71]
	v_fma_f64 v[42:43], -v[24:25], v[72:73], v[48:49]
	v_fmac_f64_e32 v[40:41], v[22:23], v[72:73]
	v_fmac_f64_e32 v[42:43], v[18:19], v[66:67]
	v_fmac_f64_e32 v[40:41], v[20:21], v[66:67]
	v_fma_f64 v[22:23], -v[20:21], v[68:69], v[42:43]
	v_fmac_f64_e32 v[40:41], v[18:19], v[68:69]
	;; [unrolled: 4-line block ×4, first 2 shown]
	global_load_dwordx4 v[18:21], v[52:53], off offset:2160
	global_load_dwordx4 v[14:17], v[52:53], off offset:2144
	global_load_dwordx4 v[22:25], v[52:53], off offset:2128
	global_load_dwordx4 v[74:77], v[52:53], off offset:2112
	s_waitcnt vmcnt(0)
	v_fmac_f64_e32 v[46:47], v[74:75], v[70:71]
	v_fma_f64 v[10:11], -v[76:77], v[72:73], v[46:47]
	v_fmac_f64_e32 v[38:39], v[76:77], v[70:71]
	v_fmac_f64_e32 v[38:39], v[74:75], v[72:73]
	v_fmac_f64_e32 v[10:11], v[22:23], v[66:67]
	v_fma_f64 v[10:11], -v[24:25], v[68:69], v[10:11]
	v_fmac_f64_e32 v[38:39], v[24:25], v[66:67]
	v_fmac_f64_e32 v[38:39], v[22:23], v[68:69]
	v_fmac_f64_e32 v[10:11], v[14:15], v[62:63]
	v_fma_f64 v[10:11], -v[16:17], v[64:65], v[10:11]
	v_fmac_f64_e32 v[38:39], v[16:17], v[62:63]
	v_fmac_f64_e32 v[38:39], v[14:15], v[64:65]
	v_fmac_f64_e32 v[10:11], v[18:19], v[58:59]
	v_fma_f64 v[16:17], -v[20:21], v[60:61], v[10:11]
	v_fmac_f64_e32 v[38:39], v[20:21], v[58:59]
	global_load_dwordx4 v[20:23], v[52:53], off offset:2224
	global_load_dwordx4 v[46:49], v[52:53], off offset:2208
	;; [unrolled: 1-line block ×4, first 2 shown]
	v_fmac_f64_e32 v[38:39], v[18:19], v[60:61]
	s_waitcnt vmcnt(0)
	v_fmac_f64_e32 v[44:45], v[78:79], v[70:71]
	v_fma_f64 v[10:11], -v[80:81], v[72:73], v[44:45]
	v_fmac_f64_e32 v[36:37], v[80:81], v[70:71]
	v_fmac_f64_e32 v[36:37], v[78:79], v[72:73]
	v_fmac_f64_e32 v[10:11], v[74:75], v[66:67]
	v_fma_f64 v[10:11], -v[76:77], v[68:69], v[10:11]
	v_fmac_f64_e32 v[36:37], v[76:77], v[66:67]
	v_fmac_f64_e32 v[36:37], v[74:75], v[68:69]
	;; [unrolled: 4-line block ×3, first 2 shown]
	v_fmac_f64_e32 v[10:11], v[20:21], v[58:59]
	v_fma_f64 v[18:19], -v[22:23], v[60:61], v[10:11]
	v_fmac_f64_e32 v[36:37], v[22:23], v[58:59]
	global_load_dwordx4 v[22:25], v[52:53], off offset:2288
	global_load_dwordx4 v[42:45], v[52:53], off offset:2272
	;; [unrolled: 1-line block ×4, first 2 shown]
	global_load_dword v1, v[56:57], off
	v_fmac_f64_e32 v[36:37], v[20:21], v[60:61]
	s_waitcnt vmcnt(1)
	v_fmac_f64_e32 v[82:83], v[74:75], v[70:71]
	v_fmac_f64_e32 v[28:29], v[76:77], v[70:71]
	v_fma_f64 v[10:11], -v[76:77], v[72:73], v[82:83]
	v_fmac_f64_e32 v[28:29], v[74:75], v[72:73]
	v_fmac_f64_e32 v[10:11], v[46:47], v[66:67]
	;; [unrolled: 1-line block ×3, first 2 shown]
	v_fma_f64 v[10:11], -v[48:49], v[68:69], v[10:11]
	v_fmac_f64_e32 v[28:29], v[46:47], v[68:69]
	s_waitcnt vmcnt(0)
	v_subrev_u32_e32 v1, s12, v1
	v_fmac_f64_e32 v[10:11], v[42:43], v[62:63]
	v_fmac_f64_e32 v[28:29], v[44:45], v[62:63]
	v_lshlrev_b32_e32 v14, 2, v1
	v_fma_f64 v[10:11], -v[44:45], v[64:65], v[10:11]
	v_fmac_f64_e32 v[28:29], v[42:43], v[64:65]
	v_add_co_u32_e32 v62, vcc, s13, v52
	v_ashrrev_i32_e32 v15, 31, v14
	v_fmac_f64_e32 v[10:11], v[22:23], v[58:59]
	v_fmac_f64_e32 v[28:29], v[24:25], v[58:59]
	v_addc_co_u32_e32 v63, vcc, 0, v53, vcc
	v_lshl_add_u64 v[14:15], v[14:15], 4, s[4:5]
	v_fma_f64 v[20:21], -v[24:25], v[60:61], v[10:11]
	v_fmac_f64_e32 v[28:29], v[22:23], v[60:61]
	v_lshl_add_u64 v[10:11], v[52:53], 0, s[16:17]
	global_load_dwordx4 v[22:25], v[62:63], off
	global_load_dwordx4 v[42:45], v[10:11], off offset:48
	global_load_dwordx4 v[46:49], v[10:11], off offset:32
	;; [unrolled: 1-line block ×3, first 2 shown]
	s_nop 0
	global_load_dwordx4 v[62:65], v[14:15], off offset:48
	global_load_dwordx4 v[66:69], v[14:15], off offset:32
	;; [unrolled: 1-line block ×3, first 2 shown]
	global_load_dwordx4 v[74:77], v[14:15], off
	v_cmp_ge_i64_e32 vcc, v[54:55], v[32:33]
	v_lshl_add_u64 v[52:53], v[52:53], 0, s[20:21]
	s_or_b64 s[14:15], vcc, s[14:15]
	s_waitcnt vmcnt(0)
	v_fmac_f64_e32 v[12:13], v[22:23], v[74:75]
	v_fmac_f64_e32 v[40:41], v[24:25], v[74:75]
	v_fma_f64 v[12:13], -v[24:25], v[76:77], v[12:13]
	v_fmac_f64_e32 v[40:41], v[22:23], v[76:77]
	v_fmac_f64_e32 v[12:13], v[58:59], v[70:71]
	v_fmac_f64_e32 v[40:41], v[60:61], v[70:71]
	v_fma_f64 v[12:13], -v[60:61], v[72:73], v[12:13]
	v_fmac_f64_e32 v[40:41], v[58:59], v[72:73]
	v_fmac_f64_e32 v[12:13], v[46:47], v[66:67]
	v_fmac_f64_e32 v[40:41], v[48:49], v[66:67]
	v_fma_f64 v[12:13], -v[48:49], v[68:69], v[12:13]
	v_fmac_f64_e32 v[40:41], v[46:47], v[68:69]
	v_fmac_f64_e32 v[12:13], v[42:43], v[62:63]
	v_fmac_f64_e32 v[40:41], v[44:45], v[62:63]
	v_fma_f64 v[14:15], -v[44:45], v[64:65], v[12:13]
	v_fmac_f64_e32 v[40:41], v[42:43], v[64:65]
	global_load_dwordx4 v[22:25], v[10:11], off offset:112
	global_load_dwordx4 v[42:45], v[10:11], off offset:96
	global_load_dwordx4 v[46:49], v[10:11], off offset:80
	global_load_dwordx4 v[58:61], v[10:11], off offset:64
	s_waitcnt vmcnt(0)
	v_fmac_f64_e32 v[16:17], v[58:59], v[74:75]
	v_fmac_f64_e32 v[38:39], v[60:61], v[74:75]
	v_fma_f64 v[12:13], -v[60:61], v[76:77], v[16:17]
	v_fmac_f64_e32 v[38:39], v[58:59], v[76:77]
	v_fmac_f64_e32 v[12:13], v[46:47], v[70:71]
	v_fmac_f64_e32 v[38:39], v[48:49], v[70:71]
	v_fma_f64 v[12:13], -v[48:49], v[72:73], v[12:13]
	v_fmac_f64_e32 v[38:39], v[46:47], v[72:73]
	v_fmac_f64_e32 v[12:13], v[42:43], v[66:67]
	v_fmac_f64_e32 v[38:39], v[44:45], v[66:67]
	v_fma_f64 v[12:13], -v[44:45], v[68:69], v[12:13]
	v_fmac_f64_e32 v[38:39], v[42:43], v[68:69]
	v_fmac_f64_e32 v[12:13], v[22:23], v[62:63]
	v_fmac_f64_e32 v[38:39], v[24:25], v[62:63]
	v_fma_f64 v[16:17], -v[24:25], v[64:65], v[12:13]
	v_fmac_f64_e32 v[38:39], v[22:23], v[64:65]
	global_load_dwordx4 v[22:25], v[10:11], off offset:176
	global_load_dwordx4 v[42:45], v[10:11], off offset:160
	global_load_dwordx4 v[46:49], v[10:11], off offset:144
	global_load_dwordx4 v[58:61], v[10:11], off offset:128
	;; [unrolled: 21-line block ×3, first 2 shown]
	global_load_dword v1, v[56:57], off offset:32
	v_lshl_add_u64 v[56:57], v[56:57], 0, s[18:19]
	s_waitcnt vmcnt(1)
	v_fmac_f64_e32 v[20:21], v[58:59], v[74:75]
	v_fma_f64 v[12:13], -v[60:61], v[76:77], v[20:21]
	v_fmac_f64_e32 v[28:29], v[60:61], v[74:75]
	v_fmac_f64_e32 v[28:29], v[58:59], v[76:77]
	v_fmac_f64_e32 v[12:13], v[46:47], v[70:71]
	v_fma_f64 v[12:13], -v[48:49], v[72:73], v[12:13]
	v_fmac_f64_e32 v[28:29], v[48:49], v[70:71]
	v_fmac_f64_e32 v[28:29], v[46:47], v[72:73]
	;; [unrolled: 4-line block ×3, first 2 shown]
	v_fmac_f64_e32 v[12:13], v[22:23], v[62:63]
	s_waitcnt vmcnt(0)
	v_subrev_u32_e32 v1, s12, v1
	v_fma_f64 v[12:13], -v[24:25], v[64:65], v[12:13]
	v_fmac_f64_e32 v[28:29], v[24:25], v[62:63]
	v_lshlrev_b32_e32 v24, 2, v1
	v_ashrrev_i32_e32 v25, 31, v24
	v_lshl_add_u64 v[24:25], v[24:25], 4, s[4:5]
	v_fmac_f64_e32 v[28:29], v[22:23], v[64:65]
	global_load_dwordx4 v[20:23], v[10:11], off offset:2096
	global_load_dwordx4 v[42:45], v[10:11], off offset:2080
	;; [unrolled: 1-line block ×7, first 2 shown]
	global_load_dwordx4 v[74:77], v[24:25], off
	s_waitcnt vmcnt(0)
	v_fmac_f64_e32 v[14:15], v[58:59], v[74:75]
	v_fmac_f64_e32 v[40:41], v[60:61], v[74:75]
	v_fma_f64 v[14:15], -v[60:61], v[76:77], v[14:15]
	v_fmac_f64_e32 v[40:41], v[58:59], v[76:77]
	v_fmac_f64_e32 v[14:15], v[46:47], v[70:71]
	v_fmac_f64_e32 v[40:41], v[48:49], v[70:71]
	v_fma_f64 v[14:15], -v[48:49], v[72:73], v[14:15]
	v_fmac_f64_e32 v[40:41], v[46:47], v[72:73]
	v_fmac_f64_e32 v[14:15], v[42:43], v[66:67]
	v_fmac_f64_e32 v[40:41], v[44:45], v[66:67]
	v_fma_f64 v[14:15], -v[44:45], v[68:69], v[14:15]
	v_fmac_f64_e32 v[40:41], v[42:43], v[68:69]
	v_fmac_f64_e32 v[14:15], v[20:21], v[62:63]
	v_fmac_f64_e32 v[40:41], v[22:23], v[62:63]
	v_fma_f64 v[48:49], -v[22:23], v[64:65], v[14:15]
	v_fmac_f64_e32 v[40:41], v[20:21], v[64:65]
	global_load_dwordx4 v[20:23], v[10:11], off offset:2160
	global_load_dwordx4 v[42:45], v[10:11], off offset:2144
	global_load_dwordx4 v[58:61], v[10:11], off offset:2128
	global_load_dwordx4 v[78:81], v[10:11], off offset:2112
	s_waitcnt vmcnt(0)
	v_fmac_f64_e32 v[16:17], v[78:79], v[74:75]
	v_fmac_f64_e32 v[38:39], v[80:81], v[74:75]
	v_fma_f64 v[14:15], -v[80:81], v[76:77], v[16:17]
	v_fmac_f64_e32 v[38:39], v[78:79], v[76:77]
	v_fmac_f64_e32 v[14:15], v[58:59], v[70:71]
	v_fmac_f64_e32 v[38:39], v[60:61], v[70:71]
	v_fma_f64 v[14:15], -v[60:61], v[72:73], v[14:15]
	v_fmac_f64_e32 v[38:39], v[58:59], v[72:73]
	v_fmac_f64_e32 v[14:15], v[42:43], v[66:67]
	v_fmac_f64_e32 v[38:39], v[44:45], v[66:67]
	v_fma_f64 v[14:15], -v[44:45], v[68:69], v[14:15]
	v_fmac_f64_e32 v[38:39], v[42:43], v[68:69]
	v_fmac_f64_e32 v[14:15], v[20:21], v[62:63]
	v_fmac_f64_e32 v[38:39], v[22:23], v[62:63]
	v_fma_f64 v[46:47], -v[22:23], v[64:65], v[14:15]
	v_fmac_f64_e32 v[38:39], v[20:21], v[64:65]
	global_load_dwordx4 v[14:17], v[10:11], off offset:2224
	global_load_dwordx4 v[20:23], v[10:11], off offset:2208
	global_load_dwordx4 v[42:45], v[10:11], off offset:2192
	global_load_dwordx4 v[58:61], v[10:11], off offset:2176
	;; [unrolled: 21-line block ×3, first 2 shown]
	s_waitcnt vmcnt(0)
	v_fmac_f64_e32 v[12:13], v[58:59], v[74:75]
	v_fmac_f64_e32 v[28:29], v[60:61], v[74:75]
	v_fma_f64 v[10:11], -v[60:61], v[76:77], v[12:13]
	v_fmac_f64_e32 v[28:29], v[58:59], v[76:77]
	v_fmac_f64_e32 v[10:11], v[22:23], v[70:71]
	v_fmac_f64_e32 v[28:29], v[24:25], v[70:71]
	v_fma_f64 v[10:11], -v[24:25], v[72:73], v[10:11]
	v_fmac_f64_e32 v[28:29], v[22:23], v[72:73]
	v_fmac_f64_e32 v[10:11], v[18:19], v[66:67]
	v_fmac_f64_e32 v[28:29], v[20:21], v[66:67]
	v_fma_f64 v[10:11], -v[20:21], v[68:69], v[10:11]
	v_fmac_f64_e32 v[28:29], v[18:19], v[68:69]
	v_fmac_f64_e32 v[10:11], v[14:15], v[62:63]
	v_fmac_f64_e32 v[28:29], v[16:17], v[62:63]
	v_fma_f64 v[42:43], -v[16:17], v[64:65], v[10:11]
	v_fmac_f64_e32 v[28:29], v[14:15], v[64:65]
	s_andn2_b64 exec, exec, s[14:15]
	s_cbranch_execnz .LBB36_19
; %bb.20:
	s_or_b64 exec, exec, s[14:15]
.LBB36_21:
	s_or_b64 exec, exec, s[10:11]
.LBB36_22:
	s_or_b64 exec, exec, s[6:7]
	s_cbranch_execz .LBB36_24
	s_branch .LBB36_35
.LBB36_23:
                                        ; implicit-def: $vgpr40_vgpr41
                                        ; implicit-def: $vgpr48_vgpr49
                                        ; implicit-def: $vgpr42_vgpr43
                                        ; implicit-def: $vgpr28_vgpr29
                                        ; implicit-def: $vgpr44_vgpr45
                                        ; implicit-def: $vgpr36_vgpr37
                                        ; implicit-def: $vgpr46_vgpr47
                                        ; implicit-def: $vgpr38_vgpr39
.LBB36_24:
	v_mov_b64_e32 v[40:41], 0
	v_mov_b64_e32 v[48:49], 0
	;; [unrolled: 1-line block ×8, first 2 shown]
	s_and_saveexec_b64 s[6:7], s[2:3]
	s_cbranch_execz .LBB36_34
; %bb.25:
	v_or_b32_e32 v1, 8, v0
	v_subrev_co_u32_e32 v10, vcc, s12, v1
	v_not_b32_e32 v13, v51
	s_nop 0
	v_subb_co_u32_e64 v11, s[2:3], 0, 0, vcc
	v_lshl_add_u64 v[10:11], v[10:11], 0, v[50:51]
	v_cmp_gt_i64_e32 vcc, v[10:11], v[32:33]
	v_not_b32_e32 v12, v50
	v_mov_b64_e32 v[38:39], 0
	v_cndmask_b32_e32 v11, v33, v11, vcc
	v_cndmask_b32_e32 v10, v32, v10, vcc
	v_sub_co_u32_e32 v14, vcc, s12, v0
	v_mov_b64_e32 v[46:47], 0
	s_nop 0
	v_subb_co_u32_e64 v15, s[2:3], 0, 0, vcc
	v_lshl_add_u64 v[12:13], v[14:15], 0, v[12:13]
	v_lshl_add_u64 v[50:51], v[12:13], 0, v[10:11]
	v_and_b32_e32 v10, 24, v50
	v_mov_b32_e32 v11, 0
	v_cmp_ne_u64_e32 vcc, 24, v[10:11]
	v_mov_b64_e32 v[36:37], 0
	v_mov_b64_e32 v[44:45], 0
	;; [unrolled: 1-line block ×6, first 2 shown]
	s_and_saveexec_b64 s[2:3], vcc
	s_cbranch_execz .LBB36_29
; %bb.26:
	v_lshrrev_b32_e32 v1, 3, v50
	v_add_u32_e32 v1, 1, v1
	v_and_b32_e32 v1, 3, v1
	v_sub_co_u32_e32 v54, vcc, 0, v1
	v_lshl_add_u64 v[52:53], v[30:31], 2, s[8:9]
	s_nop 0
	v_subb_co_u32_e64 v55, s[14:15], 0, 0, vcc
	s_mov_b64 s[10:11], 0
	v_mov_b64_e32 v[40:41], 0
	s_mov_b64 s[14:15], 0x800
	v_mov_b64_e32 v[48:49], 0
	v_mov_b64_e32 v[42:43], 0
	;; [unrolled: 1-line block ×7, first 2 shown]
.LBB36_27:                              ; =>This Inner Loop Header: Depth=1
	global_load_dword v1, v[52:53], off
	global_load_dwordx4 v[10:13], v[34:35], off offset:48
	global_load_dwordx4 v[14:17], v[34:35], off offset:32
	;; [unrolled: 1-line block ×3, first 2 shown]
	global_load_dwordx4 v[22:25], v[34:35], off
	global_load_dwordx4 v[56:59], v[34:35], off offset:112
	global_load_dwordx4 v[60:63], v[34:35], off offset:96
	;; [unrolled: 1-line block ×12, first 2 shown]
	v_lshl_add_u64 v[54:55], v[54:55], 0, 1
	v_cmp_eq_u64_e32 vcc, 0, v[54:55]
	v_lshl_add_u64 v[34:35], v[34:35], 0, s[14:15]
	v_lshl_add_u64 v[30:31], v[30:31], 0, 8
	;; [unrolled: 1-line block ×3, first 2 shown]
	s_or_b64 s[10:11], vcc, s[10:11]
	s_waitcnt vmcnt(16)
	v_subrev_u32_e32 v1, s12, v1
	v_lshlrev_b32_e32 v104, 2, v1
	v_ashrrev_i32_e32 v105, 31, v104
	s_waitcnt lgkmcnt(0)
	v_lshl_add_u64 v[120:121], v[104:105], 4, s[4:5]
	global_load_dwordx4 v[104:107], v[120:121], off
	global_load_dwordx4 v[108:111], v[120:121], off offset:16
	global_load_dwordx4 v[112:115], v[120:121], off offset:32
	;; [unrolled: 1-line block ×3, first 2 shown]
	s_waitcnt vmcnt(3)
	v_fmac_f64_e32 v[48:49], v[22:23], v[104:105]
	v_fmac_f64_e32 v[40:41], v[24:25], v[104:105]
	v_fmac_f64_e32 v[46:47], v[18:19], v[104:105]
	v_fmac_f64_e32 v[38:39], v[20:21], v[104:105]
	v_fmac_f64_e32 v[44:45], v[14:15], v[104:105]
	v_fmac_f64_e32 v[36:37], v[16:17], v[104:105]
	v_fmac_f64_e32 v[42:43], v[10:11], v[104:105]
	v_fmac_f64_e32 v[28:29], v[12:13], v[104:105]
	v_fma_f64 v[24:25], -v[24:25], v[106:107], v[48:49]
	v_fmac_f64_e32 v[40:41], v[22:23], v[106:107]
	v_fma_f64 v[20:21], -v[20:21], v[106:107], v[46:47]
	v_fmac_f64_e32 v[38:39], v[18:19], v[106:107]
	v_fma_f64 v[16:17], -v[16:17], v[106:107], v[44:45]
	v_fmac_f64_e32 v[36:37], v[14:15], v[106:107]
	v_fma_f64 v[12:13], -v[12:13], v[106:107], v[42:43]
	v_fmac_f64_e32 v[28:29], v[10:11], v[106:107]
	s_waitcnt vmcnt(2)
	v_fmac_f64_e32 v[24:25], v[68:69], v[108:109]
	v_fmac_f64_e32 v[40:41], v[70:71], v[108:109]
	v_fmac_f64_e32 v[20:21], v[64:65], v[108:109]
	v_fmac_f64_e32 v[38:39], v[66:67], v[108:109]
	v_fmac_f64_e32 v[16:17], v[60:61], v[108:109]
	v_fmac_f64_e32 v[36:37], v[62:63], v[108:109]
	v_fmac_f64_e32 v[12:13], v[56:57], v[108:109]
	v_fmac_f64_e32 v[28:29], v[58:59], v[108:109]
	v_fma_f64 v[10:11], -v[70:71], v[110:111], v[24:25]
	v_fmac_f64_e32 v[40:41], v[68:69], v[110:111]
	v_fma_f64 v[14:15], -v[66:67], v[110:111], v[20:21]
	v_fmac_f64_e32 v[38:39], v[64:65], v[110:111]
	v_fma_f64 v[16:17], -v[62:63], v[110:111], v[16:17]
	v_fmac_f64_e32 v[36:37], v[60:61], v[110:111]
	v_fma_f64 v[12:13], -v[58:59], v[110:111], v[12:13]
	v_fmac_f64_e32 v[28:29], v[56:57], v[110:111]
	;; [unrolled: 17-line block ×4, first 2 shown]
	s_andn2_b64 exec, exec, s[10:11]
	s_cbranch_execnz .LBB36_27
; %bb.28:
	s_or_b64 exec, exec, s[10:11]
.LBB36_29:
	s_or_b64 exec, exec, s[2:3]
	v_cmp_lt_u64_e32 vcc, 23, v[50:51]
	s_and_saveexec_b64 s[2:3], vcc
	s_cbranch_execz .LBB36_33
; %bb.30:
	v_lshl_add_u64 v[10:11], v[30:31], 2, s[8:9]
	v_lshl_add_u64 v[14:15], v[10:11], 0, 64
	s_mov_b64 s[8:9], 0
	s_mov_b64 s[10:11], 0x1000
	s_movk_i32 s13, 0x1000
	s_mov_b64 s[14:15], 0x80
	s_mov_b64 s[16:17], 0x2000
.LBB36_31:                              ; =>This Inner Loop Header: Depth=1
	global_load_dword v1, v[14:15], off offset:-64
	global_load_dwordx4 v[16:19], v[34:35], off offset:48
	global_load_dwordx4 v[20:23], v[34:35], off offset:32
	;; [unrolled: 1-line block ×3, first 2 shown]
	global_load_dwordx4 v[54:57], v[34:35], off
	v_lshl_add_u64 v[30:31], v[30:31], 0, 32
	s_waitcnt vmcnt(4)
	v_subrev_u32_e32 v1, s12, v1
	v_lshlrev_b32_e32 v10, 2, v1
	v_ashrrev_i32_e32 v11, 31, v10
	s_waitcnt lgkmcnt(0)
	v_lshl_add_u64 v[24:25], v[10:11], 4, s[4:5]
	global_load_dwordx4 v[10:13], v[24:25], off offset:48
	global_load_dwordx4 v[58:61], v[24:25], off offset:32
	;; [unrolled: 1-line block ×3, first 2 shown]
	global_load_dwordx4 v[66:69], v[24:25], off
	s_waitcnt vmcnt(0)
	v_fmac_f64_e32 v[48:49], v[54:55], v[66:67]
	v_fmac_f64_e32 v[40:41], v[56:57], v[66:67]
	;; [unrolled: 1-line block ×8, first 2 shown]
	v_fma_f64 v[24:25], -v[56:57], v[68:69], v[48:49]
	v_fmac_f64_e32 v[40:41], v[54:55], v[68:69]
	v_fma_f64 v[54:55], -v[52:53], v[68:69], v[46:47]
	v_fmac_f64_e32 v[38:39], v[50:51], v[68:69]
	;; [unrolled: 2-line block ×4, first 2 shown]
	global_load_dwordx4 v[16:19], v[34:35], off offset:112
	global_load_dwordx4 v[20:23], v[34:35], off offset:96
	;; [unrolled: 1-line block ×4, first 2 shown]
	s_waitcnt vmcnt(3)
	v_fmac_f64_e32 v[52:53], v[16:17], v[62:63]
	s_waitcnt vmcnt(2)
	v_fmac_f64_e32 v[50:51], v[20:21], v[62:63]
	;; [unrolled: 2-line block ×4, first 2 shown]
	v_fmac_f64_e32 v[40:41], v[48:49], v[62:63]
	v_fmac_f64_e32 v[38:39], v[44:45], v[62:63]
	;; [unrolled: 1-line block ×4, first 2 shown]
	v_fma_f64 v[24:25], -v[48:49], v[64:65], v[24:25]
	v_fmac_f64_e32 v[40:41], v[46:47], v[64:65]
	v_fma_f64 v[54:55], -v[44:45], v[64:65], v[54:55]
	v_fmac_f64_e32 v[38:39], v[42:43], v[64:65]
	;; [unrolled: 2-line block ×4, first 2 shown]
	global_load_dwordx4 v[16:19], v[34:35], off offset:176
	global_load_dwordx4 v[20:23], v[34:35], off offset:160
	;; [unrolled: 1-line block ×4, first 2 shown]
	s_waitcnt vmcnt(3)
	v_fmac_f64_e32 v[52:53], v[16:17], v[58:59]
	s_waitcnt vmcnt(2)
	v_fmac_f64_e32 v[50:51], v[20:21], v[58:59]
	;; [unrolled: 2-line block ×4, first 2 shown]
	v_fmac_f64_e32 v[40:41], v[48:49], v[58:59]
	v_fmac_f64_e32 v[38:39], v[44:45], v[58:59]
	v_fmac_f64_e32 v[36:37], v[22:23], v[58:59]
	v_fmac_f64_e32 v[28:29], v[18:19], v[58:59]
	v_fma_f64 v[24:25], -v[48:49], v[60:61], v[24:25]
	v_fmac_f64_e32 v[40:41], v[46:47], v[60:61]
	v_fma_f64 v[54:55], -v[44:45], v[60:61], v[54:55]
	v_fmac_f64_e32 v[38:39], v[42:43], v[60:61]
	;; [unrolled: 2-line block ×4, first 2 shown]
	global_load_dwordx4 v[16:19], v[34:35], off offset:240
	global_load_dwordx4 v[20:23], v[34:35], off offset:224
	;; [unrolled: 1-line block ×4, first 2 shown]
	global_load_dword v1, v[14:15], off offset:-32
	s_waitcnt vmcnt(4)
	v_fmac_f64_e32 v[52:53], v[16:17], v[10:11]
	s_waitcnt vmcnt(3)
	v_fmac_f64_e32 v[50:51], v[20:21], v[10:11]
	;; [unrolled: 2-line block ×4, first 2 shown]
	s_waitcnt vmcnt(0)
	v_subrev_u32_e32 v1, s12, v1
	v_fmac_f64_e32 v[24:25], v[46:47], v[10:11]
	v_fmac_f64_e32 v[40:41], v[46:47], v[12:13]
	v_lshlrev_b32_e32 v46, 2, v1
	v_ashrrev_i32_e32 v47, 31, v46
	v_fmac_f64_e32 v[38:39], v[44:45], v[10:11]
	v_fmac_f64_e32 v[36:37], v[22:23], v[10:11]
	;; [unrolled: 1-line block ×3, first 2 shown]
	v_lshl_add_u64 v[68:69], v[46:47], 4, s[4:5]
	v_fma_f64 v[24:25], -v[48:49], v[12:13], v[24:25]
	v_fma_f64 v[62:63], -v[44:45], v[12:13], v[54:55]
	v_fmac_f64_e32 v[38:39], v[42:43], v[12:13]
	v_fma_f64 v[64:65], -v[22:23], v[12:13], v[50:51]
	v_fmac_f64_e32 v[36:37], v[20:21], v[12:13]
	;; [unrolled: 2-line block ×3, first 2 shown]
	global_load_dwordx4 v[10:13], v[34:35], off offset:2096
	global_load_dwordx4 v[16:19], v[34:35], off offset:2080
	;; [unrolled: 1-line block ×7, first 2 shown]
	global_load_dwordx4 v[58:61], v[68:69], off
	s_waitcnt vmcnt(0)
	v_fmac_f64_e32 v[24:25], v[42:43], v[58:59]
	v_fmac_f64_e32 v[40:41], v[44:45], v[58:59]
	v_fmac_f64_e32 v[62:63], v[20:21], v[58:59]
	v_fmac_f64_e32 v[38:39], v[22:23], v[58:59]
	v_fmac_f64_e32 v[64:65], v[16:17], v[58:59]
	v_fmac_f64_e32 v[36:37], v[18:19], v[58:59]
	v_fmac_f64_e32 v[66:67], v[10:11], v[58:59]
	v_fmac_f64_e32 v[28:29], v[12:13], v[58:59]
	v_fma_f64 v[24:25], -v[44:45], v[60:61], v[24:25]
	v_fmac_f64_e32 v[40:41], v[42:43], v[60:61]
	v_fma_f64 v[62:63], -v[22:23], v[60:61], v[62:63]
	v_fmac_f64_e32 v[38:39], v[20:21], v[60:61]
	;; [unrolled: 2-line block ×4, first 2 shown]
	global_load_dwordx4 v[10:13], v[34:35], off offset:2160
	global_load_dwordx4 v[16:19], v[34:35], off offset:2144
	;; [unrolled: 1-line block ×4, first 2 shown]
	s_waitcnt vmcnt(3)
	v_fmac_f64_e32 v[66:67], v[10:11], v[54:55]
	s_waitcnt vmcnt(2)
	v_fmac_f64_e32 v[64:65], v[16:17], v[54:55]
	;; [unrolled: 2-line block ×4, first 2 shown]
	v_fmac_f64_e32 v[40:41], v[44:45], v[54:55]
	v_fmac_f64_e32 v[38:39], v[22:23], v[54:55]
	;; [unrolled: 1-line block ×4, first 2 shown]
	v_fma_f64 v[24:25], -v[44:45], v[56:57], v[24:25]
	v_fmac_f64_e32 v[40:41], v[42:43], v[56:57]
	v_fma_f64 v[58:59], -v[22:23], v[56:57], v[62:63]
	v_fmac_f64_e32 v[38:39], v[20:21], v[56:57]
	;; [unrolled: 2-line block ×4, first 2 shown]
	global_load_dwordx4 v[10:13], v[34:35], off offset:2224
	global_load_dwordx4 v[16:19], v[34:35], off offset:2208
	;; [unrolled: 1-line block ×4, first 2 shown]
	s_waitcnt vmcnt(3)
	v_fmac_f64_e32 v[62:63], v[10:11], v[50:51]
	s_waitcnt vmcnt(2)
	v_fmac_f64_e32 v[60:61], v[16:17], v[50:51]
	;; [unrolled: 2-line block ×4, first 2 shown]
	v_fmac_f64_e32 v[40:41], v[44:45], v[50:51]
	v_fmac_f64_e32 v[38:39], v[22:23], v[50:51]
	;; [unrolled: 1-line block ×4, first 2 shown]
	v_fma_f64 v[24:25], -v[44:45], v[52:53], v[24:25]
	v_fmac_f64_e32 v[40:41], v[42:43], v[52:53]
	v_fma_f64 v[54:55], -v[22:23], v[52:53], v[58:59]
	v_fmac_f64_e32 v[38:39], v[20:21], v[52:53]
	;; [unrolled: 2-line block ×4, first 2 shown]
	global_load_dwordx4 v[10:13], v[34:35], off offset:2288
	global_load_dwordx4 v[16:19], v[34:35], off offset:2272
	;; [unrolled: 1-line block ×4, first 2 shown]
	global_load_dword v1, v[14:15], off
	v_add_co_u32_e32 v50, vcc, s13, v34
	s_waitcnt vmcnt(4)
	v_fmac_f64_e32 v[58:59], v[10:11], v[46:47]
	v_fma_f64 v[70:71], -v[12:13], v[48:49], v[58:59]
	v_fmac_f64_e32 v[28:29], v[12:13], v[46:47]
	s_waitcnt vmcnt(1)
	v_fmac_f64_e32 v[24:25], v[42:43], v[46:47]
	s_waitcnt vmcnt(0)
	v_subrev_u32_e32 v1, s12, v1
	v_lshlrev_b32_e32 v12, 2, v1
	v_ashrrev_i32_e32 v13, 31, v12
	v_fmac_f64_e32 v[40:41], v[44:45], v[46:47]
	v_fmac_f64_e32 v[54:55], v[20:21], v[46:47]
	;; [unrolled: 1-line block ×5, first 2 shown]
	v_addc_co_u32_e32 v51, vcc, 0, v35, vcc
	v_lshl_add_u64 v[12:13], v[12:13], 4, s[4:5]
	v_fma_f64 v[24:25], -v[44:45], v[48:49], v[24:25]
	v_fmac_f64_e32 v[40:41], v[42:43], v[48:49]
	v_fma_f64 v[66:67], -v[22:23], v[48:49], v[54:55]
	v_fmac_f64_e32 v[38:39], v[20:21], v[48:49]
	;; [unrolled: 2-line block ×3, first 2 shown]
	v_fmac_f64_e32 v[28:29], v[10:11], v[48:49]
	v_lshl_add_u64 v[10:11], v[34:35], 0, s[10:11]
	global_load_dwordx4 v[16:19], v[50:51], off
	global_load_dwordx4 v[20:23], v[10:11], off offset:48
	global_load_dwordx4 v[42:45], v[10:11], off offset:32
	;; [unrolled: 1-line block ×3, first 2 shown]
	s_nop 0
	global_load_dwordx4 v[50:53], v[12:13], off offset:48
	global_load_dwordx4 v[54:57], v[12:13], off offset:32
	;; [unrolled: 1-line block ×3, first 2 shown]
	global_load_dwordx4 v[62:65], v[12:13], off
	v_cmp_ge_i64_e32 vcc, v[30:31], v[32:33]
	v_lshl_add_u64 v[34:35], v[34:35], 0, s[16:17]
	s_or_b64 s[8:9], vcc, s[8:9]
	s_waitcnt vmcnt(0)
	v_fmac_f64_e32 v[24:25], v[16:17], v[62:63]
	v_fmac_f64_e32 v[40:41], v[18:19], v[62:63]
	;; [unrolled: 1-line block ×8, first 2 shown]
	v_fma_f64 v[12:13], -v[18:19], v[64:65], v[24:25]
	v_fmac_f64_e32 v[40:41], v[16:17], v[64:65]
	v_fma_f64 v[24:25], -v[48:49], v[64:65], v[66:67]
	v_fmac_f64_e32 v[38:39], v[46:47], v[64:65]
	;; [unrolled: 2-line block ×4, first 2 shown]
	global_load_dwordx4 v[16:19], v[10:11], off offset:112
	global_load_dwordx4 v[20:23], v[10:11], off offset:96
	;; [unrolled: 1-line block ×4, first 2 shown]
	s_waitcnt vmcnt(3)
	v_fmac_f64_e32 v[68:69], v[16:17], v[58:59]
	s_waitcnt vmcnt(2)
	v_fmac_f64_e32 v[66:67], v[20:21], v[58:59]
	;; [unrolled: 2-line block ×4, first 2 shown]
	v_fmac_f64_e32 v[40:41], v[48:49], v[58:59]
	v_fmac_f64_e32 v[38:39], v[44:45], v[58:59]
	;; [unrolled: 1-line block ×4, first 2 shown]
	v_fma_f64 v[12:13], -v[48:49], v[60:61], v[12:13]
	v_fmac_f64_e32 v[40:41], v[46:47], v[60:61]
	v_fma_f64 v[24:25], -v[44:45], v[60:61], v[24:25]
	v_fmac_f64_e32 v[38:39], v[42:43], v[60:61]
	;; [unrolled: 2-line block ×4, first 2 shown]
	global_load_dwordx4 v[16:19], v[10:11], off offset:176
	global_load_dwordx4 v[20:23], v[10:11], off offset:160
	;; [unrolled: 1-line block ×4, first 2 shown]
	s_waitcnt vmcnt(3)
	v_fmac_f64_e32 v[64:65], v[16:17], v[54:55]
	s_waitcnt vmcnt(2)
	v_fmac_f64_e32 v[62:63], v[20:21], v[54:55]
	;; [unrolled: 2-line block ×4, first 2 shown]
	v_fmac_f64_e32 v[40:41], v[48:49], v[54:55]
	v_fmac_f64_e32 v[38:39], v[44:45], v[54:55]
	;; [unrolled: 1-line block ×3, first 2 shown]
	v_fma_f64 v[12:13], -v[48:49], v[56:57], v[12:13]
	v_fmac_f64_e32 v[40:41], v[46:47], v[56:57]
	v_fma_f64 v[58:59], -v[44:45], v[56:57], v[24:25]
	v_fmac_f64_e32 v[38:39], v[42:43], v[56:57]
	;; [unrolled: 2-line block ×4, first 2 shown]
	global_load_dwordx4 v[22:25], v[10:11], off offset:240
	global_load_dwordx4 v[42:45], v[10:11], off offset:224
	global_load_dwordx4 v[18:21], v[10:11], off offset:208
	global_load_dwordx4 v[46:49], v[10:11], off offset:192
	global_load_dword v1, v[14:15], off offset:32
	v_fmac_f64_e32 v[28:29], v[16:17], v[56:57]
	v_lshl_add_u64 v[14:15], v[14:15], 0, s[14:15]
	s_waitcnt vmcnt(4)
	v_fmac_f64_e32 v[62:63], v[22:23], v[50:51]
	s_waitcnt vmcnt(3)
	v_fmac_f64_e32 v[60:61], v[42:43], v[50:51]
	s_waitcnt vmcnt(2)
	v_fmac_f64_e32 v[58:59], v[18:19], v[50:51]
	s_waitcnt vmcnt(1)
	v_fmac_f64_e32 v[12:13], v[46:47], v[50:51]
	s_waitcnt vmcnt(0)
	v_subrev_u32_e32 v1, s12, v1
	v_lshlrev_b32_e32 v54, 2, v1
	v_ashrrev_i32_e32 v55, 31, v54
	v_fmac_f64_e32 v[40:41], v[48:49], v[50:51]
	v_fmac_f64_e32 v[38:39], v[20:21], v[50:51]
	;; [unrolled: 1-line block ×4, first 2 shown]
	v_lshl_add_u64 v[70:71], v[54:55], 4, s[4:5]
	v_fma_f64 v[12:13], -v[48:49], v[52:53], v[12:13]
	v_fmac_f64_e32 v[40:41], v[46:47], v[52:53]
	v_fma_f64 v[16:17], -v[20:21], v[52:53], v[58:59]
	v_fmac_f64_e32 v[38:39], v[18:19], v[52:53]
	;; [unrolled: 2-line block ×4, first 2 shown]
	global_load_dwordx4 v[22:25], v[10:11], off offset:2096
	global_load_dwordx4 v[42:45], v[10:11], off offset:2080
	;; [unrolled: 1-line block ×7, first 2 shown]
	global_load_dwordx4 v[66:69], v[70:71], off
	s_waitcnt vmcnt(0)
	v_fmac_f64_e32 v[12:13], v[50:51], v[66:67]
	v_fmac_f64_e32 v[40:41], v[52:53], v[66:67]
	;; [unrolled: 1-line block ×8, first 2 shown]
	v_fma_f64 v[12:13], -v[52:53], v[68:69], v[12:13]
	v_fmac_f64_e32 v[40:41], v[50:51], v[68:69]
	v_fma_f64 v[50:51], -v[48:49], v[68:69], v[16:17]
	v_fmac_f64_e32 v[38:39], v[46:47], v[68:69]
	;; [unrolled: 2-line block ×4, first 2 shown]
	global_load_dwordx4 v[16:19], v[10:11], off offset:2160
	global_load_dwordx4 v[20:23], v[10:11], off offset:2144
	;; [unrolled: 1-line block ×4, first 2 shown]
	s_waitcnt vmcnt(3)
	v_fmac_f64_e32 v[70:71], v[16:17], v[62:63]
	s_waitcnt vmcnt(2)
	v_fmac_f64_e32 v[52:53], v[20:21], v[62:63]
	;; [unrolled: 2-line block ×4, first 2 shown]
	v_fmac_f64_e32 v[40:41], v[48:49], v[62:63]
	v_fmac_f64_e32 v[38:39], v[44:45], v[62:63]
	;; [unrolled: 1-line block ×4, first 2 shown]
	v_fma_f64 v[12:13], -v[48:49], v[64:65], v[12:13]
	v_fmac_f64_e32 v[40:41], v[46:47], v[64:65]
	v_fma_f64 v[24:25], -v[44:45], v[64:65], v[50:51]
	v_fmac_f64_e32 v[38:39], v[42:43], v[64:65]
	v_fma_f64 v[50:51], -v[22:23], v[64:65], v[52:53]
	v_fmac_f64_e32 v[36:37], v[20:21], v[64:65]
	v_fma_f64 v[52:53], -v[18:19], v[64:65], v[70:71]
	v_fmac_f64_e32 v[28:29], v[16:17], v[64:65]
	global_load_dwordx4 v[16:19], v[10:11], off offset:2224
	global_load_dwordx4 v[20:23], v[10:11], off offset:2208
	;; [unrolled: 1-line block ×4, first 2 shown]
	s_waitcnt vmcnt(3)
	v_fmac_f64_e32 v[52:53], v[16:17], v[58:59]
	s_waitcnt vmcnt(2)
	v_fmac_f64_e32 v[50:51], v[20:21], v[58:59]
	;; [unrolled: 2-line block ×3, first 2 shown]
	v_fmac_f64_e32 v[38:39], v[44:45], v[58:59]
	v_fmac_f64_e32 v[36:37], v[22:23], v[58:59]
	;; [unrolled: 1-line block ×3, first 2 shown]
	v_fma_f64 v[24:25], -v[44:45], v[60:61], v[24:25]
	v_fmac_f64_e32 v[38:39], v[42:43], v[60:61]
	v_fma_f64 v[62:63], -v[22:23], v[60:61], v[50:51]
	v_fmac_f64_e32 v[36:37], v[20:21], v[60:61]
	v_fma_f64 v[64:65], -v[18:19], v[60:61], v[52:53]
	v_fmac_f64_e32 v[28:29], v[16:17], v[60:61]
	global_load_dwordx4 v[16:19], v[10:11], off offset:2288
	global_load_dwordx4 v[20:23], v[10:11], off offset:2272
	;; [unrolled: 1-line block ×4, first 2 shown]
	s_waitcnt vmcnt(4)
	v_fmac_f64_e32 v[12:13], v[46:47], v[58:59]
	v_fmac_f64_e32 v[40:41], v[48:49], v[58:59]
	v_fma_f64 v[12:13], -v[48:49], v[60:61], v[12:13]
	v_fmac_f64_e32 v[40:41], v[46:47], v[60:61]
	s_waitcnt vmcnt(3)
	v_fmac_f64_e32 v[64:65], v[16:17], v[54:55]
	s_waitcnt vmcnt(2)
	;; [unrolled: 2-line block ×4, first 2 shown]
	v_fmac_f64_e32 v[12:13], v[50:51], v[54:55]
	v_fmac_f64_e32 v[40:41], v[52:53], v[54:55]
	;; [unrolled: 1-line block ×5, first 2 shown]
	v_fma_f64 v[48:49], -v[52:53], v[56:57], v[12:13]
	v_fmac_f64_e32 v[40:41], v[50:51], v[56:57]
	v_fma_f64 v[46:47], -v[44:45], v[56:57], v[24:25]
	v_fmac_f64_e32 v[38:39], v[42:43], v[56:57]
	;; [unrolled: 2-line block ×4, first 2 shown]
	s_andn2_b64 exec, exec, s[8:9]
	s_cbranch_execnz .LBB36_31
; %bb.32:
	s_or_b64 exec, exec, s[8:9]
.LBB36_33:
	s_or_b64 exec, exec, s[2:3]
.LBB36_34:
	s_or_b64 exec, exec, s[6:7]
.LBB36_35:
	v_mov_b32_dpp v22, v38 row_shr:1 row_mask:0xf bank_mask:0xf
	v_mov_b32_dpp v23, v39 row_shr:1 row_mask:0xf bank_mask:0xf
	v_add_f64 v[22:23], v[38:39], v[22:23]
	v_mov_b32_dpp v38, v42 row_shr:1 row_mask:0xf bank_mask:0xf
	v_mov_b32_dpp v39, v43 row_shr:1 row_mask:0xf bank_mask:0xf
	v_mov_b32_dpp v10, v48 row_shr:1 row_mask:0xf bank_mask:0xf
	v_mov_b32_dpp v11, v49 row_shr:1 row_mask:0xf bank_mask:0xf
	v_mov_b32_dpp v14, v40 row_shr:1 row_mask:0xf bank_mask:0xf
	v_mov_b32_dpp v15, v41 row_shr:1 row_mask:0xf bank_mask:0xf
	v_mov_b32_dpp v18, v46 row_shr:1 row_mask:0xf bank_mask:0xf
	v_mov_b32_dpp v19, v47 row_shr:1 row_mask:0xf bank_mask:0xf
	v_mov_b32_dpp v30, v44 row_shr:1 row_mask:0xf bank_mask:0xf
	v_mov_b32_dpp v31, v45 row_shr:1 row_mask:0xf bank_mask:0xf
	v_mov_b32_dpp v34, v36 row_shr:1 row_mask:0xf bank_mask:0xf
	v_mov_b32_dpp v35, v37 row_shr:1 row_mask:0xf bank_mask:0xf
	v_add_f64 v[38:39], v[42:43], v[38:39]
	v_mov_b32_dpp v42, v28 row_shr:1 row_mask:0xf bank_mask:0xf
	v_mov_b32_dpp v43, v29 row_shr:1 row_mask:0xf bank_mask:0xf
	v_add_f64 v[10:11], v[48:49], v[10:11]
	v_add_f64 v[14:15], v[40:41], v[14:15]
	;; [unrolled: 1-line block ×6, first 2 shown]
	v_mov_b32_dpp v12, v10 row_shr:2 row_mask:0xf bank_mask:0xf
	v_mov_b32_dpp v13, v11 row_shr:2 row_mask:0xf bank_mask:0xf
	;; [unrolled: 1-line block ×16, first 2 shown]
	v_add_f64 v[10:11], v[10:11], v[12:13]
	v_add_f64 v[14:15], v[14:15], v[16:17]
	;; [unrolled: 1-line block ×8, first 2 shown]
	v_mov_b32_dpp v12, v10 row_shr:4 row_mask:0xf bank_mask:0xe
	v_mov_b32_dpp v13, v11 row_shr:4 row_mask:0xf bank_mask:0xe
	;; [unrolled: 1-line block ×16, first 2 shown]
	v_cmp_eq_u32_e32 vcc, 7, v0
	s_and_b64 exec, exec, vcc
	s_cbranch_execz .LBB36_8
; %bb.36:
	s_load_dwordx2 s[2:3], s[0:1], 0x60
	v_add_f64 v[0:1], v[10:11], v[12:13]
	v_add_f64 v[10:11], v[14:15], v[16:17]
	;; [unrolled: 1-line block ×8, first 2 shown]
	v_cmp_eq_f64_e32 vcc, 0, v[2:3]
	v_cmp_eq_f64_e64 s[0:1], 0, v[4:5]
	v_mul_f64 v[22:23], v[10:11], -v[8:9]
	v_mul_f64 v[24:25], v[6:7], v[10:11]
	v_mul_f64 v[18:19], v[12:13], -v[8:9]
	v_mul_f64 v[20:21], v[6:7], v[12:13]
	;; [unrolled: 2-line block ×4, first 2 shown]
	s_and_b64 s[0:1], vcc, s[0:1]
	v_fmac_f64_e32 v[22:23], v[6:7], v[0:1]
	v_fmac_f64_e32 v[24:25], v[8:9], v[0:1]
	v_lshlrev_b32_e32 v0, 2, v26
	v_fmac_f64_e32 v[18:19], v[6:7], v[44:45]
	v_fmac_f64_e32 v[20:21], v[8:9], v[44:45]
	;; [unrolled: 1-line block ×6, first 2 shown]
	s_waitcnt lgkmcnt(0)
	s_and_saveexec_b64 s[4:5], s[0:1]
	s_xor_b64 s[0:1], exec, s[4:5]
	s_cbranch_execz .LBB36_38
; %bb.37:
	v_ashrrev_i32_e32 v1, 31, v0
	v_lshl_add_u64 v[0:1], v[0:1], 4, s[2:3]
	global_store_dwordx4 v[0:1], v[22:25], off
	global_store_dwordx4 v[0:1], v[18:21], off offset:16
	global_store_dwordx4 v[0:1], v[14:17], off offset:32
	global_store_dwordx4 v[0:1], v[10:13], off offset:48
                                        ; implicit-def: $vgpr4_vgpr5
                                        ; implicit-def: $vgpr22_vgpr23
                                        ; implicit-def: $vgpr0
                                        ; implicit-def: $vgpr18_vgpr19
                                        ; implicit-def: $vgpr14_vgpr15
                                        ; implicit-def: $vgpr10_vgpr11
.LBB36_38:
	s_andn2_saveexec_b64 s[0:1], s[0:1]
	s_cbranch_execz .LBB36_8
; %bb.39:
	v_ashrrev_i32_e32 v1, 31, v0
	v_lshl_add_u64 v[0:1], v[0:1], 4, s[2:3]
	global_load_dwordx4 v[6:9], v[0:1], off
	global_load_dwordx4 v[26:29], v[0:1], off offset:16
	global_load_dwordx4 v[30:33], v[0:1], off offset:32
	;; [unrolled: 1-line block ×3, first 2 shown]
	s_waitcnt vmcnt(3)
	v_fmac_f64_e32 v[22:23], v[2:3], v[6:7]
	v_fmac_f64_e32 v[24:25], v[4:5], v[6:7]
	s_waitcnt vmcnt(2)
	v_fmac_f64_e32 v[18:19], v[2:3], v[26:27]
	v_fmac_f64_e32 v[20:21], v[4:5], v[26:27]
	;; [unrolled: 3-line block ×4, first 2 shown]
	v_fma_f64 v[22:23], -v[4:5], v[8:9], v[22:23]
	v_fmac_f64_e32 v[24:25], v[2:3], v[8:9]
	v_fma_f64 v[18:19], -v[4:5], v[28:29], v[18:19]
	v_fmac_f64_e32 v[20:21], v[2:3], v[28:29]
	;; [unrolled: 2-line block ×4, first 2 shown]
	global_store_dwordx4 v[0:1], v[22:25], off
	global_store_dwordx4 v[0:1], v[18:21], off offset:16
	global_store_dwordx4 v[0:1], v[14:17], off offset:32
	;; [unrolled: 1-line block ×3, first 2 shown]
	s_endpgm
	.section	.rodata,"a",@progbits
	.p2align	6, 0x0
	.amdhsa_kernel _ZN9rocsparseL18bsrxmvn_4x4_kernelILj128ELj8E21rocsparse_complex_numIdEliS2_S2_S2_EEvT3_20rocsparse_direction_NS_24const_host_device_scalarIT1_EES3_PKS3_PKT2_SC_S9_PKT4_PKT5_S7_PT6_21rocsparse_index_base_b
		.amdhsa_group_segment_fixed_size 0
		.amdhsa_private_segment_fixed_size 0
		.amdhsa_kernarg_size 112
		.amdhsa_user_sgpr_count 2
		.amdhsa_user_sgpr_dispatch_ptr 0
		.amdhsa_user_sgpr_queue_ptr 0
		.amdhsa_user_sgpr_kernarg_segment_ptr 1
		.amdhsa_user_sgpr_dispatch_id 0
		.amdhsa_user_sgpr_kernarg_preload_length 0
		.amdhsa_user_sgpr_kernarg_preload_offset 0
		.amdhsa_user_sgpr_private_segment_size 0
		.amdhsa_uses_dynamic_stack 0
		.amdhsa_enable_private_segment 0
		.amdhsa_system_sgpr_workgroup_id_x 1
		.amdhsa_system_sgpr_workgroup_id_y 0
		.amdhsa_system_sgpr_workgroup_id_z 0
		.amdhsa_system_sgpr_workgroup_info 0
		.amdhsa_system_vgpr_workitem_id 0
		.amdhsa_next_free_vgpr 128
		.amdhsa_next_free_sgpr 22
		.amdhsa_accum_offset 128
		.amdhsa_reserve_vcc 1
		.amdhsa_float_round_mode_32 0
		.amdhsa_float_round_mode_16_64 0
		.amdhsa_float_denorm_mode_32 3
		.amdhsa_float_denorm_mode_16_64 3
		.amdhsa_dx10_clamp 1
		.amdhsa_ieee_mode 1
		.amdhsa_fp16_overflow 0
		.amdhsa_tg_split 0
		.amdhsa_exception_fp_ieee_invalid_op 0
		.amdhsa_exception_fp_denorm_src 0
		.amdhsa_exception_fp_ieee_div_zero 0
		.amdhsa_exception_fp_ieee_overflow 0
		.amdhsa_exception_fp_ieee_underflow 0
		.amdhsa_exception_fp_ieee_inexact 0
		.amdhsa_exception_int_div_zero 0
	.end_amdhsa_kernel
	.section	.text._ZN9rocsparseL18bsrxmvn_4x4_kernelILj128ELj8E21rocsparse_complex_numIdEliS2_S2_S2_EEvT3_20rocsparse_direction_NS_24const_host_device_scalarIT1_EES3_PKS3_PKT2_SC_S9_PKT4_PKT5_S7_PT6_21rocsparse_index_base_b,"axG",@progbits,_ZN9rocsparseL18bsrxmvn_4x4_kernelILj128ELj8E21rocsparse_complex_numIdEliS2_S2_S2_EEvT3_20rocsparse_direction_NS_24const_host_device_scalarIT1_EES3_PKS3_PKT2_SC_S9_PKT4_PKT5_S7_PT6_21rocsparse_index_base_b,comdat
.Lfunc_end36:
	.size	_ZN9rocsparseL18bsrxmvn_4x4_kernelILj128ELj8E21rocsparse_complex_numIdEliS2_S2_S2_EEvT3_20rocsparse_direction_NS_24const_host_device_scalarIT1_EES3_PKS3_PKT2_SC_S9_PKT4_PKT5_S7_PT6_21rocsparse_index_base_b, .Lfunc_end36-_ZN9rocsparseL18bsrxmvn_4x4_kernelILj128ELj8E21rocsparse_complex_numIdEliS2_S2_S2_EEvT3_20rocsparse_direction_NS_24const_host_device_scalarIT1_EES3_PKS3_PKT2_SC_S9_PKT4_PKT5_S7_PT6_21rocsparse_index_base_b
                                        ; -- End function
	.set _ZN9rocsparseL18bsrxmvn_4x4_kernelILj128ELj8E21rocsparse_complex_numIdEliS2_S2_S2_EEvT3_20rocsparse_direction_NS_24const_host_device_scalarIT1_EES3_PKS3_PKT2_SC_S9_PKT4_PKT5_S7_PT6_21rocsparse_index_base_b.num_vgpr, 128
	.set _ZN9rocsparseL18bsrxmvn_4x4_kernelILj128ELj8E21rocsparse_complex_numIdEliS2_S2_S2_EEvT3_20rocsparse_direction_NS_24const_host_device_scalarIT1_EES3_PKS3_PKT2_SC_S9_PKT4_PKT5_S7_PT6_21rocsparse_index_base_b.num_agpr, 0
	.set _ZN9rocsparseL18bsrxmvn_4x4_kernelILj128ELj8E21rocsparse_complex_numIdEliS2_S2_S2_EEvT3_20rocsparse_direction_NS_24const_host_device_scalarIT1_EES3_PKS3_PKT2_SC_S9_PKT4_PKT5_S7_PT6_21rocsparse_index_base_b.numbered_sgpr, 22
	.set _ZN9rocsparseL18bsrxmvn_4x4_kernelILj128ELj8E21rocsparse_complex_numIdEliS2_S2_S2_EEvT3_20rocsparse_direction_NS_24const_host_device_scalarIT1_EES3_PKS3_PKT2_SC_S9_PKT4_PKT5_S7_PT6_21rocsparse_index_base_b.num_named_barrier, 0
	.set _ZN9rocsparseL18bsrxmvn_4x4_kernelILj128ELj8E21rocsparse_complex_numIdEliS2_S2_S2_EEvT3_20rocsparse_direction_NS_24const_host_device_scalarIT1_EES3_PKS3_PKT2_SC_S9_PKT4_PKT5_S7_PT6_21rocsparse_index_base_b.private_seg_size, 0
	.set _ZN9rocsparseL18bsrxmvn_4x4_kernelILj128ELj8E21rocsparse_complex_numIdEliS2_S2_S2_EEvT3_20rocsparse_direction_NS_24const_host_device_scalarIT1_EES3_PKS3_PKT2_SC_S9_PKT4_PKT5_S7_PT6_21rocsparse_index_base_b.uses_vcc, 1
	.set _ZN9rocsparseL18bsrxmvn_4x4_kernelILj128ELj8E21rocsparse_complex_numIdEliS2_S2_S2_EEvT3_20rocsparse_direction_NS_24const_host_device_scalarIT1_EES3_PKS3_PKT2_SC_S9_PKT4_PKT5_S7_PT6_21rocsparse_index_base_b.uses_flat_scratch, 0
	.set _ZN9rocsparseL18bsrxmvn_4x4_kernelILj128ELj8E21rocsparse_complex_numIdEliS2_S2_S2_EEvT3_20rocsparse_direction_NS_24const_host_device_scalarIT1_EES3_PKS3_PKT2_SC_S9_PKT4_PKT5_S7_PT6_21rocsparse_index_base_b.has_dyn_sized_stack, 0
	.set _ZN9rocsparseL18bsrxmvn_4x4_kernelILj128ELj8E21rocsparse_complex_numIdEliS2_S2_S2_EEvT3_20rocsparse_direction_NS_24const_host_device_scalarIT1_EES3_PKS3_PKT2_SC_S9_PKT4_PKT5_S7_PT6_21rocsparse_index_base_b.has_recursion, 0
	.set _ZN9rocsparseL18bsrxmvn_4x4_kernelILj128ELj8E21rocsparse_complex_numIdEliS2_S2_S2_EEvT3_20rocsparse_direction_NS_24const_host_device_scalarIT1_EES3_PKS3_PKT2_SC_S9_PKT4_PKT5_S7_PT6_21rocsparse_index_base_b.has_indirect_call, 0
	.section	.AMDGPU.csdata,"",@progbits
; Kernel info:
; codeLenInByte = 7776
; TotalNumSgprs: 28
; NumVgprs: 128
; NumAgprs: 0
; TotalNumVgprs: 128
; ScratchSize: 0
; MemoryBound: 1
; FloatMode: 240
; IeeeMode: 1
; LDSByteSize: 0 bytes/workgroup (compile time only)
; SGPRBlocks: 3
; VGPRBlocks: 15
; NumSGPRsForWavesPerEU: 28
; NumVGPRsForWavesPerEU: 128
; AccumOffset: 128
; Occupancy: 4
; WaveLimiterHint : 1
; COMPUTE_PGM_RSRC2:SCRATCH_EN: 0
; COMPUTE_PGM_RSRC2:USER_SGPR: 2
; COMPUTE_PGM_RSRC2:TRAP_HANDLER: 0
; COMPUTE_PGM_RSRC2:TGID_X_EN: 1
; COMPUTE_PGM_RSRC2:TGID_Y_EN: 0
; COMPUTE_PGM_RSRC2:TGID_Z_EN: 0
; COMPUTE_PGM_RSRC2:TIDIG_COMP_CNT: 0
; COMPUTE_PGM_RSRC3_GFX90A:ACCUM_OFFSET: 31
; COMPUTE_PGM_RSRC3_GFX90A:TG_SPLIT: 0
	.section	.text._ZN9rocsparseL18bsrxmvn_4x4_kernelILj128ELj16E21rocsparse_complex_numIdEliS2_S2_S2_EEvT3_20rocsparse_direction_NS_24const_host_device_scalarIT1_EES3_PKS3_PKT2_SC_S9_PKT4_PKT5_S7_PT6_21rocsparse_index_base_b,"axG",@progbits,_ZN9rocsparseL18bsrxmvn_4x4_kernelILj128ELj16E21rocsparse_complex_numIdEliS2_S2_S2_EEvT3_20rocsparse_direction_NS_24const_host_device_scalarIT1_EES3_PKS3_PKT2_SC_S9_PKT4_PKT5_S7_PT6_21rocsparse_index_base_b,comdat
	.globl	_ZN9rocsparseL18bsrxmvn_4x4_kernelILj128ELj16E21rocsparse_complex_numIdEliS2_S2_S2_EEvT3_20rocsparse_direction_NS_24const_host_device_scalarIT1_EES3_PKS3_PKT2_SC_S9_PKT4_PKT5_S7_PT6_21rocsparse_index_base_b ; -- Begin function _ZN9rocsparseL18bsrxmvn_4x4_kernelILj128ELj16E21rocsparse_complex_numIdEliS2_S2_S2_EEvT3_20rocsparse_direction_NS_24const_host_device_scalarIT1_EES3_PKS3_PKT2_SC_S9_PKT4_PKT5_S7_PT6_21rocsparse_index_base_b
	.p2align	8
	.type	_ZN9rocsparseL18bsrxmvn_4x4_kernelILj128ELj16E21rocsparse_complex_numIdEliS2_S2_S2_EEvT3_20rocsparse_direction_NS_24const_host_device_scalarIT1_EES3_PKS3_PKT2_SC_S9_PKT4_PKT5_S7_PT6_21rocsparse_index_base_b,@function
_ZN9rocsparseL18bsrxmvn_4x4_kernelILj128ELj16E21rocsparse_complex_numIdEliS2_S2_S2_EEvT3_20rocsparse_direction_NS_24const_host_device_scalarIT1_EES3_PKS3_PKT2_SC_S9_PKT4_PKT5_S7_PT6_21rocsparse_index_base_b: ; @_ZN9rocsparseL18bsrxmvn_4x4_kernelILj128ELj16E21rocsparse_complex_numIdEliS2_S2_S2_EEvT3_20rocsparse_direction_NS_24const_host_device_scalarIT1_EES3_PKS3_PKT2_SC_S9_PKT4_PKT5_S7_PT6_21rocsparse_index_base_b
; %bb.0:
	s_load_dwordx2 s[4:5], s[0:1], 0x8
	s_load_dwordx2 s[12:13], s[0:1], 0x68
	s_add_u32 s3, s0, 8
	s_addc_u32 s8, s1, 0
	s_add_u32 s9, s0, 0x50
	s_load_dwordx2 s[6:7], s[0:1], 0x50
	s_addc_u32 s10, s1, 0
	s_waitcnt lgkmcnt(0)
	s_bitcmp1_b32 s13, 0
	s_cselect_b32 s5, s8, s5
	s_cselect_b32 s3, s3, s4
	v_mov_b32_e32 v2, s3
	v_mov_b32_e32 v3, s5
	flat_load_dwordx4 v[6:9], v[2:3]
	s_cselect_b32 s3, s10, s7
	s_cselect_b32 s4, s9, s6
	v_mov_b32_e32 v2, s4
	v_mov_b32_e32 v3, s3
	flat_load_dwordx4 v[2:5], v[2:3]
	s_waitcnt vmcnt(0) lgkmcnt(0)
	v_cmp_eq_f64_e32 vcc, 0, v[6:7]
	v_cmp_eq_f64_e64 s[4:5], 0, v[8:9]
	s_and_b64 s[8:9], vcc, s[4:5]
	s_mov_b64 s[4:5], -1
	s_and_saveexec_b64 s[6:7], s[8:9]
; %bb.1:
	v_cmp_neq_f64_e32 vcc, 1.0, v[2:3]
	v_cmp_neq_f64_e64 s[4:5], 0, v[4:5]
	s_or_b64 s[4:5], vcc, s[4:5]
	s_orn2_b64 s[4:5], s[4:5], exec
; %bb.2:
	s_or_b64 exec, exec, s[6:7]
	s_and_saveexec_b64 s[6:7], s[4:5]
	s_cbranch_execz .LBB37_8
; %bb.3:
	s_load_dwordx2 s[4:5], s[0:1], 0x20
	s_load_dwordx2 s[14:15], s[0:1], 0x0
	v_lshrrev_b32_e32 v1, 4, v0
	v_lshl_or_b32 v26, s2, 3, v1
	s_mov_b64 s[2:3], 0
	s_waitcnt lgkmcnt(0)
	s_cmp_lg_u64 s[4:5], 0
	s_cbranch_scc0 .LBB37_9
; %bb.4:
	s_load_dword s6, s[0:1], 0x18
                                        ; implicit-def: $vgpr1
	s_waitcnt lgkmcnt(0)
	v_cmp_gt_i32_e32 vcc, s6, v26
	s_and_saveexec_b64 s[6:7], vcc
	s_xor_b64 s[6:7], exec, s[6:7]
	s_cbranch_execz .LBB37_6
; %bb.5:
	v_ashrrev_i32_e32 v27, 31, v26
	v_lshl_add_u64 v[10:11], v[26:27], 2, s[4:5]
	global_load_dword v1, v[10:11], off
	s_mov_b64 s[2:3], exec
	s_waitcnt vmcnt(0)
	v_subrev_u32_e32 v1, s12, v1
.LBB37_6:
	s_or_b64 exec, exec, s[6:7]
	s_branch .LBB37_10
.LBB37_7:
	v_cmp_gt_i32_e32 vcc, s14, v26
	s_andn2_b64 s[2:3], s[2:3], exec
	s_and_b64 s[4:5], vcc, exec
	s_or_b64 s[2:3], s[2:3], s[4:5]
	s_and_b64 exec, exec, s[2:3]
	s_cbranch_execnz .LBB37_11
.LBB37_8:
	s_endpgm
.LBB37_9:
                                        ; implicit-def: $vgpr1
	s_cbranch_execnz .LBB37_7
.LBB37_10:
	v_mov_b32_e32 v26, v1
	s_and_b64 exec, exec, s[2:3]
	s_cbranch_execz .LBB37_8
.LBB37_11:
	s_load_dwordx8 s[4:11], s[0:1], 0x28
	v_ashrrev_i32_e32 v27, 31, v26
	v_lshlrev_b64 v[10:11], 3, v[26:27]
	v_and_b32_e32 v0, 15, v0
	v_mov_b32_e32 v1, 0
	s_waitcnt lgkmcnt(0)
	v_lshl_add_u64 v[12:13], s[4:5], 0, v[10:11]
	s_cmp_eq_u64 s[6:7], 0
	v_lshl_add_u64 v[10:11], s[6:7], 0, v[10:11]
	global_load_dwordx2 v[50:51], v[12:13], off
	v_lshl_add_u64 v[12:13], v[12:13], 0, 8
	s_cselect_b64 vcc, -1, 0
	v_cndmask_b32_e32 v11, v11, v13, vcc
	v_cndmask_b32_e32 v10, v10, v12, vcc
	global_load_dwordx2 v[10:11], v[10:11], off
	s_load_dwordx2 s[4:5], s[0:1], 0x48
	s_cmp_eq_u32 s15, 1
	s_waitcnt vmcnt(1)
	v_subrev_co_u32_e32 v12, vcc, s12, v50
	s_nop 1
	v_subbrev_co_u32_e32 v13, vcc, 0, v51, vcc
	v_lshl_add_u64 v[30:31], v[12:13], 0, v[0:1]
	s_waitcnt vmcnt(0)
	v_subrev_co_u32_e32 v32, vcc, s12, v10
	s_nop 1
	v_subbrev_co_u32_e32 v33, vcc, 0, v11, vcc
	v_lshlrev_b64 v[10:11], 8, v[30:31]
	v_lshl_add_u64 v[36:37], s[10:11], 0, v[10:11]
	v_cmp_lt_i64_e64 s[2:3], v[30:31], v[32:33]
	s_cbranch_scc1 .LBB37_23
; %bb.12:
	v_mov_b64_e32 v[40:41], 0
	v_mov_b64_e32 v[48:49], 0
	;; [unrolled: 1-line block ×8, first 2 shown]
	s_and_saveexec_b64 s[6:7], s[2:3]
	s_cbranch_execz .LBB37_22
; %bb.13:
	v_or_b32_e32 v1, 16, v0
	v_subrev_co_u32_e32 v10, vcc, s12, v1
	v_not_b32_e32 v13, v51
	s_nop 0
	v_subb_co_u32_e64 v11, s[10:11], 0, 0, vcc
	v_lshl_add_u64 v[10:11], v[10:11], 0, v[50:51]
	v_cmp_gt_i64_e32 vcc, v[10:11], v[32:33]
	v_not_b32_e32 v12, v50
	v_mov_b64_e32 v[38:39], 0
	v_cndmask_b32_e32 v11, v33, v11, vcc
	v_cndmask_b32_e32 v10, v32, v10, vcc
	v_sub_co_u32_e32 v14, vcc, s12, v0
	v_mov_b64_e32 v[46:47], 0
	s_nop 0
	v_subb_co_u32_e64 v15, s[10:11], 0, 0, vcc
	v_lshl_add_u64 v[12:13], v[14:15], 0, v[12:13]
	v_lshl_add_u64 v[18:19], v[12:13], 0, v[10:11]
	v_and_b32_e32 v10, 48, v18
	v_mov_b32_e32 v11, 0
	v_cmp_ne_u64_e32 vcc, 48, v[10:11]
	v_mov_b64_e32 v[34:35], 0
	v_mov_b64_e32 v[44:45], 0
	;; [unrolled: 1-line block ×8, first 2 shown]
	s_and_saveexec_b64 s[10:11], vcc
	s_cbranch_execz .LBB37_17
; %bb.14:
	v_lshrrev_b32_e32 v1, 4, v18
	v_add_u32_e32 v1, 1, v1
	v_and_b32_e32 v1, 3, v1
	v_sub_co_u32_e32 v22, vcc, 0, v1
	v_lshl_add_u64 v[20:21], v[30:31], 2, s[8:9]
	s_nop 0
	v_subb_co_u32_e64 v23, s[16:17], 0, 0, vcc
	s_mov_b64 s[14:15], 0
	v_mov_b64_e32 v[40:41], 0
	s_mov_b64 s[16:17], 0x1000
	v_mov_b64_e32 v[54:55], v[30:31]
	v_mov_b64_e32 v[52:53], v[36:37]
	v_mov_b64_e32 v[48:49], 0
	v_mov_b64_e32 v[42:43], 0
	v_mov_b64_e32 v[28:29], 0
	v_mov_b64_e32 v[44:45], 0
	v_mov_b64_e32 v[34:35], 0
	v_mov_b64_e32 v[46:47], 0
	v_mov_b64_e32 v[38:39], 0
.LBB37_15:                              ; =>This Inner Loop Header: Depth=1
	global_load_dword v1, v[20:21], off
	global_load_dwordx4 v[10:13], v[52:53], off offset:16
	global_load_dwordx4 v[14:17], v[52:53], off
	global_load_dwordx4 v[56:59], v[52:53], off offset:80
	global_load_dwordx4 v[60:63], v[52:53], off offset:64
	;; [unrolled: 1-line block ×14, first 2 shown]
	v_lshl_add_u64 v[22:23], v[22:23], 0, 1
	v_cmp_eq_u64_e32 vcc, 0, v[22:23]
	v_lshl_add_u64 v[52:53], v[52:53], 0, s[16:17]
	v_lshl_add_u64 v[54:55], v[54:55], 0, 16
	;; [unrolled: 1-line block ×3, first 2 shown]
	s_or_b64 s[14:15], vcc, s[14:15]
	s_waitcnt vmcnt(16)
	v_subrev_u32_e32 v1, s12, v1
	v_lshlrev_b32_e32 v24, 2, v1
	v_ashrrev_i32_e32 v25, 31, v24
	s_waitcnt lgkmcnt(0)
	v_lshl_add_u64 v[24:25], v[24:25], 4, s[4:5]
	global_load_dwordx4 v[112:115], v[24:25], off
	global_load_dwordx4 v[116:119], v[24:25], off offset:16
	global_load_dwordx4 v[120:123], v[24:25], off offset:32
	;; [unrolled: 1-line block ×3, first 2 shown]
	s_waitcnt vmcnt(3)
	v_fmac_f64_e32 v[48:49], v[14:15], v[112:113]
	v_fmac_f64_e32 v[40:41], v[16:17], v[112:113]
	v_fmac_f64_e32 v[46:47], v[60:61], v[112:113]
	v_fmac_f64_e32 v[38:39], v[62:63], v[112:113]
	v_fmac_f64_e32 v[44:45], v[68:69], v[112:113]
	v_fmac_f64_e32 v[34:35], v[70:71], v[112:113]
	v_fmac_f64_e32 v[42:43], v[72:73], v[112:113]
	v_fmac_f64_e32 v[28:29], v[74:75], v[112:113]
	v_fma_f64 v[16:17], -v[16:17], v[114:115], v[48:49]
	v_fmac_f64_e32 v[40:41], v[14:15], v[114:115]
	v_fma_f64 v[14:15], -v[62:63], v[114:115], v[46:47]
	v_fmac_f64_e32 v[38:39], v[60:61], v[114:115]
	v_fma_f64 v[24:25], -v[70:71], v[114:115], v[44:45]
	v_fmac_f64_e32 v[34:35], v[68:69], v[114:115]
	v_fma_f64 v[42:43], -v[74:75], v[114:115], v[42:43]
	v_fmac_f64_e32 v[28:29], v[72:73], v[114:115]
	s_waitcnt vmcnt(2)
	v_fmac_f64_e32 v[16:17], v[10:11], v[116:117]
	v_fmac_f64_e32 v[40:41], v[12:13], v[116:117]
	v_fmac_f64_e32 v[14:15], v[56:57], v[116:117]
	v_fmac_f64_e32 v[38:39], v[58:59], v[116:117]
	v_fmac_f64_e32 v[24:25], v[64:65], v[116:117]
	v_fmac_f64_e32 v[34:35], v[66:67], v[116:117]
	v_fmac_f64_e32 v[42:43], v[76:77], v[116:117]
	v_fmac_f64_e32 v[28:29], v[78:79], v[116:117]
	v_fma_f64 v[12:13], -v[12:13], v[118:119], v[16:17]
	v_fmac_f64_e32 v[40:41], v[10:11], v[118:119]
	v_fma_f64 v[10:11], -v[58:59], v[118:119], v[14:15]
	v_fmac_f64_e32 v[38:39], v[56:57], v[118:119]
	v_fma_f64 v[14:15], -v[66:67], v[118:119], v[24:25]
	v_fmac_f64_e32 v[34:35], v[64:65], v[118:119]
	v_fma_f64 v[16:17], -v[78:79], v[118:119], v[42:43]
	v_fmac_f64_e32 v[28:29], v[76:77], v[118:119]
	;; [unrolled: 17-line block ×4, first 2 shown]
	s_andn2_b64 exec, exec, s[14:15]
	s_cbranch_execnz .LBB37_15
; %bb.16:
	s_or_b64 exec, exec, s[14:15]
.LBB37_17:
	s_or_b64 exec, exec, s[10:11]
	v_cmp_lt_u64_e32 vcc, 47, v[18:19]
	s_and_saveexec_b64 s[10:11], vcc
	s_cbranch_execz .LBB37_21
; %bb.18:
	v_lshl_add_u64 v[10:11], v[54:55], 2, s[8:9]
	s_mov_b64 s[14:15], 0x80
	v_lshl_add_u64 v[56:57], v[10:11], 0, s[14:15]
	s_mov_b64 s[14:15], 0
	s_mov_b64 s[16:17], 0x1000
	;; [unrolled: 1-line block ×3, first 2 shown]
	s_movk_i32 s13, 0x2000
	s_mov_b64 s[20:21], 0x3000
	s_movk_i32 s26, 0x3000
	s_mov_b64 s[22:23], 0x100
	s_mov_b64 s[24:25], 0x4000
.LBB37_19:                              ; =>This Inner Loop Header: Depth=1
	global_load_dword v1, v[56:57], off offset:-128
	global_load_dwordx4 v[58:61], v[52:53], off offset:48
	global_load_dwordx4 v[62:65], v[52:53], off offset:32
	;; [unrolled: 1-line block ×3, first 2 shown]
	global_load_dwordx4 v[70:73], v[52:53], off
	v_lshl_add_u64 v[82:83], v[52:53], 0, s[16:17]
	v_lshl_add_u64 v[54:55], v[54:55], 0, 64
	s_waitcnt vmcnt(4)
	v_subrev_u32_e32 v1, s12, v1
	v_lshlrev_b32_e32 v10, 2, v1
	v_ashrrev_i32_e32 v11, 31, v10
	s_waitcnt lgkmcnt(0)
	v_lshl_add_u64 v[74:75], v[10:11], 4, s[4:5]
	global_load_dwordx4 v[10:13], v[74:75], off offset:48
	global_load_dwordx4 v[14:17], v[74:75], off offset:32
	;; [unrolled: 1-line block ×3, first 2 shown]
	global_load_dwordx4 v[22:25], v[74:75], off
	s_waitcnt vmcnt(0)
	v_fmac_f64_e32 v[48:49], v[70:71], v[22:23]
	v_fmac_f64_e32 v[40:41], v[72:73], v[22:23]
	v_fma_f64 v[48:49], -v[72:73], v[24:25], v[48:49]
	v_fmac_f64_e32 v[40:41], v[70:71], v[24:25]
	v_fmac_f64_e32 v[48:49], v[66:67], v[18:19]
	v_fmac_f64_e32 v[40:41], v[68:69], v[18:19]
	v_fma_f64 v[48:49], -v[68:69], v[20:21], v[48:49]
	v_fmac_f64_e32 v[40:41], v[66:67], v[20:21]
	v_fmac_f64_e32 v[48:49], v[62:63], v[14:15]
	v_fmac_f64_e32 v[40:41], v[64:65], v[14:15]
	v_fma_f64 v[48:49], -v[64:65], v[16:17], v[48:49]
	v_fmac_f64_e32 v[40:41], v[62:63], v[16:17]
	v_fmac_f64_e32 v[48:49], v[58:59], v[10:11]
	v_fmac_f64_e32 v[40:41], v[60:61], v[10:11]
	v_fma_f64 v[48:49], -v[60:61], v[12:13], v[48:49]
	v_fmac_f64_e32 v[40:41], v[58:59], v[12:13]
	global_load_dwordx4 v[58:61], v[52:53], off offset:112
	global_load_dwordx4 v[62:65], v[52:53], off offset:96
	global_load_dwordx4 v[66:69], v[52:53], off offset:80
	global_load_dwordx4 v[70:73], v[52:53], off offset:64
	s_waitcnt vmcnt(0)
	v_fmac_f64_e32 v[46:47], v[70:71], v[22:23]
	v_fmac_f64_e32 v[38:39], v[72:73], v[22:23]
	v_fma_f64 v[46:47], -v[72:73], v[24:25], v[46:47]
	v_fmac_f64_e32 v[38:39], v[70:71], v[24:25]
	v_fmac_f64_e32 v[46:47], v[66:67], v[18:19]
	v_fmac_f64_e32 v[38:39], v[68:69], v[18:19]
	v_fma_f64 v[46:47], -v[68:69], v[20:21], v[46:47]
	v_fmac_f64_e32 v[38:39], v[66:67], v[20:21]
	v_fmac_f64_e32 v[46:47], v[62:63], v[14:15]
	v_fmac_f64_e32 v[38:39], v[64:65], v[14:15]
	v_fma_f64 v[46:47], -v[64:65], v[16:17], v[46:47]
	v_fmac_f64_e32 v[38:39], v[62:63], v[16:17]
	v_fmac_f64_e32 v[46:47], v[58:59], v[10:11]
	v_fmac_f64_e32 v[38:39], v[60:61], v[10:11]
	v_fma_f64 v[46:47], -v[60:61], v[12:13], v[46:47]
	v_fmac_f64_e32 v[38:39], v[58:59], v[12:13]
	global_load_dwordx4 v[58:61], v[52:53], off offset:176
	global_load_dwordx4 v[62:65], v[52:53], off offset:160
	global_load_dwordx4 v[66:69], v[52:53], off offset:144
	global_load_dwordx4 v[70:73], v[52:53], off offset:128
	;; [unrolled: 21-line block ×3, first 2 shown]
	global_load_dword v1, v[56:57], off offset:-64
	s_waitcnt vmcnt(1)
	v_fmac_f64_e32 v[42:43], v[70:71], v[22:23]
	v_fmac_f64_e32 v[28:29], v[72:73], v[22:23]
	v_fma_f64 v[42:43], -v[72:73], v[24:25], v[42:43]
	v_fmac_f64_e32 v[28:29], v[70:71], v[24:25]
	v_fmac_f64_e32 v[42:43], v[66:67], v[18:19]
	;; [unrolled: 1-line block ×3, first 2 shown]
	v_fma_f64 v[22:23], -v[68:69], v[20:21], v[42:43]
	v_fmac_f64_e32 v[28:29], v[66:67], v[20:21]
	v_fmac_f64_e32 v[22:23], v[62:63], v[14:15]
	;; [unrolled: 1-line block ×3, first 2 shown]
	s_waitcnt vmcnt(0)
	v_subrev_u32_e32 v1, s12, v1
	v_fma_f64 v[18:19], -v[64:65], v[16:17], v[22:23]
	v_fmac_f64_e32 v[28:29], v[62:63], v[16:17]
	v_lshlrev_b32_e32 v24, 2, v1
	v_fmac_f64_e32 v[18:19], v[58:59], v[10:11]
	v_fmac_f64_e32 v[28:29], v[60:61], v[10:11]
	v_add_co_u32_e32 v10, vcc, s13, v52
	v_ashrrev_i32_e32 v25, 31, v24
	s_nop 0
	v_addc_co_u32_e32 v11, vcc, 0, v53, vcc
	v_lshl_add_u64 v[24:25], v[24:25], 4, s[4:5]
	v_fma_f64 v[80:81], -v[60:61], v[12:13], v[18:19]
	v_fmac_f64_e32 v[28:29], v[58:59], v[12:13]
	global_load_dwordx4 v[12:15], v[10:11], off offset:-4096
	global_load_dwordx4 v[16:19], v[82:83], off offset:48
	global_load_dwordx4 v[20:23], v[82:83], off offset:32
	;; [unrolled: 1-line block ×6, first 2 shown]
	global_load_dwordx4 v[70:73], v[24:25], off
	s_waitcnt vmcnt(0)
	v_fmac_f64_e32 v[48:49], v[12:13], v[70:71]
	v_fmac_f64_e32 v[40:41], v[14:15], v[70:71]
	v_fma_f64 v[24:25], -v[14:15], v[72:73], v[48:49]
	v_fmac_f64_e32 v[40:41], v[12:13], v[72:73]
	v_fmac_f64_e32 v[24:25], v[42:43], v[66:67]
	v_fmac_f64_e32 v[40:41], v[44:45], v[66:67]
	v_fma_f64 v[12:13], -v[44:45], v[68:69], v[24:25]
	v_fmac_f64_e32 v[40:41], v[42:43], v[68:69]
	;; [unrolled: 4-line block ×4, first 2 shown]
	global_load_dwordx4 v[16:19], v[82:83], off offset:112
	global_load_dwordx4 v[20:23], v[82:83], off offset:96
	;; [unrolled: 1-line block ×4, first 2 shown]
	s_waitcnt vmcnt(0)
	v_fmac_f64_e32 v[46:47], v[74:75], v[70:71]
	v_fma_f64 v[14:15], -v[76:77], v[72:73], v[46:47]
	v_fmac_f64_e32 v[38:39], v[76:77], v[70:71]
	v_fmac_f64_e32 v[38:39], v[74:75], v[72:73]
	v_fmac_f64_e32 v[14:15], v[42:43], v[66:67]
	v_fma_f64 v[14:15], -v[44:45], v[68:69], v[14:15]
	v_fmac_f64_e32 v[38:39], v[44:45], v[66:67]
	v_fmac_f64_e32 v[38:39], v[42:43], v[68:69]
	;; [unrolled: 4-line block ×3, first 2 shown]
	v_fmac_f64_e32 v[14:15], v[16:17], v[58:59]
	v_fma_f64 v[14:15], -v[18:19], v[60:61], v[14:15]
	v_fmac_f64_e32 v[38:39], v[18:19], v[58:59]
	global_load_dwordx4 v[18:21], v[82:83], off offset:176
	global_load_dwordx4 v[22:25], v[82:83], off offset:160
	;; [unrolled: 1-line block ×4, first 2 shown]
	v_fmac_f64_e32 v[38:39], v[16:17], v[60:61]
	s_waitcnt vmcnt(0)
	v_fmac_f64_e32 v[78:79], v[46:47], v[70:71]
	v_fma_f64 v[16:17], -v[48:49], v[72:73], v[78:79]
	v_fmac_f64_e32 v[34:35], v[48:49], v[70:71]
	v_fmac_f64_e32 v[34:35], v[46:47], v[72:73]
	v_fmac_f64_e32 v[16:17], v[42:43], v[66:67]
	v_fma_f64 v[16:17], -v[44:45], v[68:69], v[16:17]
	v_fmac_f64_e32 v[34:35], v[44:45], v[66:67]
	v_fmac_f64_e32 v[34:35], v[42:43], v[68:69]
	;; [unrolled: 4-line block ×3, first 2 shown]
	v_fmac_f64_e32 v[16:17], v[18:19], v[58:59]
	v_fma_f64 v[16:17], -v[20:21], v[60:61], v[16:17]
	v_fmac_f64_e32 v[34:35], v[20:21], v[58:59]
	global_load_dwordx4 v[20:23], v[82:83], off offset:240
	global_load_dwordx4 v[42:45], v[82:83], off offset:224
	;; [unrolled: 1-line block ×4, first 2 shown]
	global_load_dword v1, v[56:57], off
	v_fmac_f64_e32 v[34:35], v[18:19], v[60:61]
	v_lshl_add_u64 v[78:79], v[52:53], 0, s[18:19]
	s_waitcnt vmcnt(1)
	v_fmac_f64_e32 v[28:29], v[76:77], v[70:71]
	v_fmac_f64_e32 v[80:81], v[74:75], v[70:71]
	v_fmac_f64_e32 v[28:29], v[74:75], v[72:73]
	v_fma_f64 v[18:19], -v[76:77], v[72:73], v[80:81]
	v_fmac_f64_e32 v[28:29], v[48:49], v[66:67]
	v_fmac_f64_e32 v[18:19], v[46:47], v[66:67]
	v_fmac_f64_e32 v[28:29], v[46:47], v[68:69]
	v_fma_f64 v[18:19], -v[48:49], v[68:69], v[18:19]
	;; [unrolled: 4-line block ×3, first 2 shown]
	v_fmac_f64_e32 v[28:29], v[22:23], v[58:59]
	s_waitcnt vmcnt(0)
	v_subrev_u32_e32 v1, s12, v1
	v_fmac_f64_e32 v[18:19], v[20:21], v[58:59]
	v_fmac_f64_e32 v[28:29], v[20:21], v[60:61]
	v_lshlrev_b32_e32 v20, 2, v1
	v_ashrrev_i32_e32 v21, 31, v20
	v_fma_f64 v[18:19], -v[22:23], v[60:61], v[18:19]
	global_load_dwordx4 v[22:25], v[10:11], off
	global_load_dwordx4 v[42:45], v[78:79], off offset:48
	global_load_dwordx4 v[46:49], v[78:79], off offset:32
	;; [unrolled: 1-line block ×3, first 2 shown]
	v_lshl_add_u64 v[10:11], v[20:21], 4, s[4:5]
	global_load_dwordx4 v[62:65], v[10:11], off offset:48
	global_load_dwordx4 v[66:69], v[10:11], off offset:32
	global_load_dwordx4 v[70:73], v[10:11], off offset:16
	global_load_dwordx4 v[74:77], v[10:11], off
	s_waitcnt vmcnt(0)
	v_fmac_f64_e32 v[12:13], v[22:23], v[74:75]
	v_fmac_f64_e32 v[40:41], v[24:25], v[74:75]
	v_fma_f64 v[10:11], -v[24:25], v[76:77], v[12:13]
	v_fmac_f64_e32 v[40:41], v[22:23], v[76:77]
	v_fmac_f64_e32 v[10:11], v[58:59], v[70:71]
	v_fmac_f64_e32 v[40:41], v[60:61], v[70:71]
	v_fma_f64 v[10:11], -v[60:61], v[72:73], v[10:11]
	v_fmac_f64_e32 v[40:41], v[58:59], v[72:73]
	v_fmac_f64_e32 v[10:11], v[46:47], v[66:67]
	v_fmac_f64_e32 v[40:41], v[48:49], v[66:67]
	v_fma_f64 v[10:11], -v[48:49], v[68:69], v[10:11]
	v_fmac_f64_e32 v[40:41], v[46:47], v[68:69]
	v_fmac_f64_e32 v[10:11], v[42:43], v[62:63]
	v_fmac_f64_e32 v[40:41], v[44:45], v[62:63]
	v_fma_f64 v[10:11], -v[44:45], v[64:65], v[10:11]
	v_fmac_f64_e32 v[40:41], v[42:43], v[64:65]
	global_load_dwordx4 v[20:23], v[78:79], off offset:112
	global_load_dwordx4 v[42:45], v[78:79], off offset:96
	global_load_dwordx4 v[46:49], v[78:79], off offset:80
	global_load_dwordx4 v[58:61], v[78:79], off offset:64
	s_waitcnt vmcnt(0)
	v_fmac_f64_e32 v[14:15], v[58:59], v[74:75]
	v_fmac_f64_e32 v[38:39], v[60:61], v[74:75]
	v_fma_f64 v[12:13], -v[60:61], v[76:77], v[14:15]
	v_fmac_f64_e32 v[38:39], v[58:59], v[76:77]
	v_fmac_f64_e32 v[12:13], v[46:47], v[70:71]
	v_fmac_f64_e32 v[38:39], v[48:49], v[70:71]
	v_fma_f64 v[12:13], -v[48:49], v[72:73], v[12:13]
	v_fmac_f64_e32 v[38:39], v[46:47], v[72:73]
	v_fmac_f64_e32 v[12:13], v[42:43], v[66:67]
	v_fmac_f64_e32 v[38:39], v[44:45], v[66:67]
	v_fma_f64 v[12:13], -v[44:45], v[68:69], v[12:13]
	v_fmac_f64_e32 v[38:39], v[42:43], v[68:69]
	v_fmac_f64_e32 v[12:13], v[20:21], v[62:63]
	v_fmac_f64_e32 v[38:39], v[22:23], v[62:63]
	v_fma_f64 v[12:13], -v[22:23], v[64:65], v[12:13]
	v_fmac_f64_e32 v[38:39], v[20:21], v[64:65]
	global_load_dwordx4 v[20:23], v[78:79], off offset:176
	global_load_dwordx4 v[42:45], v[78:79], off offset:160
	global_load_dwordx4 v[46:49], v[78:79], off offset:144
	global_load_dwordx4 v[58:61], v[78:79], off offset:128
	;; [unrolled: 21-line block ×3, first 2 shown]
	global_load_dword v1, v[56:57], off offset:64
	v_lshl_add_u64 v[78:79], v[52:53], 0, s[20:21]
	v_lshl_add_u64 v[56:57], v[56:57], 0, s[22:23]
	s_waitcnt vmcnt(1)
	v_fmac_f64_e32 v[18:19], v[58:59], v[74:75]
	v_fmac_f64_e32 v[28:29], v[60:61], v[74:75]
	v_fma_f64 v[16:17], -v[60:61], v[76:77], v[18:19]
	v_fmac_f64_e32 v[28:29], v[58:59], v[76:77]
	v_fmac_f64_e32 v[16:17], v[46:47], v[70:71]
	;; [unrolled: 1-line block ×3, first 2 shown]
	v_fma_f64 v[16:17], -v[48:49], v[72:73], v[16:17]
	v_fmac_f64_e32 v[28:29], v[46:47], v[72:73]
	s_waitcnt vmcnt(0)
	v_subrev_u32_e32 v1, s12, v1
	v_fmac_f64_e32 v[16:17], v[42:43], v[66:67]
	v_fmac_f64_e32 v[28:29], v[44:45], v[66:67]
	v_lshlrev_b32_e32 v58, 2, v1
	v_fma_f64 v[16:17], -v[44:45], v[68:69], v[16:17]
	v_fmac_f64_e32 v[28:29], v[42:43], v[68:69]
	v_add_co_u32_e32 v60, vcc, s26, v52
	v_ashrrev_i32_e32 v59, 31, v58
	v_fmac_f64_e32 v[16:17], v[20:21], v[62:63]
	v_fmac_f64_e32 v[28:29], v[22:23], v[62:63]
	v_addc_co_u32_e32 v61, vcc, 0, v53, vcc
	v_lshl_add_u64 v[74:75], v[58:59], 4, s[4:5]
	v_fma_f64 v[16:17], -v[22:23], v[64:65], v[16:17]
	v_fmac_f64_e32 v[28:29], v[20:21], v[64:65]
	global_load_dwordx4 v[18:21], v[60:61], off
	global_load_dwordx4 v[22:25], v[78:79], off offset:48
	global_load_dwordx4 v[42:45], v[78:79], off offset:32
	;; [unrolled: 1-line block ×3, first 2 shown]
	s_nop 0
	global_load_dwordx4 v[58:61], v[74:75], off offset:48
	global_load_dwordx4 v[62:65], v[74:75], off offset:32
	;; [unrolled: 1-line block ×3, first 2 shown]
	global_load_dwordx4 v[70:73], v[74:75], off
	v_cmp_ge_i64_e32 vcc, v[54:55], v[32:33]
	v_lshl_add_u64 v[52:53], v[52:53], 0, s[24:25]
	s_or_b64 s[14:15], vcc, s[14:15]
	s_waitcnt vmcnt(0)
	v_fmac_f64_e32 v[10:11], v[18:19], v[70:71]
	v_fmac_f64_e32 v[40:41], v[20:21], v[70:71]
	v_fma_f64 v[10:11], -v[20:21], v[72:73], v[10:11]
	v_fmac_f64_e32 v[40:41], v[18:19], v[72:73]
	v_fmac_f64_e32 v[10:11], v[46:47], v[66:67]
	v_fmac_f64_e32 v[40:41], v[48:49], v[66:67]
	v_fma_f64 v[10:11], -v[48:49], v[68:69], v[10:11]
	v_fmac_f64_e32 v[40:41], v[46:47], v[68:69]
	v_fmac_f64_e32 v[10:11], v[42:43], v[62:63]
	v_fmac_f64_e32 v[40:41], v[44:45], v[62:63]
	v_fma_f64 v[10:11], -v[44:45], v[64:65], v[10:11]
	v_fmac_f64_e32 v[40:41], v[42:43], v[64:65]
	v_fmac_f64_e32 v[10:11], v[22:23], v[58:59]
	v_fmac_f64_e32 v[40:41], v[24:25], v[58:59]
	v_fma_f64 v[48:49], -v[24:25], v[60:61], v[10:11]
	v_fmac_f64_e32 v[40:41], v[22:23], v[60:61]
	global_load_dwordx4 v[18:21], v[78:79], off offset:112
	global_load_dwordx4 v[22:25], v[78:79], off offset:96
	global_load_dwordx4 v[42:45], v[78:79], off offset:80
	global_load_dwordx4 v[74:77], v[78:79], off offset:64
	s_waitcnt vmcnt(0)
	v_fmac_f64_e32 v[12:13], v[74:75], v[70:71]
	v_fmac_f64_e32 v[38:39], v[76:77], v[70:71]
	v_fma_f64 v[10:11], -v[76:77], v[72:73], v[12:13]
	v_fmac_f64_e32 v[38:39], v[74:75], v[72:73]
	v_fmac_f64_e32 v[10:11], v[42:43], v[66:67]
	v_fmac_f64_e32 v[38:39], v[44:45], v[66:67]
	v_fma_f64 v[10:11], -v[44:45], v[68:69], v[10:11]
	v_fmac_f64_e32 v[38:39], v[42:43], v[68:69]
	v_fmac_f64_e32 v[10:11], v[22:23], v[62:63]
	v_fmac_f64_e32 v[38:39], v[24:25], v[62:63]
	v_fma_f64 v[10:11], -v[24:25], v[64:65], v[10:11]
	v_fmac_f64_e32 v[38:39], v[22:23], v[64:65]
	v_fmac_f64_e32 v[10:11], v[18:19], v[58:59]
	v_fmac_f64_e32 v[38:39], v[20:21], v[58:59]
	v_fma_f64 v[46:47], -v[20:21], v[60:61], v[10:11]
	v_fmac_f64_e32 v[38:39], v[18:19], v[60:61]
	global_load_dwordx4 v[10:13], v[78:79], off offset:176
	global_load_dwordx4 v[18:21], v[78:79], off offset:160
	global_load_dwordx4 v[22:25], v[78:79], off offset:144
	global_load_dwordx4 v[42:45], v[78:79], off offset:128
	;; [unrolled: 21-line block ×3, first 2 shown]
	s_waitcnt vmcnt(0)
	v_fmac_f64_e32 v[16:17], v[74:75], v[70:71]
	v_fmac_f64_e32 v[28:29], v[76:77], v[70:71]
	v_fma_f64 v[14:15], -v[76:77], v[72:73], v[16:17]
	v_fmac_f64_e32 v[28:29], v[74:75], v[72:73]
	v_fmac_f64_e32 v[14:15], v[22:23], v[66:67]
	v_fmac_f64_e32 v[28:29], v[24:25], v[66:67]
	v_fma_f64 v[14:15], -v[24:25], v[68:69], v[14:15]
	v_fmac_f64_e32 v[28:29], v[22:23], v[68:69]
	;; [unrolled: 4-line block ×4, first 2 shown]
	s_andn2_b64 exec, exec, s[14:15]
	s_cbranch_execnz .LBB37_19
; %bb.20:
	s_or_b64 exec, exec, s[14:15]
.LBB37_21:
	s_or_b64 exec, exec, s[10:11]
.LBB37_22:
	s_or_b64 exec, exec, s[6:7]
	s_cbranch_execz .LBB37_24
	s_branch .LBB37_35
.LBB37_23:
                                        ; implicit-def: $vgpr40_vgpr41
                                        ; implicit-def: $vgpr48_vgpr49
                                        ; implicit-def: $vgpr42_vgpr43
                                        ; implicit-def: $vgpr28_vgpr29
                                        ; implicit-def: $vgpr44_vgpr45
                                        ; implicit-def: $vgpr34_vgpr35
                                        ; implicit-def: $vgpr46_vgpr47
                                        ; implicit-def: $vgpr38_vgpr39
.LBB37_24:
	v_mov_b64_e32 v[40:41], 0
	v_mov_b64_e32 v[48:49], 0
	;; [unrolled: 1-line block ×8, first 2 shown]
	s_and_saveexec_b64 s[6:7], s[2:3]
	s_cbranch_execz .LBB37_34
; %bb.25:
	v_or_b32_e32 v1, 16, v0
	v_subrev_co_u32_e32 v10, vcc, s12, v1
	v_not_b32_e32 v13, v51
	s_nop 0
	v_subb_co_u32_e64 v11, s[2:3], 0, 0, vcc
	v_lshl_add_u64 v[10:11], v[10:11], 0, v[50:51]
	v_cmp_gt_i64_e32 vcc, v[10:11], v[32:33]
	v_not_b32_e32 v12, v50
	v_mov_b64_e32 v[38:39], 0
	v_cndmask_b32_e32 v11, v33, v11, vcc
	v_cndmask_b32_e32 v10, v32, v10, vcc
	v_sub_co_u32_e32 v14, vcc, s12, v0
	v_mov_b64_e32 v[46:47], 0
	s_nop 0
	v_subb_co_u32_e64 v15, s[2:3], 0, 0, vcc
	v_lshl_add_u64 v[12:13], v[14:15], 0, v[12:13]
	v_lshl_add_u64 v[50:51], v[12:13], 0, v[10:11]
	v_and_b32_e32 v10, 48, v50
	v_mov_b32_e32 v11, 0
	v_cmp_ne_u64_e32 vcc, 48, v[10:11]
	v_mov_b64_e32 v[34:35], 0
	v_mov_b64_e32 v[44:45], 0
	v_mov_b64_e32 v[28:29], 0
	v_mov_b64_e32 v[42:43], 0
	v_mov_b64_e32 v[48:49], 0
	v_mov_b64_e32 v[40:41], 0
	s_and_saveexec_b64 s[2:3], vcc
	s_cbranch_execz .LBB37_29
; %bb.26:
	v_lshrrev_b32_e32 v1, 4, v50
	v_add_u32_e32 v1, 1, v1
	v_and_b32_e32 v1, 3, v1
	v_sub_co_u32_e32 v54, vcc, 0, v1
	v_lshl_add_u64 v[52:53], v[30:31], 2, s[8:9]
	s_nop 0
	v_subb_co_u32_e64 v55, s[14:15], 0, 0, vcc
	s_mov_b64 s[10:11], 0
	v_mov_b64_e32 v[40:41], 0
	s_mov_b64 s[14:15], 0x1000
	v_mov_b64_e32 v[48:49], 0
	v_mov_b64_e32 v[42:43], 0
	;; [unrolled: 1-line block ×7, first 2 shown]
.LBB37_27:                              ; =>This Inner Loop Header: Depth=1
	global_load_dword v1, v[52:53], off
	global_load_dwordx4 v[10:13], v[36:37], off offset:48
	global_load_dwordx4 v[14:17], v[36:37], off offset:32
	;; [unrolled: 1-line block ×3, first 2 shown]
	global_load_dwordx4 v[22:25], v[36:37], off
	global_load_dwordx4 v[56:59], v[36:37], off offset:112
	global_load_dwordx4 v[60:63], v[36:37], off offset:96
	;; [unrolled: 1-line block ×12, first 2 shown]
	v_lshl_add_u64 v[54:55], v[54:55], 0, 1
	v_cmp_eq_u64_e32 vcc, 0, v[54:55]
	v_lshl_add_u64 v[36:37], v[36:37], 0, s[14:15]
	v_lshl_add_u64 v[30:31], v[30:31], 0, 16
	;; [unrolled: 1-line block ×3, first 2 shown]
	s_or_b64 s[10:11], vcc, s[10:11]
	s_waitcnt vmcnt(16)
	v_subrev_u32_e32 v1, s12, v1
	v_lshlrev_b32_e32 v104, 2, v1
	v_ashrrev_i32_e32 v105, 31, v104
	s_waitcnt lgkmcnt(0)
	v_lshl_add_u64 v[120:121], v[104:105], 4, s[4:5]
	global_load_dwordx4 v[104:107], v[120:121], off
	global_load_dwordx4 v[108:111], v[120:121], off offset:16
	global_load_dwordx4 v[112:115], v[120:121], off offset:32
	;; [unrolled: 1-line block ×3, first 2 shown]
	s_waitcnt vmcnt(3)
	v_fmac_f64_e32 v[48:49], v[22:23], v[104:105]
	v_fmac_f64_e32 v[40:41], v[24:25], v[104:105]
	v_fmac_f64_e32 v[46:47], v[18:19], v[104:105]
	v_fmac_f64_e32 v[38:39], v[20:21], v[104:105]
	v_fmac_f64_e32 v[44:45], v[14:15], v[104:105]
	v_fmac_f64_e32 v[34:35], v[16:17], v[104:105]
	v_fmac_f64_e32 v[42:43], v[10:11], v[104:105]
	v_fmac_f64_e32 v[28:29], v[12:13], v[104:105]
	v_fma_f64 v[24:25], -v[24:25], v[106:107], v[48:49]
	v_fmac_f64_e32 v[40:41], v[22:23], v[106:107]
	v_fma_f64 v[20:21], -v[20:21], v[106:107], v[46:47]
	v_fmac_f64_e32 v[38:39], v[18:19], v[106:107]
	v_fma_f64 v[16:17], -v[16:17], v[106:107], v[44:45]
	v_fmac_f64_e32 v[34:35], v[14:15], v[106:107]
	v_fma_f64 v[12:13], -v[12:13], v[106:107], v[42:43]
	v_fmac_f64_e32 v[28:29], v[10:11], v[106:107]
	s_waitcnt vmcnt(2)
	v_fmac_f64_e32 v[24:25], v[68:69], v[108:109]
	v_fmac_f64_e32 v[40:41], v[70:71], v[108:109]
	v_fmac_f64_e32 v[20:21], v[64:65], v[108:109]
	v_fmac_f64_e32 v[38:39], v[66:67], v[108:109]
	v_fmac_f64_e32 v[16:17], v[60:61], v[108:109]
	v_fmac_f64_e32 v[34:35], v[62:63], v[108:109]
	v_fmac_f64_e32 v[12:13], v[56:57], v[108:109]
	v_fmac_f64_e32 v[28:29], v[58:59], v[108:109]
	v_fma_f64 v[10:11], -v[70:71], v[110:111], v[24:25]
	v_fmac_f64_e32 v[40:41], v[68:69], v[110:111]
	v_fma_f64 v[14:15], -v[66:67], v[110:111], v[20:21]
	v_fmac_f64_e32 v[38:39], v[64:65], v[110:111]
	v_fma_f64 v[16:17], -v[62:63], v[110:111], v[16:17]
	v_fmac_f64_e32 v[34:35], v[60:61], v[110:111]
	v_fma_f64 v[12:13], -v[58:59], v[110:111], v[12:13]
	v_fmac_f64_e32 v[28:29], v[56:57], v[110:111]
	;; [unrolled: 17-line block ×4, first 2 shown]
	s_andn2_b64 exec, exec, s[10:11]
	s_cbranch_execnz .LBB37_27
; %bb.28:
	s_or_b64 exec, exec, s[10:11]
.LBB37_29:
	s_or_b64 exec, exec, s[2:3]
	v_cmp_lt_u64_e32 vcc, 47, v[50:51]
	s_and_saveexec_b64 s[2:3], vcc
	s_cbranch_execz .LBB37_33
; %bb.30:
	v_lshl_add_u64 v[10:11], v[30:31], 2, s[8:9]
	s_mov_b64 s[8:9], 0x80
	v_lshl_add_u64 v[14:15], v[10:11], 0, s[8:9]
	s_mov_b64 s[8:9], 0
	s_mov_b64 s[10:11], 0x1000
	;; [unrolled: 1-line block ×3, first 2 shown]
	s_movk_i32 s13, 0x2000
	s_mov_b64 s[16:17], 0x3000
	s_movk_i32 s22, 0x3000
	s_mov_b64 s[18:19], 0x100
	s_mov_b64 s[20:21], 0x4000
.LBB37_31:                              ; =>This Inner Loop Header: Depth=1
	global_load_dword v1, v[14:15], off offset:-128
	global_load_dwordx4 v[16:19], v[36:37], off offset:48
	global_load_dwordx4 v[20:23], v[36:37], off offset:32
	;; [unrolled: 1-line block ×3, first 2 shown]
	global_load_dwordx4 v[54:57], v[36:37], off
	v_lshl_add_u64 v[30:31], v[30:31], 0, 64
	s_waitcnt vmcnt(4)
	v_subrev_u32_e32 v1, s12, v1
	v_lshlrev_b32_e32 v10, 2, v1
	v_ashrrev_i32_e32 v11, 31, v10
	s_waitcnt lgkmcnt(0)
	v_lshl_add_u64 v[24:25], v[10:11], 4, s[4:5]
	global_load_dwordx4 v[10:13], v[24:25], off offset:48
	global_load_dwordx4 v[58:61], v[24:25], off offset:32
	;; [unrolled: 1-line block ×3, first 2 shown]
	global_load_dwordx4 v[66:69], v[24:25], off
	s_waitcnt vmcnt(0)
	v_fmac_f64_e32 v[48:49], v[54:55], v[66:67]
	v_fmac_f64_e32 v[40:41], v[56:57], v[66:67]
	v_fmac_f64_e32 v[46:47], v[50:51], v[66:67]
	v_fmac_f64_e32 v[38:39], v[52:53], v[66:67]
	v_fmac_f64_e32 v[44:45], v[20:21], v[66:67]
	v_fmac_f64_e32 v[34:35], v[22:23], v[66:67]
	v_fmac_f64_e32 v[42:43], v[16:17], v[66:67]
	v_fmac_f64_e32 v[28:29], v[18:19], v[66:67]
	v_fma_f64 v[24:25], -v[56:57], v[68:69], v[48:49]
	v_fmac_f64_e32 v[40:41], v[54:55], v[68:69]
	v_fma_f64 v[54:55], -v[52:53], v[68:69], v[46:47]
	v_fmac_f64_e32 v[38:39], v[50:51], v[68:69]
	v_fma_f64 v[50:51], -v[22:23], v[68:69], v[44:45]
	v_fmac_f64_e32 v[34:35], v[20:21], v[68:69]
	v_fma_f64 v[52:53], -v[18:19], v[68:69], v[42:43]
	v_fmac_f64_e32 v[28:29], v[16:17], v[68:69]
	global_load_dwordx4 v[16:19], v[36:37], off offset:112
	global_load_dwordx4 v[20:23], v[36:37], off offset:96
	;; [unrolled: 1-line block ×4, first 2 shown]
	s_waitcnt vmcnt(3)
	v_fmac_f64_e32 v[52:53], v[16:17], v[62:63]
	s_waitcnt vmcnt(2)
	v_fmac_f64_e32 v[50:51], v[20:21], v[62:63]
	;; [unrolled: 2-line block ×4, first 2 shown]
	v_fmac_f64_e32 v[40:41], v[48:49], v[62:63]
	v_fmac_f64_e32 v[38:39], v[44:45], v[62:63]
	;; [unrolled: 1-line block ×4, first 2 shown]
	v_fma_f64 v[24:25], -v[48:49], v[64:65], v[24:25]
	v_fmac_f64_e32 v[40:41], v[46:47], v[64:65]
	v_fma_f64 v[54:55], -v[44:45], v[64:65], v[54:55]
	v_fmac_f64_e32 v[38:39], v[42:43], v[64:65]
	;; [unrolled: 2-line block ×4, first 2 shown]
	global_load_dwordx4 v[16:19], v[36:37], off offset:176
	global_load_dwordx4 v[20:23], v[36:37], off offset:160
	;; [unrolled: 1-line block ×4, first 2 shown]
	s_waitcnt vmcnt(3)
	v_fmac_f64_e32 v[52:53], v[16:17], v[58:59]
	s_waitcnt vmcnt(2)
	v_fmac_f64_e32 v[50:51], v[20:21], v[58:59]
	;; [unrolled: 2-line block ×4, first 2 shown]
	v_fmac_f64_e32 v[40:41], v[48:49], v[58:59]
	v_fmac_f64_e32 v[38:39], v[44:45], v[58:59]
	;; [unrolled: 1-line block ×4, first 2 shown]
	v_fma_f64 v[24:25], -v[48:49], v[60:61], v[24:25]
	v_fmac_f64_e32 v[40:41], v[46:47], v[60:61]
	v_fma_f64 v[54:55], -v[44:45], v[60:61], v[54:55]
	v_fmac_f64_e32 v[38:39], v[42:43], v[60:61]
	;; [unrolled: 2-line block ×4, first 2 shown]
	global_load_dwordx4 v[16:19], v[36:37], off offset:240
	global_load_dwordx4 v[20:23], v[36:37], off offset:224
	;; [unrolled: 1-line block ×4, first 2 shown]
	global_load_dword v1, v[14:15], off offset:-64
	s_waitcnt vmcnt(4)
	v_fmac_f64_e32 v[52:53], v[16:17], v[10:11]
	s_waitcnt vmcnt(3)
	v_fmac_f64_e32 v[50:51], v[20:21], v[10:11]
	v_fma_f64 v[68:69], -v[22:23], v[12:13], v[50:51]
	s_waitcnt vmcnt(1)
	v_fmac_f64_e32 v[24:25], v[46:47], v[10:11]
	s_waitcnt vmcnt(0)
	v_subrev_u32_e32 v1, s12, v1
	v_lshlrev_b32_e32 v50, 2, v1
	v_fmac_f64_e32 v[40:41], v[48:49], v[10:11]
	v_fmac_f64_e32 v[54:55], v[42:43], v[10:11]
	v_fmac_f64_e32 v[38:39], v[44:45], v[10:11]
	v_fmac_f64_e32 v[34:35], v[22:23], v[10:11]
	v_fmac_f64_e32 v[28:29], v[18:19], v[10:11]
	v_add_co_u32_e32 v10, vcc, s13, v36
	v_ashrrev_i32_e32 v51, 31, v50
	s_nop 0
	v_addc_co_u32_e32 v11, vcc, 0, v37, vcc
	v_lshl_add_u64 v[72:73], v[50:51], 4, s[4:5]
	v_fma_f64 v[24:25], -v[48:49], v[12:13], v[24:25]
	v_fmac_f64_e32 v[40:41], v[46:47], v[12:13]
	v_fma_f64 v[66:67], -v[44:45], v[12:13], v[54:55]
	v_fmac_f64_e32 v[38:39], v[42:43], v[12:13]
	v_fmac_f64_e32 v[34:35], v[20:21], v[12:13]
	v_fma_f64 v[70:71], -v[18:19], v[12:13], v[52:53]
	v_fmac_f64_e32 v[28:29], v[16:17], v[12:13]
	v_lshl_add_u64 v[12:13], v[36:37], 0, s[10:11]
	global_load_dwordx4 v[16:19], v[10:11], off offset:-4096
	global_load_dwordx4 v[20:23], v[12:13], off offset:48
	global_load_dwordx4 v[42:45], v[12:13], off offset:32
	;; [unrolled: 1-line block ×6, first 2 shown]
	global_load_dwordx4 v[62:65], v[72:73], off
	s_waitcnt vmcnt(0)
	v_fmac_f64_e32 v[24:25], v[16:17], v[62:63]
	v_fmac_f64_e32 v[40:41], v[18:19], v[62:63]
	;; [unrolled: 1-line block ×8, first 2 shown]
	v_fma_f64 v[24:25], -v[18:19], v[64:65], v[24:25]
	v_fmac_f64_e32 v[40:41], v[16:17], v[64:65]
	v_fma_f64 v[66:67], -v[48:49], v[64:65], v[66:67]
	v_fmac_f64_e32 v[38:39], v[46:47], v[64:65]
	;; [unrolled: 2-line block ×4, first 2 shown]
	global_load_dwordx4 v[16:19], v[12:13], off offset:112
	global_load_dwordx4 v[20:23], v[12:13], off offset:96
	;; [unrolled: 1-line block ×4, first 2 shown]
	s_waitcnt vmcnt(3)
	v_fmac_f64_e32 v[70:71], v[16:17], v[58:59]
	s_waitcnt vmcnt(2)
	v_fmac_f64_e32 v[68:69], v[20:21], v[58:59]
	;; [unrolled: 2-line block ×4, first 2 shown]
	v_fmac_f64_e32 v[40:41], v[48:49], v[58:59]
	v_fmac_f64_e32 v[38:39], v[44:45], v[58:59]
	;; [unrolled: 1-line block ×4, first 2 shown]
	v_fma_f64 v[24:25], -v[48:49], v[60:61], v[24:25]
	v_fmac_f64_e32 v[40:41], v[46:47], v[60:61]
	v_fma_f64 v[62:63], -v[44:45], v[60:61], v[66:67]
	v_fmac_f64_e32 v[38:39], v[42:43], v[60:61]
	;; [unrolled: 2-line block ×4, first 2 shown]
	global_load_dwordx4 v[16:19], v[12:13], off offset:176
	global_load_dwordx4 v[20:23], v[12:13], off offset:160
	global_load_dwordx4 v[42:45], v[12:13], off offset:144
	global_load_dwordx4 v[46:49], v[12:13], off offset:128
	v_lshl_add_u64 v[70:71], v[36:37], 0, s[14:15]
	s_waitcnt vmcnt(3)
	v_fmac_f64_e32 v[66:67], v[16:17], v[54:55]
	s_waitcnt vmcnt(2)
	v_fmac_f64_e32 v[64:65], v[20:21], v[54:55]
	;; [unrolled: 2-line block ×4, first 2 shown]
	v_fmac_f64_e32 v[40:41], v[48:49], v[54:55]
	v_fmac_f64_e32 v[38:39], v[44:45], v[54:55]
	;; [unrolled: 1-line block ×3, first 2 shown]
	v_fma_f64 v[58:59], -v[48:49], v[56:57], v[24:25]
	v_fmac_f64_e32 v[40:41], v[46:47], v[56:57]
	v_fma_f64 v[60:61], -v[44:45], v[56:57], v[62:63]
	v_fmac_f64_e32 v[38:39], v[42:43], v[56:57]
	;; [unrolled: 2-line block ×4, first 2 shown]
	global_load_dwordx4 v[22:25], v[12:13], off offset:240
	global_load_dwordx4 v[42:45], v[12:13], off offset:224
	;; [unrolled: 1-line block ×4, first 2 shown]
	global_load_dword v1, v[14:15], off
	v_fmac_f64_e32 v[28:29], v[16:17], v[56:57]
	s_waitcnt vmcnt(4)
	v_fmac_f64_e32 v[28:29], v[24:25], v[50:51]
	v_fmac_f64_e32 v[64:65], v[22:23], v[50:51]
	;; [unrolled: 1-line block ×3, first 2 shown]
	s_waitcnt vmcnt(1)
	v_fmac_f64_e32 v[58:59], v[46:47], v[50:51]
	s_waitcnt vmcnt(0)
	v_subrev_u32_e32 v1, s12, v1
	v_lshlrev_b32_e32 v22, 2, v1
	v_fmac_f64_e32 v[40:41], v[48:49], v[50:51]
	v_fmac_f64_e32 v[60:61], v[18:19], v[50:51]
	;; [unrolled: 1-line block ×5, first 2 shown]
	v_ashrrev_i32_e32 v23, 31, v22
	v_fma_f64 v[12:13], -v[48:49], v[52:53], v[58:59]
	v_fmac_f64_e32 v[40:41], v[46:47], v[52:53]
	v_fma_f64 v[16:17], -v[20:21], v[52:53], v[60:61]
	v_fmac_f64_e32 v[38:39], v[18:19], v[52:53]
	;; [unrolled: 2-line block ×3, first 2 shown]
	v_fma_f64 v[20:21], -v[24:25], v[52:53], v[64:65]
	global_load_dwordx4 v[42:45], v[10:11], off
	global_load_dwordx4 v[46:49], v[70:71], off offset:48
	global_load_dwordx4 v[50:53], v[70:71], off offset:32
	;; [unrolled: 1-line block ×3, first 2 shown]
	v_lshl_add_u64 v[10:11], v[22:23], 4, s[4:5]
	global_load_dwordx4 v[22:25], v[10:11], off offset:48
	global_load_dwordx4 v[58:61], v[10:11], off offset:32
	global_load_dwordx4 v[62:65], v[10:11], off offset:16
	global_load_dwordx4 v[66:69], v[10:11], off
	s_waitcnt vmcnt(0)
	v_fmac_f64_e32 v[12:13], v[42:43], v[66:67]
	v_fmac_f64_e32 v[40:41], v[44:45], v[66:67]
	;; [unrolled: 1-line block ×7, first 2 shown]
	v_fma_f64 v[72:73], -v[44:45], v[68:69], v[12:13]
	v_fmac_f64_e32 v[40:41], v[42:43], v[68:69]
	v_fma_f64 v[74:75], -v[56:57], v[68:69], v[16:17]
	v_fmac_f64_e32 v[38:39], v[54:55], v[68:69]
	v_fma_f64 v[54:55], -v[52:53], v[68:69], v[18:19]
	v_fma_f64 v[20:21], -v[48:49], v[68:69], v[20:21]
	v_fmac_f64_e32 v[28:29], v[46:47], v[68:69]
	global_load_dwordx4 v[10:13], v[70:71], off offset:112
	global_load_dwordx4 v[16:19], v[70:71], off offset:96
	;; [unrolled: 1-line block ×4, first 2 shown]
	v_fmac_f64_e32 v[34:35], v[52:53], v[66:67]
	v_fmac_f64_e32 v[34:35], v[50:51], v[68:69]
	s_waitcnt vmcnt(3)
	v_fmac_f64_e32 v[20:21], v[10:11], v[62:63]
	s_waitcnt vmcnt(2)
	;; [unrolled: 2-line block ×4, first 2 shown]
	v_fmac_f64_e32 v[72:73], v[46:47], v[62:63]
	v_fmac_f64_e32 v[40:41], v[48:49], v[62:63]
	;; [unrolled: 1-line block ×5, first 2 shown]
	v_fma_f64 v[50:51], -v[48:49], v[64:65], v[72:73]
	v_fmac_f64_e32 v[40:41], v[46:47], v[64:65]
	v_fma_f64 v[52:53], -v[44:45], v[64:65], v[74:75]
	v_fmac_f64_e32 v[38:39], v[42:43], v[64:65]
	;; [unrolled: 2-line block ×4, first 2 shown]
	global_load_dwordx4 v[10:13], v[70:71], off offset:176
	global_load_dwordx4 v[16:19], v[70:71], off offset:160
	;; [unrolled: 1-line block ×4, first 2 shown]
	s_waitcnt vmcnt(3)
	v_fmac_f64_e32 v[20:21], v[10:11], v[58:59]
	s_waitcnt vmcnt(2)
	v_fmac_f64_e32 v[54:55], v[16:17], v[58:59]
	;; [unrolled: 2-line block ×4, first 2 shown]
	v_fmac_f64_e32 v[40:41], v[48:49], v[58:59]
	v_fmac_f64_e32 v[38:39], v[44:45], v[58:59]
	v_fma_f64 v[56:57], -v[48:49], v[60:61], v[50:51]
	v_fmac_f64_e32 v[40:41], v[46:47], v[60:61]
	v_fma_f64 v[62:63], -v[44:45], v[60:61], v[52:53]
	;; [unrolled: 2-line block ×4, first 2 shown]
	global_load_dwordx4 v[42:45], v[70:71], off offset:240
	global_load_dwordx4 v[18:21], v[70:71], off offset:224
	;; [unrolled: 1-line block ×4, first 2 shown]
	global_load_dword v1, v[14:15], off offset:64
	v_fmac_f64_e32 v[28:29], v[12:13], v[58:59]
	v_fmac_f64_e32 v[34:35], v[16:17], v[60:61]
	;; [unrolled: 1-line block ×3, first 2 shown]
	v_lshl_add_u64 v[70:71], v[36:37], 0, s[16:17]
	v_lshl_add_u64 v[14:15], v[14:15], 0, s[18:19]
	s_waitcnt vmcnt(4)
	v_fmac_f64_e32 v[64:65], v[42:43], v[22:23]
	s_waitcnt vmcnt(3)
	v_fmac_f64_e32 v[54:55], v[18:19], v[22:23]
	;; [unrolled: 2-line block ×4, first 2 shown]
	v_fmac_f64_e32 v[40:41], v[52:53], v[22:23]
	v_fmac_f64_e32 v[38:39], v[48:49], v[22:23]
	v_fmac_f64_e32 v[34:35], v[20:21], v[22:23]
	v_fmac_f64_e32 v[28:29], v[44:45], v[22:23]
	s_waitcnt vmcnt(0)
	v_subrev_u32_e32 v1, s12, v1
	v_fma_f64 v[10:11], -v[52:53], v[24:25], v[56:57]
	v_fmac_f64_e32 v[40:41], v[50:51], v[24:25]
	v_fma_f64 v[12:13], -v[48:49], v[24:25], v[62:63]
	v_fmac_f64_e32 v[38:39], v[46:47], v[24:25]
	;; [unrolled: 2-line block ×4, first 2 shown]
	v_lshlrev_b32_e32 v24, 2, v1
	v_add_co_u32_e32 v54, vcc, s22, v36
	v_ashrrev_i32_e32 v25, 31, v24
	s_nop 0
	v_addc_co_u32_e32 v55, vcc, 0, v37, vcc
	v_lshl_add_u64 v[24:25], v[24:25], 4, s[4:5]
	global_load_dwordx4 v[20:23], v[54:55], off
	global_load_dwordx4 v[42:45], v[70:71], off offset:48
	global_load_dwordx4 v[46:49], v[70:71], off offset:32
	global_load_dwordx4 v[50:53], v[70:71], off offset:16
	s_nop 0
	global_load_dwordx4 v[54:57], v[24:25], off offset:48
	global_load_dwordx4 v[58:61], v[24:25], off offset:32
	;; [unrolled: 1-line block ×3, first 2 shown]
	global_load_dwordx4 v[66:69], v[24:25], off
	v_cmp_ge_i64_e32 vcc, v[30:31], v[32:33]
	v_lshl_add_u64 v[36:37], v[36:37], 0, s[20:21]
	s_or_b64 s[8:9], vcc, s[8:9]
	s_waitcnt vmcnt(0)
	v_fmac_f64_e32 v[10:11], v[20:21], v[66:67]
	v_fmac_f64_e32 v[40:41], v[22:23], v[66:67]
	;; [unrolled: 1-line block ×8, first 2 shown]
	v_fma_f64 v[24:25], -v[22:23], v[68:69], v[10:11]
	v_fmac_f64_e32 v[40:41], v[20:21], v[68:69]
	v_fma_f64 v[72:73], -v[52:53], v[68:69], v[12:13]
	v_fmac_f64_e32 v[38:39], v[50:51], v[68:69]
	v_fma_f64 v[50:51], -v[48:49], v[68:69], v[16:17]
	v_fmac_f64_e32 v[34:35], v[46:47], v[68:69]
	v_fma_f64 v[46:47], -v[44:45], v[68:69], v[18:19]
	v_fmac_f64_e32 v[28:29], v[42:43], v[68:69]
	global_load_dwordx4 v[10:13], v[70:71], off offset:112
	global_load_dwordx4 v[16:19], v[70:71], off offset:96
	global_load_dwordx4 v[20:23], v[70:71], off offset:80
	global_load_dwordx4 v[42:45], v[70:71], off offset:64
	s_waitcnt vmcnt(3)
	v_fmac_f64_e32 v[46:47], v[10:11], v[62:63]
	s_waitcnt vmcnt(2)
	v_fmac_f64_e32 v[50:51], v[16:17], v[62:63]
	s_waitcnt vmcnt(1)
	v_fmac_f64_e32 v[72:73], v[20:21], v[62:63]
	s_waitcnt vmcnt(0)
	v_fmac_f64_e32 v[24:25], v[42:43], v[62:63]
	v_fmac_f64_e32 v[40:41], v[44:45], v[62:63]
	v_fmac_f64_e32 v[38:39], v[22:23], v[62:63]
	v_fmac_f64_e32 v[34:35], v[18:19], v[62:63]
	v_fmac_f64_e32 v[28:29], v[12:13], v[62:63]
	v_fma_f64 v[24:25], -v[44:45], v[64:65], v[24:25]
	v_fmac_f64_e32 v[40:41], v[42:43], v[64:65]
	v_fma_f64 v[48:49], -v[22:23], v[64:65], v[72:73]
	v_fmac_f64_e32 v[38:39], v[20:21], v[64:65]
	v_fma_f64 v[50:51], -v[18:19], v[64:65], v[50:51]
	v_fmac_f64_e32 v[34:35], v[16:17], v[64:65]
	v_fma_f64 v[46:47], -v[12:13], v[64:65], v[46:47]
	v_fmac_f64_e32 v[28:29], v[10:11], v[64:65]
	global_load_dwordx4 v[10:13], v[70:71], off offset:176
	global_load_dwordx4 v[16:19], v[70:71], off offset:160
	global_load_dwordx4 v[20:23], v[70:71], off offset:144
	global_load_dwordx4 v[42:45], v[70:71], off offset:128
	s_waitcnt vmcnt(3)
	v_fmac_f64_e32 v[46:47], v[10:11], v[58:59]
	s_waitcnt vmcnt(2)
	v_fmac_f64_e32 v[50:51], v[16:17], v[58:59]
	s_waitcnt vmcnt(1)
	v_fmac_f64_e32 v[48:49], v[20:21], v[58:59]
	s_waitcnt vmcnt(0)
	v_fmac_f64_e32 v[24:25], v[42:43], v[58:59]
	v_fmac_f64_e32 v[40:41], v[44:45], v[58:59]
	v_fmac_f64_e32 v[38:39], v[22:23], v[58:59]
	v_fmac_f64_e32 v[34:35], v[18:19], v[58:59]
	v_fmac_f64_e32 v[28:29], v[12:13], v[58:59]
	;; [unrolled: 24-line block ×3, first 2 shown]
	v_fma_f64 v[48:49], -v[44:45], v[56:57], v[24:25]
	v_fmac_f64_e32 v[40:41], v[42:43], v[56:57]
	v_fma_f64 v[46:47], -v[22:23], v[56:57], v[52:53]
	v_fmac_f64_e32 v[38:39], v[20:21], v[56:57]
	;; [unrolled: 2-line block ×4, first 2 shown]
	s_andn2_b64 exec, exec, s[8:9]
	s_cbranch_execnz .LBB37_31
; %bb.32:
	s_or_b64 exec, exec, s[8:9]
.LBB37_33:
	s_or_b64 exec, exec, s[2:3]
.LBB37_34:
	s_or_b64 exec, exec, s[6:7]
.LBB37_35:
	v_mov_b32_dpp v22, v38 row_shr:1 row_mask:0xf bank_mask:0xf
	v_mov_b32_dpp v23, v39 row_shr:1 row_mask:0xf bank_mask:0xf
	v_add_f64 v[22:23], v[38:39], v[22:23]
	v_mov_b32_dpp v38, v42 row_shr:1 row_mask:0xf bank_mask:0xf
	v_mov_b32_dpp v39, v43 row_shr:1 row_mask:0xf bank_mask:0xf
	;; [unrolled: 1-line block ×12, first 2 shown]
	v_add_f64 v[38:39], v[42:43], v[38:39]
	v_mov_b32_dpp v42, v28 row_shr:1 row_mask:0xf bank_mask:0xf
	v_mov_b32_dpp v43, v29 row_shr:1 row_mask:0xf bank_mask:0xf
	v_add_f64 v[10:11], v[48:49], v[10:11]
	v_add_f64 v[14:15], v[40:41], v[14:15]
	;; [unrolled: 1-line block ×6, first 2 shown]
	v_mov_b32_dpp v12, v10 row_shr:2 row_mask:0xf bank_mask:0xf
	v_mov_b32_dpp v13, v11 row_shr:2 row_mask:0xf bank_mask:0xf
	;; [unrolled: 1-line block ×16, first 2 shown]
	v_add_f64 v[10:11], v[10:11], v[12:13]
	v_add_f64 v[14:15], v[14:15], v[16:17]
	;; [unrolled: 1-line block ×8, first 2 shown]
	v_mov_b32_dpp v12, v10 row_shr:4 row_mask:0xf bank_mask:0xe
	v_mov_b32_dpp v13, v11 row_shr:4 row_mask:0xf bank_mask:0xe
	;; [unrolled: 1-line block ×16, first 2 shown]
	v_add_f64 v[10:11], v[10:11], v[12:13]
	v_add_f64 v[14:15], v[14:15], v[16:17]
	;; [unrolled: 1-line block ×8, first 2 shown]
	v_mov_b32_dpp v12, v10 row_shr:8 row_mask:0xf bank_mask:0xc
	v_mov_b32_dpp v13, v11 row_shr:8 row_mask:0xf bank_mask:0xc
	;; [unrolled: 1-line block ×16, first 2 shown]
	v_cmp_eq_u32_e32 vcc, 15, v0
	s_and_b64 exec, exec, vcc
	s_cbranch_execz .LBB37_8
; %bb.36:
	s_load_dwordx2 s[2:3], s[0:1], 0x60
	v_add_f64 v[0:1], v[10:11], v[12:13]
	v_add_f64 v[10:11], v[14:15], v[16:17]
	;; [unrolled: 1-line block ×8, first 2 shown]
	v_cmp_eq_f64_e32 vcc, 0, v[2:3]
	v_cmp_eq_f64_e64 s[0:1], 0, v[4:5]
	v_mul_f64 v[22:23], v[10:11], -v[8:9]
	v_mul_f64 v[24:25], v[6:7], v[10:11]
	v_mul_f64 v[18:19], v[12:13], -v[8:9]
	v_mul_f64 v[20:21], v[6:7], v[12:13]
	;; [unrolled: 2-line block ×4, first 2 shown]
	s_and_b64 s[0:1], vcc, s[0:1]
	v_fmac_f64_e32 v[22:23], v[6:7], v[0:1]
	v_fmac_f64_e32 v[24:25], v[8:9], v[0:1]
	v_lshlrev_b32_e32 v0, 2, v26
	v_fmac_f64_e32 v[18:19], v[6:7], v[44:45]
	v_fmac_f64_e32 v[20:21], v[8:9], v[44:45]
	;; [unrolled: 1-line block ×6, first 2 shown]
	s_waitcnt lgkmcnt(0)
	s_and_saveexec_b64 s[4:5], s[0:1]
	s_xor_b64 s[0:1], exec, s[4:5]
	s_cbranch_execz .LBB37_38
; %bb.37:
	v_ashrrev_i32_e32 v1, 31, v0
	v_lshl_add_u64 v[0:1], v[0:1], 4, s[2:3]
	global_store_dwordx4 v[0:1], v[22:25], off
	global_store_dwordx4 v[0:1], v[18:21], off offset:16
	global_store_dwordx4 v[0:1], v[14:17], off offset:32
	;; [unrolled: 1-line block ×3, first 2 shown]
                                        ; implicit-def: $vgpr4_vgpr5
                                        ; implicit-def: $vgpr22_vgpr23
                                        ; implicit-def: $vgpr0
                                        ; implicit-def: $vgpr18_vgpr19
                                        ; implicit-def: $vgpr14_vgpr15
                                        ; implicit-def: $vgpr10_vgpr11
.LBB37_38:
	s_andn2_saveexec_b64 s[0:1], s[0:1]
	s_cbranch_execz .LBB37_8
; %bb.39:
	v_ashrrev_i32_e32 v1, 31, v0
	v_lshl_add_u64 v[0:1], v[0:1], 4, s[2:3]
	global_load_dwordx4 v[6:9], v[0:1], off
	global_load_dwordx4 v[26:29], v[0:1], off offset:16
	global_load_dwordx4 v[30:33], v[0:1], off offset:32
	;; [unrolled: 1-line block ×3, first 2 shown]
	s_waitcnt vmcnt(3)
	v_fmac_f64_e32 v[22:23], v[2:3], v[6:7]
	v_fmac_f64_e32 v[24:25], v[4:5], v[6:7]
	s_waitcnt vmcnt(2)
	v_fmac_f64_e32 v[18:19], v[2:3], v[26:27]
	v_fmac_f64_e32 v[20:21], v[4:5], v[26:27]
	;; [unrolled: 3-line block ×4, first 2 shown]
	v_fma_f64 v[22:23], -v[4:5], v[8:9], v[22:23]
	v_fmac_f64_e32 v[24:25], v[2:3], v[8:9]
	v_fma_f64 v[18:19], -v[4:5], v[28:29], v[18:19]
	v_fmac_f64_e32 v[20:21], v[2:3], v[28:29]
	;; [unrolled: 2-line block ×4, first 2 shown]
	global_store_dwordx4 v[0:1], v[22:25], off
	global_store_dwordx4 v[0:1], v[18:21], off offset:16
	global_store_dwordx4 v[0:1], v[14:17], off offset:32
	;; [unrolled: 1-line block ×3, first 2 shown]
	s_endpgm
	.section	.rodata,"a",@progbits
	.p2align	6, 0x0
	.amdhsa_kernel _ZN9rocsparseL18bsrxmvn_4x4_kernelILj128ELj16E21rocsparse_complex_numIdEliS2_S2_S2_EEvT3_20rocsparse_direction_NS_24const_host_device_scalarIT1_EES3_PKS3_PKT2_SC_S9_PKT4_PKT5_S7_PT6_21rocsparse_index_base_b
		.amdhsa_group_segment_fixed_size 0
		.amdhsa_private_segment_fixed_size 0
		.amdhsa_kernarg_size 112
		.amdhsa_user_sgpr_count 2
		.amdhsa_user_sgpr_dispatch_ptr 0
		.amdhsa_user_sgpr_queue_ptr 0
		.amdhsa_user_sgpr_kernarg_segment_ptr 1
		.amdhsa_user_sgpr_dispatch_id 0
		.amdhsa_user_sgpr_kernarg_preload_length 0
		.amdhsa_user_sgpr_kernarg_preload_offset 0
		.amdhsa_user_sgpr_private_segment_size 0
		.amdhsa_uses_dynamic_stack 0
		.amdhsa_enable_private_segment 0
		.amdhsa_system_sgpr_workgroup_id_x 1
		.amdhsa_system_sgpr_workgroup_id_y 0
		.amdhsa_system_sgpr_workgroup_id_z 0
		.amdhsa_system_sgpr_workgroup_info 0
		.amdhsa_system_vgpr_workitem_id 0
		.amdhsa_next_free_vgpr 128
		.amdhsa_next_free_sgpr 27
		.amdhsa_accum_offset 128
		.amdhsa_reserve_vcc 1
		.amdhsa_float_round_mode_32 0
		.amdhsa_float_round_mode_16_64 0
		.amdhsa_float_denorm_mode_32 3
		.amdhsa_float_denorm_mode_16_64 3
		.amdhsa_dx10_clamp 1
		.amdhsa_ieee_mode 1
		.amdhsa_fp16_overflow 0
		.amdhsa_tg_split 0
		.amdhsa_exception_fp_ieee_invalid_op 0
		.amdhsa_exception_fp_denorm_src 0
		.amdhsa_exception_fp_ieee_div_zero 0
		.amdhsa_exception_fp_ieee_overflow 0
		.amdhsa_exception_fp_ieee_underflow 0
		.amdhsa_exception_fp_ieee_inexact 0
		.amdhsa_exception_int_div_zero 0
	.end_amdhsa_kernel
	.section	.text._ZN9rocsparseL18bsrxmvn_4x4_kernelILj128ELj16E21rocsparse_complex_numIdEliS2_S2_S2_EEvT3_20rocsparse_direction_NS_24const_host_device_scalarIT1_EES3_PKS3_PKT2_SC_S9_PKT4_PKT5_S7_PT6_21rocsparse_index_base_b,"axG",@progbits,_ZN9rocsparseL18bsrxmvn_4x4_kernelILj128ELj16E21rocsparse_complex_numIdEliS2_S2_S2_EEvT3_20rocsparse_direction_NS_24const_host_device_scalarIT1_EES3_PKS3_PKT2_SC_S9_PKT4_PKT5_S7_PT6_21rocsparse_index_base_b,comdat
.Lfunc_end37:
	.size	_ZN9rocsparseL18bsrxmvn_4x4_kernelILj128ELj16E21rocsparse_complex_numIdEliS2_S2_S2_EEvT3_20rocsparse_direction_NS_24const_host_device_scalarIT1_EES3_PKS3_PKT2_SC_S9_PKT4_PKT5_S7_PT6_21rocsparse_index_base_b, .Lfunc_end37-_ZN9rocsparseL18bsrxmvn_4x4_kernelILj128ELj16E21rocsparse_complex_numIdEliS2_S2_S2_EEvT3_20rocsparse_direction_NS_24const_host_device_scalarIT1_EES3_PKS3_PKT2_SC_S9_PKT4_PKT5_S7_PT6_21rocsparse_index_base_b
                                        ; -- End function
	.set _ZN9rocsparseL18bsrxmvn_4x4_kernelILj128ELj16E21rocsparse_complex_numIdEliS2_S2_S2_EEvT3_20rocsparse_direction_NS_24const_host_device_scalarIT1_EES3_PKS3_PKT2_SC_S9_PKT4_PKT5_S7_PT6_21rocsparse_index_base_b.num_vgpr, 128
	.set _ZN9rocsparseL18bsrxmvn_4x4_kernelILj128ELj16E21rocsparse_complex_numIdEliS2_S2_S2_EEvT3_20rocsparse_direction_NS_24const_host_device_scalarIT1_EES3_PKS3_PKT2_SC_S9_PKT4_PKT5_S7_PT6_21rocsparse_index_base_b.num_agpr, 0
	.set _ZN9rocsparseL18bsrxmvn_4x4_kernelILj128ELj16E21rocsparse_complex_numIdEliS2_S2_S2_EEvT3_20rocsparse_direction_NS_24const_host_device_scalarIT1_EES3_PKS3_PKT2_SC_S9_PKT4_PKT5_S7_PT6_21rocsparse_index_base_b.numbered_sgpr, 27
	.set _ZN9rocsparseL18bsrxmvn_4x4_kernelILj128ELj16E21rocsparse_complex_numIdEliS2_S2_S2_EEvT3_20rocsparse_direction_NS_24const_host_device_scalarIT1_EES3_PKS3_PKT2_SC_S9_PKT4_PKT5_S7_PT6_21rocsparse_index_base_b.num_named_barrier, 0
	.set _ZN9rocsparseL18bsrxmvn_4x4_kernelILj128ELj16E21rocsparse_complex_numIdEliS2_S2_S2_EEvT3_20rocsparse_direction_NS_24const_host_device_scalarIT1_EES3_PKS3_PKT2_SC_S9_PKT4_PKT5_S7_PT6_21rocsparse_index_base_b.private_seg_size, 0
	.set _ZN9rocsparseL18bsrxmvn_4x4_kernelILj128ELj16E21rocsparse_complex_numIdEliS2_S2_S2_EEvT3_20rocsparse_direction_NS_24const_host_device_scalarIT1_EES3_PKS3_PKT2_SC_S9_PKT4_PKT5_S7_PT6_21rocsparse_index_base_b.uses_vcc, 1
	.set _ZN9rocsparseL18bsrxmvn_4x4_kernelILj128ELj16E21rocsparse_complex_numIdEliS2_S2_S2_EEvT3_20rocsparse_direction_NS_24const_host_device_scalarIT1_EES3_PKS3_PKT2_SC_S9_PKT4_PKT5_S7_PT6_21rocsparse_index_base_b.uses_flat_scratch, 0
	.set _ZN9rocsparseL18bsrxmvn_4x4_kernelILj128ELj16E21rocsparse_complex_numIdEliS2_S2_S2_EEvT3_20rocsparse_direction_NS_24const_host_device_scalarIT1_EES3_PKS3_PKT2_SC_S9_PKT4_PKT5_S7_PT6_21rocsparse_index_base_b.has_dyn_sized_stack, 0
	.set _ZN9rocsparseL18bsrxmvn_4x4_kernelILj128ELj16E21rocsparse_complex_numIdEliS2_S2_S2_EEvT3_20rocsparse_direction_NS_24const_host_device_scalarIT1_EES3_PKS3_PKT2_SC_S9_PKT4_PKT5_S7_PT6_21rocsparse_index_base_b.has_recursion, 0
	.set _ZN9rocsparseL18bsrxmvn_4x4_kernelILj128ELj16E21rocsparse_complex_numIdEliS2_S2_S2_EEvT3_20rocsparse_direction_NS_24const_host_device_scalarIT1_EES3_PKS3_PKT2_SC_S9_PKT4_PKT5_S7_PT6_21rocsparse_index_base_b.has_indirect_call, 0
	.section	.AMDGPU.csdata,"",@progbits
; Kernel info:
; codeLenInByte = 8080
; TotalNumSgprs: 33
; NumVgprs: 128
; NumAgprs: 0
; TotalNumVgprs: 128
; ScratchSize: 0
; MemoryBound: 1
; FloatMode: 240
; IeeeMode: 1
; LDSByteSize: 0 bytes/workgroup (compile time only)
; SGPRBlocks: 4
; VGPRBlocks: 15
; NumSGPRsForWavesPerEU: 33
; NumVGPRsForWavesPerEU: 128
; AccumOffset: 128
; Occupancy: 4
; WaveLimiterHint : 1
; COMPUTE_PGM_RSRC2:SCRATCH_EN: 0
; COMPUTE_PGM_RSRC2:USER_SGPR: 2
; COMPUTE_PGM_RSRC2:TRAP_HANDLER: 0
; COMPUTE_PGM_RSRC2:TGID_X_EN: 1
; COMPUTE_PGM_RSRC2:TGID_Y_EN: 0
; COMPUTE_PGM_RSRC2:TGID_Z_EN: 0
; COMPUTE_PGM_RSRC2:TIDIG_COMP_CNT: 0
; COMPUTE_PGM_RSRC3_GFX90A:ACCUM_OFFSET: 31
; COMPUTE_PGM_RSRC3_GFX90A:TG_SPLIT: 0
	.section	.text._ZN9rocsparseL18bsrxmvn_4x4_kernelILj128ELj32E21rocsparse_complex_numIdEliS2_S2_S2_EEvT3_20rocsparse_direction_NS_24const_host_device_scalarIT1_EES3_PKS3_PKT2_SC_S9_PKT4_PKT5_S7_PT6_21rocsparse_index_base_b,"axG",@progbits,_ZN9rocsparseL18bsrxmvn_4x4_kernelILj128ELj32E21rocsparse_complex_numIdEliS2_S2_S2_EEvT3_20rocsparse_direction_NS_24const_host_device_scalarIT1_EES3_PKS3_PKT2_SC_S9_PKT4_PKT5_S7_PT6_21rocsparse_index_base_b,comdat
	.globl	_ZN9rocsparseL18bsrxmvn_4x4_kernelILj128ELj32E21rocsparse_complex_numIdEliS2_S2_S2_EEvT3_20rocsparse_direction_NS_24const_host_device_scalarIT1_EES3_PKS3_PKT2_SC_S9_PKT4_PKT5_S7_PT6_21rocsparse_index_base_b ; -- Begin function _ZN9rocsparseL18bsrxmvn_4x4_kernelILj128ELj32E21rocsparse_complex_numIdEliS2_S2_S2_EEvT3_20rocsparse_direction_NS_24const_host_device_scalarIT1_EES3_PKS3_PKT2_SC_S9_PKT4_PKT5_S7_PT6_21rocsparse_index_base_b
	.p2align	8
	.type	_ZN9rocsparseL18bsrxmvn_4x4_kernelILj128ELj32E21rocsparse_complex_numIdEliS2_S2_S2_EEvT3_20rocsparse_direction_NS_24const_host_device_scalarIT1_EES3_PKS3_PKT2_SC_S9_PKT4_PKT5_S7_PT6_21rocsparse_index_base_b,@function
_ZN9rocsparseL18bsrxmvn_4x4_kernelILj128ELj32E21rocsparse_complex_numIdEliS2_S2_S2_EEvT3_20rocsparse_direction_NS_24const_host_device_scalarIT1_EES3_PKS3_PKT2_SC_S9_PKT4_PKT5_S7_PT6_21rocsparse_index_base_b: ; @_ZN9rocsparseL18bsrxmvn_4x4_kernelILj128ELj32E21rocsparse_complex_numIdEliS2_S2_S2_EEvT3_20rocsparse_direction_NS_24const_host_device_scalarIT1_EES3_PKS3_PKT2_SC_S9_PKT4_PKT5_S7_PT6_21rocsparse_index_base_b
; %bb.0:
	s_load_dwordx2 s[4:5], s[0:1], 0x8
	s_load_dwordx2 s[12:13], s[0:1], 0x68
	s_add_u32 s3, s0, 8
	s_addc_u32 s8, s1, 0
	s_add_u32 s9, s0, 0x50
	s_load_dwordx2 s[6:7], s[0:1], 0x50
	s_addc_u32 s10, s1, 0
	s_waitcnt lgkmcnt(0)
	s_bitcmp1_b32 s13, 0
	s_cselect_b32 s5, s8, s5
	s_cselect_b32 s3, s3, s4
	v_mov_b32_e32 v2, s3
	v_mov_b32_e32 v3, s5
	flat_load_dwordx4 v[6:9], v[2:3]
	s_cselect_b32 s3, s10, s7
	s_cselect_b32 s4, s9, s6
	v_mov_b32_e32 v2, s4
	v_mov_b32_e32 v3, s3
	flat_load_dwordx4 v[2:5], v[2:3]
	s_waitcnt vmcnt(0) lgkmcnt(0)
	v_cmp_eq_f64_e32 vcc, 0, v[6:7]
	v_cmp_eq_f64_e64 s[4:5], 0, v[8:9]
	s_and_b64 s[8:9], vcc, s[4:5]
	s_mov_b64 s[4:5], -1
	s_and_saveexec_b64 s[6:7], s[8:9]
; %bb.1:
	v_cmp_neq_f64_e32 vcc, 1.0, v[2:3]
	v_cmp_neq_f64_e64 s[4:5], 0, v[4:5]
	s_or_b64 s[4:5], vcc, s[4:5]
	s_orn2_b64 s[4:5], s[4:5], exec
; %bb.2:
	s_or_b64 exec, exec, s[6:7]
	s_and_saveexec_b64 s[6:7], s[4:5]
	s_cbranch_execz .LBB38_8
; %bb.3:
	s_load_dwordx2 s[4:5], s[0:1], 0x20
	s_load_dwordx2 s[14:15], s[0:1], 0x0
	v_lshrrev_b32_e32 v1, 5, v0
	v_lshl_or_b32 v26, s2, 2, v1
	s_mov_b64 s[2:3], 0
	s_waitcnt lgkmcnt(0)
	s_cmp_lg_u64 s[4:5], 0
	s_cbranch_scc0 .LBB38_9
; %bb.4:
	s_load_dword s6, s[0:1], 0x18
                                        ; implicit-def: $vgpr1
	s_waitcnt lgkmcnt(0)
	v_cmp_gt_i32_e32 vcc, s6, v26
	s_and_saveexec_b64 s[6:7], vcc
	s_xor_b64 s[6:7], exec, s[6:7]
	s_cbranch_execz .LBB38_6
; %bb.5:
	v_ashrrev_i32_e32 v27, 31, v26
	v_lshl_add_u64 v[10:11], v[26:27], 2, s[4:5]
	global_load_dword v1, v[10:11], off
	s_mov_b64 s[2:3], exec
	s_waitcnt vmcnt(0)
	v_subrev_u32_e32 v1, s12, v1
.LBB38_6:
	s_or_b64 exec, exec, s[6:7]
	s_branch .LBB38_10
.LBB38_7:
	v_cmp_gt_i32_e32 vcc, s14, v26
	s_andn2_b64 s[2:3], s[2:3], exec
	s_and_b64 s[4:5], vcc, exec
	s_or_b64 s[2:3], s[2:3], s[4:5]
	s_and_b64 exec, exec, s[2:3]
	s_cbranch_execnz .LBB38_11
.LBB38_8:
	s_endpgm
.LBB38_9:
                                        ; implicit-def: $vgpr1
	s_cbranch_execnz .LBB38_7
.LBB38_10:
	v_mov_b32_e32 v26, v1
	s_and_b64 exec, exec, s[2:3]
	s_cbranch_execz .LBB38_8
.LBB38_11:
	s_load_dwordx8 s[4:11], s[0:1], 0x28
	v_ashrrev_i32_e32 v27, 31, v26
	v_lshlrev_b64 v[10:11], 3, v[26:27]
	v_and_b32_e32 v0, 31, v0
	v_mov_b32_e32 v1, 0
	s_waitcnt lgkmcnt(0)
	v_lshl_add_u64 v[12:13], s[4:5], 0, v[10:11]
	s_cmp_eq_u64 s[6:7], 0
	v_lshl_add_u64 v[10:11], s[6:7], 0, v[10:11]
	global_load_dwordx2 v[50:51], v[12:13], off
	v_lshl_add_u64 v[12:13], v[12:13], 0, 8
	s_cselect_b64 vcc, -1, 0
	v_cndmask_b32_e32 v11, v11, v13, vcc
	v_cndmask_b32_e32 v10, v10, v12, vcc
	global_load_dwordx2 v[10:11], v[10:11], off
	s_load_dwordx2 s[4:5], s[0:1], 0x48
	s_cmp_eq_u32 s15, 1
	s_waitcnt vmcnt(1)
	v_subrev_co_u32_e32 v12, vcc, s12, v50
	s_nop 1
	v_subbrev_co_u32_e32 v13, vcc, 0, v51, vcc
	v_lshl_add_u64 v[32:33], v[12:13], 0, v[0:1]
	s_waitcnt vmcnt(0)
	v_subrev_co_u32_e32 v34, vcc, s12, v10
	s_nop 1
	v_subbrev_co_u32_e32 v35, vcc, 0, v11, vcc
	v_lshlrev_b64 v[10:11], 8, v[32:33]
	v_lshl_add_u64 v[36:37], s[10:11], 0, v[10:11]
	v_cmp_lt_i64_e64 s[2:3], v[32:33], v[34:35]
	s_cbranch_scc1 .LBB38_23
; %bb.12:
	v_mov_b64_e32 v[40:41], 0
	v_mov_b64_e32 v[48:49], 0
	;; [unrolled: 1-line block ×8, first 2 shown]
	s_and_saveexec_b64 s[6:7], s[2:3]
	s_cbranch_execz .LBB38_22
; %bb.13:
	v_or_b32_e32 v1, 32, v0
	v_subrev_co_u32_e32 v10, vcc, s12, v1
	v_not_b32_e32 v13, v51
	s_nop 0
	v_subb_co_u32_e64 v11, s[10:11], 0, 0, vcc
	v_lshl_add_u64 v[10:11], v[10:11], 0, v[50:51]
	v_cmp_gt_i64_e32 vcc, v[10:11], v[34:35]
	v_not_b32_e32 v12, v50
	v_mov_b64_e32 v[38:39], 0
	v_cndmask_b32_e32 v11, v35, v11, vcc
	v_cndmask_b32_e32 v10, v34, v10, vcc
	v_sub_co_u32_e32 v14, vcc, s12, v0
	v_mov_b64_e32 v[46:47], 0
	s_nop 0
	v_subb_co_u32_e64 v15, s[10:11], 0, 0, vcc
	v_lshl_add_u64 v[12:13], v[14:15], 0, v[12:13]
	v_lshl_add_u64 v[18:19], v[12:13], 0, v[10:11]
	v_and_b32_e32 v10, 0x60, v18
	v_mov_b32_e32 v11, 0
	s_mov_b64 s[10:11], 0x60
	v_cmp_ne_u64_e32 vcc, s[10:11], v[10:11]
	v_mov_b64_e32 v[30:31], 0
	v_mov_b64_e32 v[44:45], 0
	;; [unrolled: 1-line block ×8, first 2 shown]
	s_and_saveexec_b64 s[10:11], vcc
	s_cbranch_execz .LBB38_17
; %bb.14:
	v_lshrrev_b32_e32 v1, 5, v18
	v_add_u32_e32 v1, 1, v1
	v_and_b32_e32 v1, 3, v1
	v_sub_co_u32_e32 v22, vcc, 0, v1
	v_lshl_add_u64 v[20:21], v[32:33], 2, s[8:9]
	s_nop 0
	v_subb_co_u32_e64 v23, s[16:17], 0, 0, vcc
	s_mov_b64 s[14:15], 0
	v_mov_b64_e32 v[40:41], 0
	s_mov_b64 s[16:17], 0x2000
	s_mov_b64 s[18:19], 0x80
	v_mov_b64_e32 v[54:55], v[32:33]
	v_mov_b64_e32 v[52:53], v[36:37]
	v_mov_b64_e32 v[48:49], 0
	v_mov_b64_e32 v[42:43], 0
	v_mov_b64_e32 v[28:29], 0
	v_mov_b64_e32 v[44:45], 0
	v_mov_b64_e32 v[30:31], 0
	v_mov_b64_e32 v[46:47], 0
	v_mov_b64_e32 v[38:39], 0
.LBB38_15:                              ; =>This Inner Loop Header: Depth=1
	global_load_dword v1, v[20:21], off
	global_load_dwordx4 v[10:13], v[52:53], off offset:16
	global_load_dwordx4 v[14:17], v[52:53], off
	global_load_dwordx4 v[56:59], v[52:53], off offset:80
	global_load_dwordx4 v[60:63], v[52:53], off offset:64
	;; [unrolled: 1-line block ×14, first 2 shown]
	v_lshl_add_u64 v[22:23], v[22:23], 0, 1
	v_cmp_eq_u64_e32 vcc, 0, v[22:23]
	v_lshl_add_u64 v[52:53], v[52:53], 0, s[16:17]
	v_lshl_add_u64 v[54:55], v[54:55], 0, 32
	;; [unrolled: 1-line block ×3, first 2 shown]
	s_or_b64 s[14:15], vcc, s[14:15]
	s_waitcnt vmcnt(16)
	v_subrev_u32_e32 v1, s12, v1
	v_lshlrev_b32_e32 v24, 2, v1
	v_ashrrev_i32_e32 v25, 31, v24
	s_waitcnt lgkmcnt(0)
	v_lshl_add_u64 v[24:25], v[24:25], 4, s[4:5]
	global_load_dwordx4 v[112:115], v[24:25], off
	global_load_dwordx4 v[116:119], v[24:25], off offset:16
	global_load_dwordx4 v[120:123], v[24:25], off offset:32
	;; [unrolled: 1-line block ×3, first 2 shown]
	s_waitcnt vmcnt(3)
	v_fmac_f64_e32 v[48:49], v[14:15], v[112:113]
	v_fmac_f64_e32 v[40:41], v[16:17], v[112:113]
	v_fmac_f64_e32 v[46:47], v[60:61], v[112:113]
	v_fmac_f64_e32 v[38:39], v[62:63], v[112:113]
	v_fmac_f64_e32 v[44:45], v[68:69], v[112:113]
	v_fmac_f64_e32 v[30:31], v[70:71], v[112:113]
	v_fmac_f64_e32 v[42:43], v[72:73], v[112:113]
	v_fmac_f64_e32 v[28:29], v[74:75], v[112:113]
	v_fma_f64 v[16:17], -v[16:17], v[114:115], v[48:49]
	v_fmac_f64_e32 v[40:41], v[14:15], v[114:115]
	v_fma_f64 v[14:15], -v[62:63], v[114:115], v[46:47]
	v_fmac_f64_e32 v[38:39], v[60:61], v[114:115]
	v_fma_f64 v[24:25], -v[70:71], v[114:115], v[44:45]
	v_fmac_f64_e32 v[30:31], v[68:69], v[114:115]
	v_fma_f64 v[42:43], -v[74:75], v[114:115], v[42:43]
	v_fmac_f64_e32 v[28:29], v[72:73], v[114:115]
	s_waitcnt vmcnt(2)
	v_fmac_f64_e32 v[16:17], v[10:11], v[116:117]
	v_fmac_f64_e32 v[40:41], v[12:13], v[116:117]
	v_fmac_f64_e32 v[14:15], v[56:57], v[116:117]
	v_fmac_f64_e32 v[38:39], v[58:59], v[116:117]
	v_fmac_f64_e32 v[24:25], v[64:65], v[116:117]
	v_fmac_f64_e32 v[30:31], v[66:67], v[116:117]
	v_fmac_f64_e32 v[42:43], v[76:77], v[116:117]
	v_fmac_f64_e32 v[28:29], v[78:79], v[116:117]
	v_fma_f64 v[12:13], -v[12:13], v[118:119], v[16:17]
	v_fmac_f64_e32 v[40:41], v[10:11], v[118:119]
	v_fma_f64 v[10:11], -v[58:59], v[118:119], v[14:15]
	v_fmac_f64_e32 v[38:39], v[56:57], v[118:119]
	v_fma_f64 v[14:15], -v[66:67], v[118:119], v[24:25]
	v_fmac_f64_e32 v[30:31], v[64:65], v[118:119]
	v_fma_f64 v[16:17], -v[78:79], v[118:119], v[42:43]
	v_fmac_f64_e32 v[28:29], v[76:77], v[118:119]
	s_waitcnt vmcnt(1)
	v_fmac_f64_e32 v[12:13], v[84:85], v[120:121]
	v_fmac_f64_e32 v[40:41], v[86:87], v[120:121]
	v_fmac_f64_e32 v[10:11], v[92:93], v[120:121]
	v_fmac_f64_e32 v[38:39], v[94:95], v[120:121]
	v_fmac_f64_e32 v[14:15], v[100:101], v[120:121]
	v_fmac_f64_e32 v[30:31], v[102:103], v[120:121]
	v_fmac_f64_e32 v[16:17], v[104:105], v[120:121]
	v_fmac_f64_e32 v[28:29], v[106:107], v[120:121]
	v_fma_f64 v[12:13], -v[86:87], v[122:123], v[12:13]
	v_fmac_f64_e32 v[40:41], v[84:85], v[122:123]
	v_fma_f64 v[10:11], -v[94:95], v[122:123], v[10:11]
	v_fmac_f64_e32 v[38:39], v[92:93], v[122:123]
	v_fma_f64 v[14:15], -v[102:103], v[122:123], v[14:15]
	v_fmac_f64_e32 v[30:31], v[100:101], v[122:123]
	v_fma_f64 v[16:17], -v[106:107], v[122:123], v[16:17]
	v_fmac_f64_e32 v[28:29], v[104:105], v[122:123]
	s_waitcnt vmcnt(0)
	v_fmac_f64_e32 v[12:13], v[80:81], v[124:125]
	v_fmac_f64_e32 v[40:41], v[82:83], v[124:125]
	v_fmac_f64_e32 v[10:11], v[88:89], v[124:125]
	v_fmac_f64_e32 v[38:39], v[90:91], v[124:125]
	v_fmac_f64_e32 v[14:15], v[96:97], v[124:125]
	v_fmac_f64_e32 v[30:31], v[98:99], v[124:125]
	v_fmac_f64_e32 v[16:17], v[108:109], v[124:125]
	v_fmac_f64_e32 v[28:29], v[110:111], v[124:125]
	v_fma_f64 v[48:49], -v[82:83], v[126:127], v[12:13]
	v_fmac_f64_e32 v[40:41], v[80:81], v[126:127]
	v_fma_f64 v[46:47], -v[90:91], v[126:127], v[10:11]
	v_fmac_f64_e32 v[38:39], v[88:89], v[126:127]
	v_fma_f64 v[44:45], -v[98:99], v[126:127], v[14:15]
	v_fmac_f64_e32 v[30:31], v[96:97], v[126:127]
	v_fma_f64 v[42:43], -v[110:111], v[126:127], v[16:17]
	v_fmac_f64_e32 v[28:29], v[108:109], v[126:127]
	s_andn2_b64 exec, exec, s[14:15]
	s_cbranch_execnz .LBB38_15
; %bb.16:
	s_or_b64 exec, exec, s[14:15]
.LBB38_17:
	s_or_b64 exec, exec, s[10:11]
	s_mov_b64 s[10:11], 0x5f
	v_cmp_lt_u64_e32 vcc, s[10:11], v[18:19]
	s_and_saveexec_b64 s[10:11], vcc
	s_cbranch_execz .LBB38_21
; %bb.18:
	v_lshl_add_u64 v[10:11], v[54:55], 2, s[8:9]
	s_mov_b64 s[14:15], 0x100
	v_lshl_add_u64 v[56:57], v[10:11], 0, s[14:15]
	s_mov_b64 s[14:15], 0
	s_mov_b64 s[16:17], 0x2000
	s_movk_i32 s13, 0x2000
	s_mov_b64 s[18:19], 0x4000
	s_movk_i32 s28, 0x4000
	s_mov_b64 s[20:21], 0x6000
	s_movk_i32 s29, 0x6000
	s_mov_b64 s[22:23], 0x80
	s_mov_b64 s[24:25], 0x200
	;; [unrolled: 1-line block ×3, first 2 shown]
.LBB38_19:                              ; =>This Inner Loop Header: Depth=1
	global_load_dword v1, v[56:57], off offset:-256
	global_load_dwordx4 v[58:61], v[52:53], off offset:48
	global_load_dwordx4 v[62:65], v[52:53], off offset:32
	;; [unrolled: 1-line block ×3, first 2 shown]
	global_load_dwordx4 v[70:73], v[52:53], off
	v_lshl_add_u64 v[78:79], v[52:53], 0, s[16:17]
	v_lshl_add_u64 v[54:55], v[54:55], 0, s[22:23]
	s_waitcnt vmcnt(4)
	v_subrev_u32_e32 v1, s12, v1
	v_lshlrev_b32_e32 v10, 2, v1
	v_ashrrev_i32_e32 v11, 31, v10
	s_waitcnt lgkmcnt(0)
	v_lshl_add_u64 v[74:75], v[10:11], 4, s[4:5]
	global_load_dwordx4 v[10:13], v[74:75], off offset:48
	global_load_dwordx4 v[14:17], v[74:75], off offset:32
	;; [unrolled: 1-line block ×3, first 2 shown]
	global_load_dwordx4 v[22:25], v[74:75], off
	s_waitcnt vmcnt(0)
	v_fmac_f64_e32 v[48:49], v[70:71], v[22:23]
	v_fmac_f64_e32 v[40:41], v[72:73], v[22:23]
	v_fma_f64 v[48:49], -v[72:73], v[24:25], v[48:49]
	v_fmac_f64_e32 v[40:41], v[70:71], v[24:25]
	v_fmac_f64_e32 v[48:49], v[66:67], v[18:19]
	v_fmac_f64_e32 v[40:41], v[68:69], v[18:19]
	v_fma_f64 v[48:49], -v[68:69], v[20:21], v[48:49]
	v_fmac_f64_e32 v[40:41], v[66:67], v[20:21]
	v_fmac_f64_e32 v[48:49], v[62:63], v[14:15]
	v_fmac_f64_e32 v[40:41], v[64:65], v[14:15]
	v_fma_f64 v[48:49], -v[64:65], v[16:17], v[48:49]
	v_fmac_f64_e32 v[40:41], v[62:63], v[16:17]
	v_fmac_f64_e32 v[48:49], v[58:59], v[10:11]
	v_fmac_f64_e32 v[40:41], v[60:61], v[10:11]
	v_fma_f64 v[48:49], -v[60:61], v[12:13], v[48:49]
	v_fmac_f64_e32 v[40:41], v[58:59], v[12:13]
	global_load_dwordx4 v[58:61], v[52:53], off offset:112
	global_load_dwordx4 v[62:65], v[52:53], off offset:96
	global_load_dwordx4 v[66:69], v[52:53], off offset:80
	global_load_dwordx4 v[70:73], v[52:53], off offset:64
	s_waitcnt vmcnt(0)
	v_fmac_f64_e32 v[46:47], v[70:71], v[22:23]
	v_fmac_f64_e32 v[38:39], v[72:73], v[22:23]
	v_fma_f64 v[46:47], -v[72:73], v[24:25], v[46:47]
	v_fmac_f64_e32 v[38:39], v[70:71], v[24:25]
	v_fmac_f64_e32 v[46:47], v[66:67], v[18:19]
	v_fmac_f64_e32 v[38:39], v[68:69], v[18:19]
	v_fma_f64 v[46:47], -v[68:69], v[20:21], v[46:47]
	v_fmac_f64_e32 v[38:39], v[66:67], v[20:21]
	v_fmac_f64_e32 v[46:47], v[62:63], v[14:15]
	v_fmac_f64_e32 v[38:39], v[64:65], v[14:15]
	v_fma_f64 v[46:47], -v[64:65], v[16:17], v[46:47]
	v_fmac_f64_e32 v[38:39], v[62:63], v[16:17]
	v_fmac_f64_e32 v[46:47], v[58:59], v[10:11]
	v_fmac_f64_e32 v[38:39], v[60:61], v[10:11]
	v_fma_f64 v[46:47], -v[60:61], v[12:13], v[46:47]
	v_fmac_f64_e32 v[38:39], v[58:59], v[12:13]
	global_load_dwordx4 v[58:61], v[52:53], off offset:176
	global_load_dwordx4 v[62:65], v[52:53], off offset:160
	global_load_dwordx4 v[66:69], v[52:53], off offset:144
	global_load_dwordx4 v[70:73], v[52:53], off offset:128
	;; [unrolled: 21-line block ×3, first 2 shown]
	global_load_dword v1, v[56:57], off offset:-128
	v_add_co_u32_e32 v44, vcc, s13, v52
	s_waitcnt vmcnt(1)
	v_fmac_f64_e32 v[42:43], v[70:71], v[22:23]
	v_fmac_f64_e32 v[28:29], v[72:73], v[22:23]
	v_fma_f64 v[42:43], -v[72:73], v[24:25], v[42:43]
	v_fmac_f64_e32 v[28:29], v[70:71], v[24:25]
	v_fmac_f64_e32 v[42:43], v[66:67], v[18:19]
	;; [unrolled: 1-line block ×3, first 2 shown]
	v_fma_f64 v[22:23], -v[68:69], v[20:21], v[42:43]
	v_fmac_f64_e32 v[28:29], v[66:67], v[20:21]
	s_waitcnt vmcnt(0)
	v_subrev_u32_e32 v1, s12, v1
	v_fmac_f64_e32 v[22:23], v[62:63], v[14:15]
	v_fmac_f64_e32 v[28:29], v[64:65], v[14:15]
	v_lshlrev_b32_e32 v42, 2, v1
	v_fma_f64 v[18:19], -v[64:65], v[16:17], v[22:23]
	v_fmac_f64_e32 v[28:29], v[62:63], v[16:17]
	v_ashrrev_i32_e32 v43, 31, v42
	v_fmac_f64_e32 v[18:19], v[58:59], v[10:11]
	v_fmac_f64_e32 v[28:29], v[60:61], v[10:11]
	v_addc_co_u32_e32 v45, vcc, 0, v53, vcc
	v_lshl_add_u64 v[70:71], v[42:43], 4, s[4:5]
	v_fma_f64 v[76:77], -v[60:61], v[12:13], v[18:19]
	v_fmac_f64_e32 v[28:29], v[58:59], v[12:13]
	global_load_dwordx4 v[10:13], v[44:45], off
	global_load_dwordx4 v[14:17], v[78:79], off offset:48
	global_load_dwordx4 v[18:21], v[78:79], off offset:32
	;; [unrolled: 1-line block ×3, first 2 shown]
	s_nop 0
	global_load_dwordx4 v[42:45], v[70:71], off offset:48
	global_load_dwordx4 v[58:61], v[70:71], off offset:32
	;; [unrolled: 1-line block ×3, first 2 shown]
	global_load_dwordx4 v[66:69], v[70:71], off
	s_waitcnt vmcnt(0)
	v_fmac_f64_e32 v[48:49], v[10:11], v[66:67]
	v_fmac_f64_e32 v[40:41], v[12:13], v[66:67]
	v_fma_f64 v[48:49], -v[12:13], v[68:69], v[48:49]
	v_fmac_f64_e32 v[40:41], v[10:11], v[68:69]
	v_fmac_f64_e32 v[48:49], v[22:23], v[62:63]
	v_fmac_f64_e32 v[40:41], v[24:25], v[62:63]
	v_fma_f64 v[10:11], -v[24:25], v[64:65], v[48:49]
	v_fmac_f64_e32 v[40:41], v[22:23], v[64:65]
	;; [unrolled: 4-line block ×4, first 2 shown]
	global_load_dwordx4 v[14:17], v[78:79], off offset:112
	global_load_dwordx4 v[18:21], v[78:79], off offset:96
	global_load_dwordx4 v[22:25], v[78:79], off offset:80
	global_load_dwordx4 v[70:73], v[78:79], off offset:64
	s_waitcnt vmcnt(0)
	v_fmac_f64_e32 v[46:47], v[70:71], v[66:67]
	v_fma_f64 v[12:13], -v[72:73], v[68:69], v[46:47]
	v_fmac_f64_e32 v[38:39], v[72:73], v[66:67]
	v_fmac_f64_e32 v[38:39], v[70:71], v[68:69]
	v_fmac_f64_e32 v[12:13], v[22:23], v[62:63]
	v_fma_f64 v[12:13], -v[24:25], v[64:65], v[12:13]
	v_fmac_f64_e32 v[38:39], v[24:25], v[62:63]
	v_fmac_f64_e32 v[38:39], v[22:23], v[64:65]
	;; [unrolled: 4-line block ×3, first 2 shown]
	v_fmac_f64_e32 v[12:13], v[14:15], v[42:43]
	v_fma_f64 v[12:13], -v[16:17], v[44:45], v[12:13]
	v_fmac_f64_e32 v[38:39], v[16:17], v[42:43]
	global_load_dwordx4 v[16:19], v[78:79], off offset:176
	global_load_dwordx4 v[20:23], v[78:79], off offset:160
	;; [unrolled: 1-line block ×4, first 2 shown]
	v_fmac_f64_e32 v[38:39], v[14:15], v[44:45]
	s_waitcnt vmcnt(0)
	v_fmac_f64_e32 v[74:75], v[70:71], v[66:67]
	v_fma_f64 v[14:15], -v[72:73], v[68:69], v[74:75]
	v_fmac_f64_e32 v[30:31], v[72:73], v[66:67]
	v_fmac_f64_e32 v[30:31], v[70:71], v[68:69]
	v_fmac_f64_e32 v[14:15], v[46:47], v[62:63]
	v_fma_f64 v[14:15], -v[48:49], v[64:65], v[14:15]
	v_fmac_f64_e32 v[30:31], v[48:49], v[62:63]
	v_fmac_f64_e32 v[30:31], v[46:47], v[64:65]
	;; [unrolled: 4-line block ×3, first 2 shown]
	v_fmac_f64_e32 v[14:15], v[16:17], v[42:43]
	v_fma_f64 v[14:15], -v[18:19], v[44:45], v[14:15]
	v_fmac_f64_e32 v[30:31], v[18:19], v[42:43]
	global_load_dwordx4 v[18:21], v[78:79], off offset:240
	global_load_dwordx4 v[22:25], v[78:79], off offset:224
	;; [unrolled: 1-line block ×4, first 2 shown]
	global_load_dword v1, v[56:57], off
	v_fmac_f64_e32 v[30:31], v[16:17], v[44:45]
	v_lshl_add_u64 v[78:79], v[52:53], 0, s[18:19]
	s_waitcnt vmcnt(1)
	v_fmac_f64_e32 v[28:29], v[72:73], v[66:67]
	v_fmac_f64_e32 v[76:77], v[70:71], v[66:67]
	v_fmac_f64_e32 v[28:29], v[70:71], v[68:69]
	v_fma_f64 v[16:17], -v[72:73], v[68:69], v[76:77]
	v_fmac_f64_e32 v[28:29], v[48:49], v[62:63]
	v_fmac_f64_e32 v[16:17], v[46:47], v[62:63]
	v_fmac_f64_e32 v[28:29], v[46:47], v[64:65]
	v_fma_f64 v[16:17], -v[48:49], v[64:65], v[16:17]
	;; [unrolled: 4-line block ×3, first 2 shown]
	v_fmac_f64_e32 v[28:29], v[20:21], v[42:43]
	s_waitcnt vmcnt(0)
	v_subrev_u32_e32 v1, s12, v1
	v_fmac_f64_e32 v[16:17], v[18:19], v[42:43]
	v_fmac_f64_e32 v[28:29], v[18:19], v[44:45]
	v_lshlrev_b32_e32 v18, 2, v1
	v_add_co_u32_e32 v24, vcc, s28, v52
	v_ashrrev_i32_e32 v19, 31, v18
	s_nop 0
	v_addc_co_u32_e32 v25, vcc, 0, v53, vcc
	v_lshl_add_u64 v[18:19], v[18:19], 4, s[4:5]
	v_fma_f64 v[16:17], -v[20:21], v[44:45], v[16:17]
	global_load_dwordx4 v[20:23], v[24:25], off
	global_load_dwordx4 v[42:45], v[78:79], off offset:48
	global_load_dwordx4 v[46:49], v[78:79], off offset:32
	;; [unrolled: 1-line block ×6, first 2 shown]
	global_load_dwordx4 v[74:77], v[18:19], off
	s_waitcnt vmcnt(0)
	v_fmac_f64_e32 v[10:11], v[20:21], v[74:75]
	v_fmac_f64_e32 v[40:41], v[22:23], v[74:75]
	v_fma_f64 v[10:11], -v[22:23], v[76:77], v[10:11]
	v_fmac_f64_e32 v[40:41], v[20:21], v[76:77]
	v_fmac_f64_e32 v[10:11], v[58:59], v[70:71]
	v_fmac_f64_e32 v[40:41], v[60:61], v[70:71]
	v_fma_f64 v[10:11], -v[60:61], v[72:73], v[10:11]
	v_fmac_f64_e32 v[40:41], v[58:59], v[72:73]
	;; [unrolled: 4-line block ×4, first 2 shown]
	global_load_dwordx4 v[18:21], v[78:79], off offset:112
	global_load_dwordx4 v[22:25], v[78:79], off offset:96
	global_load_dwordx4 v[42:45], v[78:79], off offset:80
	global_load_dwordx4 v[46:49], v[78:79], off offset:64
	v_add_co_u32_e32 v60, vcc, s29, v52
	s_waitcnt vmcnt(0)
	v_fmac_f64_e32 v[12:13], v[46:47], v[74:75]
	v_fmac_f64_e32 v[38:39], v[48:49], v[74:75]
	v_fma_f64 v[12:13], -v[48:49], v[76:77], v[12:13]
	v_fmac_f64_e32 v[38:39], v[46:47], v[76:77]
	v_fmac_f64_e32 v[12:13], v[42:43], v[70:71]
	v_fmac_f64_e32 v[38:39], v[44:45], v[70:71]
	v_fma_f64 v[12:13], -v[44:45], v[72:73], v[12:13]
	v_fmac_f64_e32 v[38:39], v[42:43], v[72:73]
	;; [unrolled: 4-line block ×4, first 2 shown]
	global_load_dwordx4 v[18:21], v[78:79], off offset:176
	global_load_dwordx4 v[22:25], v[78:79], off offset:160
	;; [unrolled: 1-line block ×4, first 2 shown]
	v_addc_co_u32_e32 v61, vcc, 0, v53, vcc
	v_cmp_ge_i64_e32 vcc, v[54:55], v[34:35]
	s_or_b64 s[14:15], vcc, s[14:15]
	s_waitcnt vmcnt(0)
	v_fmac_f64_e32 v[14:15], v[46:47], v[74:75]
	v_fmac_f64_e32 v[30:31], v[48:49], v[74:75]
	v_fma_f64 v[14:15], -v[48:49], v[76:77], v[14:15]
	v_fmac_f64_e32 v[30:31], v[46:47], v[76:77]
	v_fmac_f64_e32 v[14:15], v[42:43], v[70:71]
	v_fmac_f64_e32 v[30:31], v[44:45], v[70:71]
	v_fma_f64 v[14:15], -v[44:45], v[72:73], v[14:15]
	v_fmac_f64_e32 v[30:31], v[42:43], v[72:73]
	;; [unrolled: 4-line block ×4, first 2 shown]
	global_load_dwordx4 v[18:21], v[78:79], off offset:240
	global_load_dwordx4 v[22:25], v[78:79], off offset:224
	;; [unrolled: 1-line block ×4, first 2 shown]
	global_load_dword v1, v[56:57], off offset:128
	v_lshl_add_u64 v[78:79], v[52:53], 0, s[20:21]
	v_lshl_add_u64 v[56:57], v[56:57], 0, s[24:25]
	;; [unrolled: 1-line block ×3, first 2 shown]
	s_waitcnt vmcnt(1)
	v_fmac_f64_e32 v[16:17], v[46:47], v[74:75]
	v_fmac_f64_e32 v[28:29], v[48:49], v[74:75]
	v_fma_f64 v[16:17], -v[48:49], v[76:77], v[16:17]
	v_fmac_f64_e32 v[28:29], v[46:47], v[76:77]
	v_fmac_f64_e32 v[16:17], v[42:43], v[70:71]
	;; [unrolled: 1-line block ×3, first 2 shown]
	v_fma_f64 v[16:17], -v[44:45], v[72:73], v[16:17]
	v_fmac_f64_e32 v[28:29], v[42:43], v[72:73]
	s_waitcnt vmcnt(0)
	v_subrev_u32_e32 v1, s12, v1
	v_fmac_f64_e32 v[16:17], v[22:23], v[66:67]
	v_fmac_f64_e32 v[28:29], v[24:25], v[66:67]
	v_lshlrev_b32_e32 v58, 2, v1
	v_fma_f64 v[16:17], -v[24:25], v[68:69], v[16:17]
	v_fmac_f64_e32 v[28:29], v[22:23], v[68:69]
	v_ashrrev_i32_e32 v59, 31, v58
	v_fmac_f64_e32 v[16:17], v[18:19], v[62:63]
	v_fmac_f64_e32 v[28:29], v[20:21], v[62:63]
	v_lshl_add_u64 v[74:75], v[58:59], 4, s[4:5]
	v_fma_f64 v[16:17], -v[20:21], v[64:65], v[16:17]
	v_fmac_f64_e32 v[28:29], v[18:19], v[64:65]
	global_load_dwordx4 v[18:21], v[60:61], off
	global_load_dwordx4 v[22:25], v[78:79], off offset:48
	global_load_dwordx4 v[42:45], v[78:79], off offset:32
	;; [unrolled: 1-line block ×3, first 2 shown]
	s_nop 0
	global_load_dwordx4 v[58:61], v[74:75], off offset:48
	global_load_dwordx4 v[62:65], v[74:75], off offset:32
	;; [unrolled: 1-line block ×3, first 2 shown]
	global_load_dwordx4 v[70:73], v[74:75], off
	s_waitcnt vmcnt(0)
	v_fmac_f64_e32 v[10:11], v[18:19], v[70:71]
	v_fmac_f64_e32 v[40:41], v[20:21], v[70:71]
	v_fma_f64 v[10:11], -v[20:21], v[72:73], v[10:11]
	v_fmac_f64_e32 v[40:41], v[18:19], v[72:73]
	v_fmac_f64_e32 v[10:11], v[46:47], v[66:67]
	v_fmac_f64_e32 v[40:41], v[48:49], v[66:67]
	v_fma_f64 v[10:11], -v[48:49], v[68:69], v[10:11]
	v_fmac_f64_e32 v[40:41], v[46:47], v[68:69]
	v_fmac_f64_e32 v[10:11], v[42:43], v[62:63]
	v_fmac_f64_e32 v[40:41], v[44:45], v[62:63]
	v_fma_f64 v[10:11], -v[44:45], v[64:65], v[10:11]
	v_fmac_f64_e32 v[40:41], v[42:43], v[64:65]
	v_fmac_f64_e32 v[10:11], v[22:23], v[58:59]
	v_fmac_f64_e32 v[40:41], v[24:25], v[58:59]
	v_fma_f64 v[48:49], -v[24:25], v[60:61], v[10:11]
	v_fmac_f64_e32 v[40:41], v[22:23], v[60:61]
	global_load_dwordx4 v[18:21], v[78:79], off offset:112
	global_load_dwordx4 v[22:25], v[78:79], off offset:96
	global_load_dwordx4 v[42:45], v[78:79], off offset:80
	global_load_dwordx4 v[74:77], v[78:79], off offset:64
	s_waitcnt vmcnt(0)
	v_fmac_f64_e32 v[12:13], v[74:75], v[70:71]
	v_fmac_f64_e32 v[38:39], v[76:77], v[70:71]
	v_fma_f64 v[10:11], -v[76:77], v[72:73], v[12:13]
	v_fmac_f64_e32 v[38:39], v[74:75], v[72:73]
	v_fmac_f64_e32 v[10:11], v[42:43], v[66:67]
	v_fmac_f64_e32 v[38:39], v[44:45], v[66:67]
	v_fma_f64 v[10:11], -v[44:45], v[68:69], v[10:11]
	v_fmac_f64_e32 v[38:39], v[42:43], v[68:69]
	v_fmac_f64_e32 v[10:11], v[22:23], v[62:63]
	v_fmac_f64_e32 v[38:39], v[24:25], v[62:63]
	v_fma_f64 v[10:11], -v[24:25], v[64:65], v[10:11]
	v_fmac_f64_e32 v[38:39], v[22:23], v[64:65]
	v_fmac_f64_e32 v[10:11], v[18:19], v[58:59]
	v_fmac_f64_e32 v[38:39], v[20:21], v[58:59]
	v_fma_f64 v[46:47], -v[20:21], v[60:61], v[10:11]
	v_fmac_f64_e32 v[38:39], v[18:19], v[60:61]
	global_load_dwordx4 v[10:13], v[78:79], off offset:176
	global_load_dwordx4 v[18:21], v[78:79], off offset:160
	global_load_dwordx4 v[22:25], v[78:79], off offset:144
	global_load_dwordx4 v[42:45], v[78:79], off offset:128
	;; [unrolled: 21-line block ×3, first 2 shown]
	s_waitcnt vmcnt(0)
	v_fmac_f64_e32 v[16:17], v[74:75], v[70:71]
	v_fmac_f64_e32 v[28:29], v[76:77], v[70:71]
	v_fma_f64 v[14:15], -v[76:77], v[72:73], v[16:17]
	v_fmac_f64_e32 v[28:29], v[74:75], v[72:73]
	v_fmac_f64_e32 v[14:15], v[22:23], v[66:67]
	v_fmac_f64_e32 v[28:29], v[24:25], v[66:67]
	v_fma_f64 v[14:15], -v[24:25], v[68:69], v[14:15]
	v_fmac_f64_e32 v[28:29], v[22:23], v[68:69]
	v_fmac_f64_e32 v[14:15], v[18:19], v[62:63]
	v_fmac_f64_e32 v[28:29], v[20:21], v[62:63]
	v_fma_f64 v[14:15], -v[20:21], v[64:65], v[14:15]
	v_fmac_f64_e32 v[28:29], v[18:19], v[64:65]
	v_fmac_f64_e32 v[14:15], v[10:11], v[58:59]
	v_fmac_f64_e32 v[28:29], v[12:13], v[58:59]
	v_fma_f64 v[42:43], -v[12:13], v[60:61], v[14:15]
	v_fmac_f64_e32 v[28:29], v[10:11], v[60:61]
	s_andn2_b64 exec, exec, s[14:15]
	s_cbranch_execnz .LBB38_19
; %bb.20:
	s_or_b64 exec, exec, s[14:15]
.LBB38_21:
	s_or_b64 exec, exec, s[10:11]
.LBB38_22:
	s_or_b64 exec, exec, s[6:7]
	s_cbranch_execz .LBB38_24
	s_branch .LBB38_35
.LBB38_23:
                                        ; implicit-def: $vgpr40_vgpr41
                                        ; implicit-def: $vgpr48_vgpr49
                                        ; implicit-def: $vgpr42_vgpr43
                                        ; implicit-def: $vgpr28_vgpr29
                                        ; implicit-def: $vgpr44_vgpr45
                                        ; implicit-def: $vgpr30_vgpr31
                                        ; implicit-def: $vgpr46_vgpr47
                                        ; implicit-def: $vgpr38_vgpr39
.LBB38_24:
	v_mov_b64_e32 v[40:41], 0
	v_mov_b64_e32 v[48:49], 0
	;; [unrolled: 1-line block ×8, first 2 shown]
	s_and_saveexec_b64 s[6:7], s[2:3]
	s_cbranch_execz .LBB38_34
; %bb.25:
	v_or_b32_e32 v1, 32, v0
	v_subrev_co_u32_e32 v10, vcc, s12, v1
	v_not_b32_e32 v13, v51
	s_nop 0
	v_subb_co_u32_e64 v11, s[2:3], 0, 0, vcc
	v_lshl_add_u64 v[10:11], v[10:11], 0, v[50:51]
	v_cmp_gt_i64_e32 vcc, v[10:11], v[34:35]
	v_not_b32_e32 v12, v50
	v_mov_b64_e32 v[38:39], 0
	v_cndmask_b32_e32 v11, v35, v11, vcc
	v_cndmask_b32_e32 v10, v34, v10, vcc
	v_sub_co_u32_e32 v14, vcc, s12, v0
	v_mov_b64_e32 v[46:47], 0
	s_nop 0
	v_subb_co_u32_e64 v15, s[2:3], 0, 0, vcc
	v_lshl_add_u64 v[12:13], v[14:15], 0, v[12:13]
	v_lshl_add_u64 v[50:51], v[12:13], 0, v[10:11]
	v_and_b32_e32 v10, 0x60, v50
	v_mov_b32_e32 v11, 0
	s_mov_b64 s[2:3], 0x60
	v_cmp_ne_u64_e32 vcc, s[2:3], v[10:11]
	v_mov_b64_e32 v[30:31], 0
	v_mov_b64_e32 v[44:45], 0
	;; [unrolled: 1-line block ×6, first 2 shown]
	s_and_saveexec_b64 s[2:3], vcc
	s_cbranch_execz .LBB38_29
; %bb.26:
	v_lshrrev_b32_e32 v1, 5, v50
	v_add_u32_e32 v1, 1, v1
	v_and_b32_e32 v1, 3, v1
	v_sub_co_u32_e32 v54, vcc, 0, v1
	v_lshl_add_u64 v[52:53], v[32:33], 2, s[8:9]
	s_nop 0
	v_subb_co_u32_e64 v55, s[14:15], 0, 0, vcc
	s_mov_b64 s[10:11], 0
	v_mov_b64_e32 v[40:41], 0
	s_mov_b64 s[14:15], 0x2000
	s_mov_b64 s[16:17], 0x80
	v_mov_b64_e32 v[48:49], 0
	v_mov_b64_e32 v[42:43], 0
	;; [unrolled: 1-line block ×7, first 2 shown]
.LBB38_27:                              ; =>This Inner Loop Header: Depth=1
	global_load_dword v1, v[52:53], off
	global_load_dwordx4 v[10:13], v[36:37], off offset:48
	global_load_dwordx4 v[14:17], v[36:37], off offset:32
	;; [unrolled: 1-line block ×3, first 2 shown]
	global_load_dwordx4 v[22:25], v[36:37], off
	global_load_dwordx4 v[56:59], v[36:37], off offset:112
	global_load_dwordx4 v[60:63], v[36:37], off offset:96
	;; [unrolled: 1-line block ×12, first 2 shown]
	v_lshl_add_u64 v[54:55], v[54:55], 0, 1
	v_cmp_eq_u64_e32 vcc, 0, v[54:55]
	v_lshl_add_u64 v[36:37], v[36:37], 0, s[14:15]
	v_lshl_add_u64 v[32:33], v[32:33], 0, 32
	;; [unrolled: 1-line block ×3, first 2 shown]
	s_or_b64 s[10:11], vcc, s[10:11]
	s_waitcnt vmcnt(16)
	v_subrev_u32_e32 v1, s12, v1
	v_lshlrev_b32_e32 v104, 2, v1
	v_ashrrev_i32_e32 v105, 31, v104
	s_waitcnt lgkmcnt(0)
	v_lshl_add_u64 v[120:121], v[104:105], 4, s[4:5]
	global_load_dwordx4 v[104:107], v[120:121], off
	global_load_dwordx4 v[108:111], v[120:121], off offset:16
	global_load_dwordx4 v[112:115], v[120:121], off offset:32
	global_load_dwordx4 v[116:119], v[120:121], off offset:48
	s_waitcnt vmcnt(3)
	v_fmac_f64_e32 v[48:49], v[22:23], v[104:105]
	v_fmac_f64_e32 v[40:41], v[24:25], v[104:105]
	v_fmac_f64_e32 v[46:47], v[18:19], v[104:105]
	v_fmac_f64_e32 v[38:39], v[20:21], v[104:105]
	v_fmac_f64_e32 v[44:45], v[14:15], v[104:105]
	v_fmac_f64_e32 v[30:31], v[16:17], v[104:105]
	v_fmac_f64_e32 v[42:43], v[10:11], v[104:105]
	v_fmac_f64_e32 v[28:29], v[12:13], v[104:105]
	v_fma_f64 v[24:25], -v[24:25], v[106:107], v[48:49]
	v_fmac_f64_e32 v[40:41], v[22:23], v[106:107]
	v_fma_f64 v[20:21], -v[20:21], v[106:107], v[46:47]
	v_fmac_f64_e32 v[38:39], v[18:19], v[106:107]
	v_fma_f64 v[16:17], -v[16:17], v[106:107], v[44:45]
	v_fmac_f64_e32 v[30:31], v[14:15], v[106:107]
	v_fma_f64 v[12:13], -v[12:13], v[106:107], v[42:43]
	v_fmac_f64_e32 v[28:29], v[10:11], v[106:107]
	s_waitcnt vmcnt(2)
	v_fmac_f64_e32 v[24:25], v[68:69], v[108:109]
	v_fmac_f64_e32 v[40:41], v[70:71], v[108:109]
	v_fmac_f64_e32 v[20:21], v[64:65], v[108:109]
	v_fmac_f64_e32 v[38:39], v[66:67], v[108:109]
	v_fmac_f64_e32 v[16:17], v[60:61], v[108:109]
	v_fmac_f64_e32 v[30:31], v[62:63], v[108:109]
	v_fmac_f64_e32 v[12:13], v[56:57], v[108:109]
	v_fmac_f64_e32 v[28:29], v[58:59], v[108:109]
	v_fma_f64 v[10:11], -v[70:71], v[110:111], v[24:25]
	v_fmac_f64_e32 v[40:41], v[68:69], v[110:111]
	v_fma_f64 v[14:15], -v[66:67], v[110:111], v[20:21]
	v_fmac_f64_e32 v[38:39], v[64:65], v[110:111]
	v_fma_f64 v[16:17], -v[62:63], v[110:111], v[16:17]
	v_fmac_f64_e32 v[30:31], v[60:61], v[110:111]
	v_fma_f64 v[12:13], -v[58:59], v[110:111], v[12:13]
	v_fmac_f64_e32 v[28:29], v[56:57], v[110:111]
	;; [unrolled: 17-line block ×4, first 2 shown]
	s_andn2_b64 exec, exec, s[10:11]
	s_cbranch_execnz .LBB38_27
; %bb.28:
	s_or_b64 exec, exec, s[10:11]
.LBB38_29:
	s_or_b64 exec, exec, s[2:3]
	s_mov_b64 s[2:3], 0x5f
	v_cmp_lt_u64_e32 vcc, s[2:3], v[50:51]
	s_and_saveexec_b64 s[2:3], vcc
	s_cbranch_execz .LBB38_33
; %bb.30:
	v_lshl_add_u64 v[10:11], v[32:33], 2, s[8:9]
	s_mov_b64 s[8:9], 0x100
	v_lshl_add_u64 v[14:15], v[10:11], 0, s[8:9]
	s_mov_b64 s[8:9], 0
	s_mov_b64 s[10:11], 0x2000
	s_movk_i32 s13, 0x2000
	s_mov_b64 s[14:15], 0x4000
	s_movk_i32 s24, 0x4000
	;; [unrolled: 2-line block ×3, first 2 shown]
	s_mov_b64 s[18:19], 0x80
	s_mov_b64 s[20:21], 0x200
	;; [unrolled: 1-line block ×3, first 2 shown]
.LBB38_31:                              ; =>This Inner Loop Header: Depth=1
	global_load_dword v1, v[14:15], off offset:-256
	global_load_dwordx4 v[16:19], v[36:37], off offset:48
	global_load_dwordx4 v[20:23], v[36:37], off offset:32
	;; [unrolled: 1-line block ×3, first 2 shown]
	global_load_dwordx4 v[54:57], v[36:37], off
	v_lshl_add_u64 v[32:33], v[32:33], 0, s[18:19]
	s_waitcnt vmcnt(4)
	v_subrev_u32_e32 v1, s12, v1
	v_lshlrev_b32_e32 v10, 2, v1
	v_ashrrev_i32_e32 v11, 31, v10
	s_waitcnt lgkmcnt(0)
	v_lshl_add_u64 v[24:25], v[10:11], 4, s[4:5]
	global_load_dwordx4 v[10:13], v[24:25], off offset:48
	global_load_dwordx4 v[58:61], v[24:25], off offset:32
	;; [unrolled: 1-line block ×3, first 2 shown]
	global_load_dwordx4 v[66:69], v[24:25], off
	s_waitcnt vmcnt(0)
	v_fmac_f64_e32 v[48:49], v[54:55], v[66:67]
	v_fmac_f64_e32 v[40:41], v[56:57], v[66:67]
	;; [unrolled: 1-line block ×8, first 2 shown]
	v_fma_f64 v[24:25], -v[56:57], v[68:69], v[48:49]
	v_fmac_f64_e32 v[40:41], v[54:55], v[68:69]
	v_fma_f64 v[54:55], -v[52:53], v[68:69], v[46:47]
	v_fmac_f64_e32 v[38:39], v[50:51], v[68:69]
	;; [unrolled: 2-line block ×4, first 2 shown]
	global_load_dwordx4 v[16:19], v[36:37], off offset:112
	global_load_dwordx4 v[20:23], v[36:37], off offset:96
	;; [unrolled: 1-line block ×4, first 2 shown]
	v_lshl_add_u64 v[68:69], v[36:37], 0, s[10:11]
	s_waitcnt vmcnt(3)
	v_fmac_f64_e32 v[52:53], v[16:17], v[62:63]
	s_waitcnt vmcnt(2)
	v_fmac_f64_e32 v[50:51], v[20:21], v[62:63]
	;; [unrolled: 2-line block ×4, first 2 shown]
	v_fmac_f64_e32 v[40:41], v[48:49], v[62:63]
	v_fmac_f64_e32 v[38:39], v[44:45], v[62:63]
	;; [unrolled: 1-line block ×4, first 2 shown]
	v_fma_f64 v[24:25], -v[48:49], v[64:65], v[24:25]
	v_fmac_f64_e32 v[40:41], v[46:47], v[64:65]
	v_fma_f64 v[54:55], -v[44:45], v[64:65], v[54:55]
	v_fmac_f64_e32 v[38:39], v[42:43], v[64:65]
	;; [unrolled: 2-line block ×4, first 2 shown]
	global_load_dwordx4 v[16:19], v[36:37], off offset:176
	global_load_dwordx4 v[20:23], v[36:37], off offset:160
	;; [unrolled: 1-line block ×4, first 2 shown]
	s_waitcnt vmcnt(3)
	v_fmac_f64_e32 v[52:53], v[16:17], v[58:59]
	s_waitcnt vmcnt(2)
	v_fmac_f64_e32 v[50:51], v[20:21], v[58:59]
	s_waitcnt vmcnt(1)
	v_fmac_f64_e32 v[54:55], v[42:43], v[58:59]
	s_waitcnt vmcnt(0)
	v_fmac_f64_e32 v[24:25], v[46:47], v[58:59]
	v_fmac_f64_e32 v[40:41], v[48:49], v[58:59]
	v_fmac_f64_e32 v[38:39], v[44:45], v[58:59]
	;; [unrolled: 1-line block ×4, first 2 shown]
	v_fma_f64 v[24:25], -v[48:49], v[60:61], v[24:25]
	v_fmac_f64_e32 v[40:41], v[46:47], v[60:61]
	v_fma_f64 v[54:55], -v[44:45], v[60:61], v[54:55]
	v_fmac_f64_e32 v[38:39], v[42:43], v[60:61]
	;; [unrolled: 2-line block ×4, first 2 shown]
	global_load_dwordx4 v[16:19], v[36:37], off offset:240
	global_load_dwordx4 v[20:23], v[36:37], off offset:224
	;; [unrolled: 1-line block ×4, first 2 shown]
	global_load_dword v1, v[14:15], off offset:-128
	s_waitcnt vmcnt(4)
	v_fmac_f64_e32 v[52:53], v[16:17], v[10:11]
	s_waitcnt vmcnt(3)
	v_fmac_f64_e32 v[50:51], v[20:21], v[10:11]
	;; [unrolled: 2-line block ×4, first 2 shown]
	s_waitcnt vmcnt(0)
	v_subrev_u32_e32 v1, s12, v1
	v_fmac_f64_e32 v[24:25], v[46:47], v[10:11]
	v_fmac_f64_e32 v[40:41], v[46:47], v[12:13]
	v_lshlrev_b32_e32 v46, 2, v1
	v_fma_f64 v[24:25], -v[48:49], v[12:13], v[24:25]
	v_add_co_u32_e32 v48, vcc, s13, v36
	v_ashrrev_i32_e32 v47, 31, v46
	v_fmac_f64_e32 v[38:39], v[44:45], v[10:11]
	v_fmac_f64_e32 v[30:31], v[22:23], v[10:11]
	;; [unrolled: 1-line block ×3, first 2 shown]
	v_addc_co_u32_e32 v49, vcc, 0, v37, vcc
	v_lshl_add_u64 v[70:71], v[46:47], 4, s[4:5]
	v_fma_f64 v[62:63], -v[44:45], v[12:13], v[54:55]
	v_fmac_f64_e32 v[38:39], v[42:43], v[12:13]
	v_fma_f64 v[64:65], -v[22:23], v[12:13], v[50:51]
	v_fmac_f64_e32 v[30:31], v[20:21], v[12:13]
	;; [unrolled: 2-line block ×3, first 2 shown]
	global_load_dwordx4 v[10:13], v[48:49], off
	global_load_dwordx4 v[16:19], v[68:69], off offset:48
	global_load_dwordx4 v[20:23], v[68:69], off offset:32
	;; [unrolled: 1-line block ×3, first 2 shown]
	s_nop 0
	global_load_dwordx4 v[46:49], v[70:71], off offset:48
	global_load_dwordx4 v[50:53], v[70:71], off offset:32
	;; [unrolled: 1-line block ×3, first 2 shown]
	global_load_dwordx4 v[58:61], v[70:71], off
	v_lshl_add_u64 v[70:71], v[36:37], 0, s[14:15]
	s_waitcnt vmcnt(0)
	v_fmac_f64_e32 v[24:25], v[10:11], v[58:59]
	v_fmac_f64_e32 v[40:41], v[12:13], v[58:59]
	;; [unrolled: 1-line block ×8, first 2 shown]
	v_fma_f64 v[24:25], -v[12:13], v[60:61], v[24:25]
	v_fmac_f64_e32 v[40:41], v[10:11], v[60:61]
	v_fma_f64 v[62:63], -v[44:45], v[60:61], v[62:63]
	v_fmac_f64_e32 v[38:39], v[42:43], v[60:61]
	;; [unrolled: 2-line block ×4, first 2 shown]
	global_load_dwordx4 v[10:13], v[68:69], off offset:112
	global_load_dwordx4 v[16:19], v[68:69], off offset:96
	;; [unrolled: 1-line block ×4, first 2 shown]
	s_waitcnt vmcnt(3)
	v_fmac_f64_e32 v[66:67], v[10:11], v[54:55]
	s_waitcnt vmcnt(2)
	v_fmac_f64_e32 v[64:65], v[16:17], v[54:55]
	;; [unrolled: 2-line block ×4, first 2 shown]
	v_fmac_f64_e32 v[40:41], v[44:45], v[54:55]
	v_fmac_f64_e32 v[38:39], v[22:23], v[54:55]
	;; [unrolled: 1-line block ×4, first 2 shown]
	v_fma_f64 v[24:25], -v[44:45], v[56:57], v[24:25]
	v_fmac_f64_e32 v[40:41], v[42:43], v[56:57]
	v_fma_f64 v[58:59], -v[22:23], v[56:57], v[62:63]
	v_fmac_f64_e32 v[38:39], v[20:21], v[56:57]
	;; [unrolled: 2-line block ×4, first 2 shown]
	global_load_dwordx4 v[10:13], v[68:69], off offset:176
	global_load_dwordx4 v[16:19], v[68:69], off offset:160
	;; [unrolled: 1-line block ×4, first 2 shown]
	s_waitcnt vmcnt(3)
	v_fmac_f64_e32 v[62:63], v[10:11], v[50:51]
	s_waitcnt vmcnt(2)
	v_fmac_f64_e32 v[60:61], v[16:17], v[50:51]
	;; [unrolled: 2-line block ×4, first 2 shown]
	v_fmac_f64_e32 v[40:41], v[44:45], v[50:51]
	v_fmac_f64_e32 v[38:39], v[22:23], v[50:51]
	v_fmac_f64_e32 v[30:31], v[18:19], v[50:51]
	v_fmac_f64_e32 v[28:29], v[12:13], v[50:51]
	v_fma_f64 v[24:25], -v[44:45], v[52:53], v[24:25]
	v_fmac_f64_e32 v[40:41], v[42:43], v[52:53]
	v_fma_f64 v[54:55], -v[22:23], v[52:53], v[58:59]
	v_fmac_f64_e32 v[38:39], v[20:21], v[52:53]
	;; [unrolled: 2-line block ×4, first 2 shown]
	global_load_dwordx4 v[20:23], v[68:69], off offset:240
	global_load_dwordx4 v[42:45], v[68:69], off offset:224
	;; [unrolled: 1-line block ×4, first 2 shown]
	global_load_dword v1, v[14:15], off
	s_waitcnt vmcnt(4)
	v_fmac_f64_e32 v[28:29], v[22:23], v[46:47]
	v_fmac_f64_e32 v[58:59], v[20:21], v[46:47]
	s_waitcnt vmcnt(2)
	v_fmac_f64_e32 v[54:55], v[16:17], v[46:47]
	v_fmac_f64_e32 v[28:29], v[20:21], v[48:49]
	s_waitcnt vmcnt(0)
	v_subrev_u32_e32 v1, s12, v1
	v_lshlrev_b32_e32 v20, 2, v1
	v_fma_f64 v[12:13], -v[18:19], v[48:49], v[54:55]
	v_add_co_u32_e32 v54, vcc, s24, v36
	v_ashrrev_i32_e32 v21, 31, v20
	v_fmac_f64_e32 v[24:25], v[50:51], v[46:47]
	v_fmac_f64_e32 v[40:41], v[52:53], v[46:47]
	;; [unrolled: 1-line block ×5, first 2 shown]
	v_addc_co_u32_e32 v55, vcc, 0, v37, vcc
	v_lshl_add_u64 v[20:21], v[20:21], 4, s[4:5]
	v_fma_f64 v[10:11], -v[52:53], v[48:49], v[24:25]
	v_fmac_f64_e32 v[40:41], v[50:51], v[48:49]
	v_fmac_f64_e32 v[38:39], v[16:17], v[48:49]
	v_fma_f64 v[16:17], -v[44:45], v[48:49], v[56:57]
	v_fmac_f64_e32 v[30:31], v[42:43], v[48:49]
	v_fma_f64 v[18:19], -v[22:23], v[48:49], v[58:59]
	global_load_dwordx4 v[22:25], v[54:55], off
	global_load_dwordx4 v[42:45], v[70:71], off offset:48
	global_load_dwordx4 v[46:49], v[70:71], off offset:32
	;; [unrolled: 1-line block ×3, first 2 shown]
	s_nop 0
	global_load_dwordx4 v[54:57], v[20:21], off offset:48
	global_load_dwordx4 v[58:61], v[20:21], off offset:32
	;; [unrolled: 1-line block ×3, first 2 shown]
	global_load_dwordx4 v[66:69], v[20:21], off
	s_waitcnt vmcnt(0)
	v_fmac_f64_e32 v[10:11], v[22:23], v[66:67]
	v_fmac_f64_e32 v[40:41], v[24:25], v[66:67]
	;; [unrolled: 1-line block ×8, first 2 shown]
	v_fma_f64 v[72:73], -v[24:25], v[68:69], v[10:11]
	v_fmac_f64_e32 v[40:41], v[22:23], v[68:69]
	v_fma_f64 v[24:25], -v[52:53], v[68:69], v[12:13]
	v_fmac_f64_e32 v[38:39], v[50:51], v[68:69]
	;; [unrolled: 2-line block ×4, first 2 shown]
	global_load_dwordx4 v[10:13], v[70:71], off offset:112
	global_load_dwordx4 v[16:19], v[70:71], off offset:96
	;; [unrolled: 1-line block ×4, first 2 shown]
	s_waitcnt vmcnt(3)
	v_fmac_f64_e32 v[46:47], v[10:11], v[62:63]
	s_waitcnt vmcnt(2)
	v_fmac_f64_e32 v[50:51], v[16:17], v[62:63]
	;; [unrolled: 2-line block ×4, first 2 shown]
	v_fmac_f64_e32 v[40:41], v[44:45], v[62:63]
	v_fmac_f64_e32 v[38:39], v[22:23], v[62:63]
	;; [unrolled: 1-line block ×4, first 2 shown]
	v_fma_f64 v[48:49], -v[44:45], v[64:65], v[72:73]
	v_fmac_f64_e32 v[40:41], v[42:43], v[64:65]
	v_fma_f64 v[24:25], -v[22:23], v[64:65], v[24:25]
	v_fmac_f64_e32 v[38:39], v[20:21], v[64:65]
	;; [unrolled: 2-line block ×4, first 2 shown]
	global_load_dwordx4 v[10:13], v[70:71], off offset:176
	global_load_dwordx4 v[16:19], v[70:71], off offset:160
	;; [unrolled: 1-line block ×4, first 2 shown]
	s_waitcnt vmcnt(3)
	v_fmac_f64_e32 v[46:47], v[10:11], v[58:59]
	s_waitcnt vmcnt(2)
	v_fmac_f64_e32 v[50:51], v[16:17], v[58:59]
	s_waitcnt vmcnt(1)
	v_fmac_f64_e32 v[24:25], v[20:21], v[58:59]
	s_waitcnt vmcnt(0)
	v_fmac_f64_e32 v[48:49], v[42:43], v[58:59]
	v_fmac_f64_e32 v[40:41], v[44:45], v[58:59]
	v_fmac_f64_e32 v[38:39], v[22:23], v[58:59]
	;; [unrolled: 1-line block ×3, first 2 shown]
	v_fma_f64 v[52:53], -v[44:45], v[60:61], v[48:49]
	v_fmac_f64_e32 v[40:41], v[42:43], v[60:61]
	v_fma_f64 v[24:25], -v[22:23], v[60:61], v[24:25]
	v_fmac_f64_e32 v[38:39], v[20:21], v[60:61]
	;; [unrolled: 2-line block ×3, first 2 shown]
	v_fma_f64 v[62:63], -v[12:13], v[60:61], v[46:47]
	global_load_dwordx4 v[20:23], v[70:71], off offset:240
	global_load_dwordx4 v[42:45], v[70:71], off offset:224
	;; [unrolled: 1-line block ×4, first 2 shown]
	global_load_dword v1, v[14:15], off offset:128
	v_fmac_f64_e32 v[28:29], v[12:13], v[58:59]
	v_fmac_f64_e32 v[28:29], v[10:11], v[60:61]
	v_lshl_add_u64 v[70:71], v[36:37], 0, s[16:17]
	v_lshl_add_u64 v[14:15], v[14:15], 0, s[20:21]
	s_waitcnt vmcnt(4)
	v_fmac_f64_e32 v[62:63], v[20:21], v[54:55]
	s_waitcnt vmcnt(3)
	v_fmac_f64_e32 v[50:51], v[42:43], v[54:55]
	;; [unrolled: 2-line block ×3, first 2 shown]
	v_fma_f64 v[12:13], -v[18:19], v[56:57], v[24:25]
	s_waitcnt vmcnt(0)
	v_subrev_u32_e32 v1, s12, v1
	v_lshlrev_b32_e32 v24, 2, v1
	v_fmac_f64_e32 v[52:53], v[46:47], v[54:55]
	v_fmac_f64_e32 v[40:41], v[48:49], v[54:55]
	;; [unrolled: 1-line block ×5, first 2 shown]
	v_add_co_u32_e32 v54, vcc, s25, v36
	v_ashrrev_i32_e32 v25, 31, v24
	s_nop 0
	v_addc_co_u32_e32 v55, vcc, 0, v37, vcc
	v_lshl_add_u64 v[24:25], v[24:25], 4, s[4:5]
	v_fma_f64 v[10:11], -v[48:49], v[56:57], v[52:53]
	v_fmac_f64_e32 v[40:41], v[46:47], v[56:57]
	v_fmac_f64_e32 v[38:39], v[16:17], v[56:57]
	v_fma_f64 v[16:17], -v[44:45], v[56:57], v[50:51]
	v_fmac_f64_e32 v[30:31], v[42:43], v[56:57]
	v_fma_f64 v[18:19], -v[22:23], v[56:57], v[62:63]
	v_fmac_f64_e32 v[28:29], v[20:21], v[56:57]
	global_load_dwordx4 v[20:23], v[54:55], off
	global_load_dwordx4 v[42:45], v[70:71], off offset:48
	global_load_dwordx4 v[46:49], v[70:71], off offset:32
	;; [unrolled: 1-line block ×3, first 2 shown]
	s_nop 0
	global_load_dwordx4 v[54:57], v[24:25], off offset:48
	global_load_dwordx4 v[58:61], v[24:25], off offset:32
	;; [unrolled: 1-line block ×3, first 2 shown]
	global_load_dwordx4 v[66:69], v[24:25], off
	v_cmp_ge_i64_e32 vcc, v[32:33], v[34:35]
	v_lshl_add_u64 v[36:37], v[36:37], 0, s[22:23]
	s_or_b64 s[8:9], vcc, s[8:9]
	s_waitcnt vmcnt(0)
	v_fmac_f64_e32 v[10:11], v[20:21], v[66:67]
	v_fmac_f64_e32 v[40:41], v[22:23], v[66:67]
	;; [unrolled: 1-line block ×8, first 2 shown]
	v_fma_f64 v[24:25], -v[22:23], v[68:69], v[10:11]
	v_fmac_f64_e32 v[40:41], v[20:21], v[68:69]
	v_fma_f64 v[72:73], -v[52:53], v[68:69], v[12:13]
	v_fmac_f64_e32 v[38:39], v[50:51], v[68:69]
	v_fma_f64 v[50:51], -v[48:49], v[68:69], v[16:17]
	v_fmac_f64_e32 v[30:31], v[46:47], v[68:69]
	v_fma_f64 v[46:47], -v[44:45], v[68:69], v[18:19]
	v_fmac_f64_e32 v[28:29], v[42:43], v[68:69]
	global_load_dwordx4 v[10:13], v[70:71], off offset:112
	global_load_dwordx4 v[16:19], v[70:71], off offset:96
	global_load_dwordx4 v[20:23], v[70:71], off offset:80
	global_load_dwordx4 v[42:45], v[70:71], off offset:64
	s_waitcnt vmcnt(3)
	v_fmac_f64_e32 v[46:47], v[10:11], v[62:63]
	s_waitcnt vmcnt(2)
	v_fmac_f64_e32 v[50:51], v[16:17], v[62:63]
	s_waitcnt vmcnt(1)
	v_fmac_f64_e32 v[72:73], v[20:21], v[62:63]
	s_waitcnt vmcnt(0)
	v_fmac_f64_e32 v[24:25], v[42:43], v[62:63]
	v_fmac_f64_e32 v[40:41], v[44:45], v[62:63]
	v_fmac_f64_e32 v[38:39], v[22:23], v[62:63]
	v_fmac_f64_e32 v[30:31], v[18:19], v[62:63]
	v_fmac_f64_e32 v[28:29], v[12:13], v[62:63]
	v_fma_f64 v[24:25], -v[44:45], v[64:65], v[24:25]
	v_fmac_f64_e32 v[40:41], v[42:43], v[64:65]
	v_fma_f64 v[48:49], -v[22:23], v[64:65], v[72:73]
	v_fmac_f64_e32 v[38:39], v[20:21], v[64:65]
	v_fma_f64 v[50:51], -v[18:19], v[64:65], v[50:51]
	v_fmac_f64_e32 v[30:31], v[16:17], v[64:65]
	v_fma_f64 v[46:47], -v[12:13], v[64:65], v[46:47]
	v_fmac_f64_e32 v[28:29], v[10:11], v[64:65]
	global_load_dwordx4 v[10:13], v[70:71], off offset:176
	global_load_dwordx4 v[16:19], v[70:71], off offset:160
	global_load_dwordx4 v[20:23], v[70:71], off offset:144
	global_load_dwordx4 v[42:45], v[70:71], off offset:128
	s_waitcnt vmcnt(3)
	v_fmac_f64_e32 v[46:47], v[10:11], v[58:59]
	s_waitcnt vmcnt(2)
	v_fmac_f64_e32 v[50:51], v[16:17], v[58:59]
	s_waitcnt vmcnt(1)
	v_fmac_f64_e32 v[48:49], v[20:21], v[58:59]
	s_waitcnt vmcnt(0)
	v_fmac_f64_e32 v[24:25], v[42:43], v[58:59]
	v_fmac_f64_e32 v[40:41], v[44:45], v[58:59]
	v_fmac_f64_e32 v[38:39], v[22:23], v[58:59]
	v_fmac_f64_e32 v[30:31], v[18:19], v[58:59]
	v_fmac_f64_e32 v[28:29], v[12:13], v[58:59]
	;; [unrolled: 24-line block ×3, first 2 shown]
	v_fma_f64 v[48:49], -v[44:45], v[56:57], v[24:25]
	v_fmac_f64_e32 v[40:41], v[42:43], v[56:57]
	v_fma_f64 v[46:47], -v[22:23], v[56:57], v[52:53]
	v_fmac_f64_e32 v[38:39], v[20:21], v[56:57]
	;; [unrolled: 2-line block ×4, first 2 shown]
	s_andn2_b64 exec, exec, s[8:9]
	s_cbranch_execnz .LBB38_31
; %bb.32:
	s_or_b64 exec, exec, s[8:9]
.LBB38_33:
	s_or_b64 exec, exec, s[2:3]
.LBB38_34:
	s_or_b64 exec, exec, s[6:7]
.LBB38_35:
	v_mov_b32_dpp v22, v38 row_shr:1 row_mask:0xf bank_mask:0xf
	v_mov_b32_dpp v23, v39 row_shr:1 row_mask:0xf bank_mask:0xf
	v_add_f64 v[22:23], v[38:39], v[22:23]
	v_mov_b32_dpp v38, v42 row_shr:1 row_mask:0xf bank_mask:0xf
	v_mov_b32_dpp v39, v43 row_shr:1 row_mask:0xf bank_mask:0xf
	;; [unrolled: 1-line block ×12, first 2 shown]
	v_add_f64 v[38:39], v[42:43], v[38:39]
	v_mov_b32_dpp v42, v28 row_shr:1 row_mask:0xf bank_mask:0xf
	v_mov_b32_dpp v43, v29 row_shr:1 row_mask:0xf bank_mask:0xf
	v_add_f64 v[10:11], v[48:49], v[10:11]
	v_add_f64 v[14:15], v[40:41], v[14:15]
	v_add_f64 v[18:19], v[46:47], v[18:19]
	v_add_f64 v[32:33], v[44:45], v[32:33]
	v_add_f64 v[30:31], v[30:31], v[36:37]
	v_add_f64 v[28:29], v[28:29], v[42:43]
	v_mov_b32_dpp v12, v10 row_shr:2 row_mask:0xf bank_mask:0xf
	v_mov_b32_dpp v13, v11 row_shr:2 row_mask:0xf bank_mask:0xf
	v_mov_b32_dpp v16, v14 row_shr:2 row_mask:0xf bank_mask:0xf
	v_mov_b32_dpp v17, v15 row_shr:2 row_mask:0xf bank_mask:0xf
	v_mov_b32_dpp v20, v18 row_shr:2 row_mask:0xf bank_mask:0xf
	v_mov_b32_dpp v21, v19 row_shr:2 row_mask:0xf bank_mask:0xf
	v_mov_b32_dpp v24, v22 row_shr:2 row_mask:0xf bank_mask:0xf
	v_mov_b32_dpp v25, v23 row_shr:2 row_mask:0xf bank_mask:0xf
	v_mov_b32_dpp v34, v32 row_shr:2 row_mask:0xf bank_mask:0xf
	v_mov_b32_dpp v35, v33 row_shr:2 row_mask:0xf bank_mask:0xf
	v_mov_b32_dpp v36, v30 row_shr:2 row_mask:0xf bank_mask:0xf
	v_mov_b32_dpp v37, v31 row_shr:2 row_mask:0xf bank_mask:0xf
	v_mov_b32_dpp v40, v38 row_shr:2 row_mask:0xf bank_mask:0xf
	v_mov_b32_dpp v41, v39 row_shr:2 row_mask:0xf bank_mask:0xf
	v_mov_b32_dpp v42, v28 row_shr:2 row_mask:0xf bank_mask:0xf
	v_mov_b32_dpp v43, v29 row_shr:2 row_mask:0xf bank_mask:0xf
	v_add_f64 v[10:11], v[10:11], v[12:13]
	v_add_f64 v[14:15], v[14:15], v[16:17]
	v_add_f64 v[18:19], v[18:19], v[20:21]
	v_add_f64 v[22:23], v[22:23], v[24:25]
	v_add_f64 v[32:33], v[32:33], v[34:35]
	v_add_f64 v[30:31], v[30:31], v[36:37]
	v_add_f64 v[38:39], v[38:39], v[40:41]
	v_add_f64 v[28:29], v[28:29], v[42:43]
	v_mov_b32_dpp v12, v10 row_shr:4 row_mask:0xf bank_mask:0xe
	v_mov_b32_dpp v13, v11 row_shr:4 row_mask:0xf bank_mask:0xe
	v_mov_b32_dpp v16, v14 row_shr:4 row_mask:0xf bank_mask:0xe
	v_mov_b32_dpp v17, v15 row_shr:4 row_mask:0xf bank_mask:0xe
	v_mov_b32_dpp v20, v18 row_shr:4 row_mask:0xf bank_mask:0xe
	v_mov_b32_dpp v21, v19 row_shr:4 row_mask:0xf bank_mask:0xe
	v_mov_b32_dpp v24, v22 row_shr:4 row_mask:0xf bank_mask:0xe
	v_mov_b32_dpp v25, v23 row_shr:4 row_mask:0xf bank_mask:0xe
	v_mov_b32_dpp v34, v32 row_shr:4 row_mask:0xf bank_mask:0xe
	v_mov_b32_dpp v35, v33 row_shr:4 row_mask:0xf bank_mask:0xe
	v_mov_b32_dpp v36, v30 row_shr:4 row_mask:0xf bank_mask:0xe
	v_mov_b32_dpp v37, v31 row_shr:4 row_mask:0xf bank_mask:0xe
	v_mov_b32_dpp v40, v38 row_shr:4 row_mask:0xf bank_mask:0xe
	v_mov_b32_dpp v41, v39 row_shr:4 row_mask:0xf bank_mask:0xe
	v_mov_b32_dpp v42, v28 row_shr:4 row_mask:0xf bank_mask:0xe
	v_mov_b32_dpp v43, v29 row_shr:4 row_mask:0xf bank_mask:0xe
	v_add_f64 v[10:11], v[10:11], v[12:13]
	v_add_f64 v[14:15], v[14:15], v[16:17]
	;; [unrolled: 24-line block ×3, first 2 shown]
	v_add_f64 v[18:19], v[18:19], v[20:21]
	v_add_f64 v[22:23], v[22:23], v[24:25]
	;; [unrolled: 1-line block ×6, first 2 shown]
	v_mov_b32_dpp v12, v10 row_bcast:15 row_mask:0xa bank_mask:0xf
	v_mov_b32_dpp v13, v11 row_bcast:15 row_mask:0xa bank_mask:0xf
	v_mov_b32_dpp v16, v14 row_bcast:15 row_mask:0xa bank_mask:0xf
	v_mov_b32_dpp v17, v15 row_bcast:15 row_mask:0xa bank_mask:0xf
	v_mov_b32_dpp v20, v18 row_bcast:15 row_mask:0xa bank_mask:0xf
	v_mov_b32_dpp v21, v19 row_bcast:15 row_mask:0xa bank_mask:0xf
	v_mov_b32_dpp v24, v22 row_bcast:15 row_mask:0xa bank_mask:0xf
	v_mov_b32_dpp v25, v23 row_bcast:15 row_mask:0xa bank_mask:0xf
	v_mov_b32_dpp v34, v32 row_bcast:15 row_mask:0xa bank_mask:0xf
	v_mov_b32_dpp v35, v33 row_bcast:15 row_mask:0xa bank_mask:0xf
	v_mov_b32_dpp v36, v30 row_bcast:15 row_mask:0xa bank_mask:0xf
	v_mov_b32_dpp v37, v31 row_bcast:15 row_mask:0xa bank_mask:0xf
	v_mov_b32_dpp v40, v38 row_bcast:15 row_mask:0xa bank_mask:0xf
	v_mov_b32_dpp v41, v39 row_bcast:15 row_mask:0xa bank_mask:0xf
	v_mov_b32_dpp v42, v28 row_bcast:15 row_mask:0xa bank_mask:0xf
	v_mov_b32_dpp v43, v29 row_bcast:15 row_mask:0xa bank_mask:0xf
	v_cmp_eq_u32_e32 vcc, 31, v0
	s_and_b64 exec, exec, vcc
	s_cbranch_execz .LBB38_8
; %bb.36:
	s_load_dwordx2 s[2:3], s[0:1], 0x60
	v_add_f64 v[0:1], v[10:11], v[12:13]
	v_add_f64 v[10:11], v[14:15], v[16:17]
	v_add_f64 v[12:13], v[22:23], v[24:25]
	v_add_f64 v[16:17], v[30:31], v[36:37]
	v_add_f64 v[28:29], v[28:29], v[42:43]
	v_add_f64 v[44:45], v[18:19], v[20:21]
	v_add_f64 v[32:33], v[32:33], v[34:35]
	v_add_f64 v[30:31], v[38:39], v[40:41]
	v_cmp_eq_f64_e32 vcc, 0, v[2:3]
	v_cmp_eq_f64_e64 s[0:1], 0, v[4:5]
	v_mul_f64 v[22:23], v[10:11], -v[8:9]
	v_mul_f64 v[24:25], v[6:7], v[10:11]
	v_mul_f64 v[18:19], v[12:13], -v[8:9]
	v_mul_f64 v[20:21], v[6:7], v[12:13]
	v_mul_f64 v[14:15], v[16:17], -v[8:9]
	v_mul_f64 v[16:17], v[6:7], v[16:17]
	v_mul_f64 v[10:11], v[28:29], -v[8:9]
	v_mul_f64 v[12:13], v[6:7], v[28:29]
	s_and_b64 s[0:1], vcc, s[0:1]
	v_fmac_f64_e32 v[22:23], v[6:7], v[0:1]
	v_fmac_f64_e32 v[24:25], v[8:9], v[0:1]
	v_lshlrev_b32_e32 v0, 2, v26
	v_fmac_f64_e32 v[18:19], v[6:7], v[44:45]
	v_fmac_f64_e32 v[20:21], v[8:9], v[44:45]
	v_fmac_f64_e32 v[14:15], v[6:7], v[32:33]
	v_fmac_f64_e32 v[16:17], v[8:9], v[32:33]
	v_fmac_f64_e32 v[10:11], v[6:7], v[30:31]
	v_fmac_f64_e32 v[12:13], v[8:9], v[30:31]
	s_waitcnt lgkmcnt(0)
	s_and_saveexec_b64 s[4:5], s[0:1]
	s_xor_b64 s[0:1], exec, s[4:5]
	s_cbranch_execz .LBB38_38
; %bb.37:
	v_ashrrev_i32_e32 v1, 31, v0
	v_lshl_add_u64 v[0:1], v[0:1], 4, s[2:3]
	global_store_dwordx4 v[0:1], v[22:25], off
	global_store_dwordx4 v[0:1], v[18:21], off offset:16
	global_store_dwordx4 v[0:1], v[14:17], off offset:32
	;; [unrolled: 1-line block ×3, first 2 shown]
                                        ; implicit-def: $vgpr4_vgpr5
                                        ; implicit-def: $vgpr22_vgpr23
                                        ; implicit-def: $vgpr0
                                        ; implicit-def: $vgpr18_vgpr19
                                        ; implicit-def: $vgpr14_vgpr15
                                        ; implicit-def: $vgpr10_vgpr11
.LBB38_38:
	s_andn2_saveexec_b64 s[0:1], s[0:1]
	s_cbranch_execz .LBB38_8
; %bb.39:
	v_ashrrev_i32_e32 v1, 31, v0
	v_lshl_add_u64 v[0:1], v[0:1], 4, s[2:3]
	global_load_dwordx4 v[6:9], v[0:1], off
	global_load_dwordx4 v[26:29], v[0:1], off offset:16
	global_load_dwordx4 v[30:33], v[0:1], off offset:32
	;; [unrolled: 1-line block ×3, first 2 shown]
	s_waitcnt vmcnt(3)
	v_fmac_f64_e32 v[22:23], v[2:3], v[6:7]
	v_fmac_f64_e32 v[24:25], v[4:5], v[6:7]
	s_waitcnt vmcnt(2)
	v_fmac_f64_e32 v[18:19], v[2:3], v[26:27]
	v_fmac_f64_e32 v[20:21], v[4:5], v[26:27]
	;; [unrolled: 3-line block ×4, first 2 shown]
	v_fma_f64 v[22:23], -v[4:5], v[8:9], v[22:23]
	v_fmac_f64_e32 v[24:25], v[2:3], v[8:9]
	v_fma_f64 v[18:19], -v[4:5], v[28:29], v[18:19]
	v_fmac_f64_e32 v[20:21], v[2:3], v[28:29]
	;; [unrolled: 2-line block ×4, first 2 shown]
	global_store_dwordx4 v[0:1], v[22:25], off
	global_store_dwordx4 v[0:1], v[18:21], off offset:16
	global_store_dwordx4 v[0:1], v[14:17], off offset:32
	;; [unrolled: 1-line block ×3, first 2 shown]
	s_endpgm
	.section	.rodata,"a",@progbits
	.p2align	6, 0x0
	.amdhsa_kernel _ZN9rocsparseL18bsrxmvn_4x4_kernelILj128ELj32E21rocsparse_complex_numIdEliS2_S2_S2_EEvT3_20rocsparse_direction_NS_24const_host_device_scalarIT1_EES3_PKS3_PKT2_SC_S9_PKT4_PKT5_S7_PT6_21rocsparse_index_base_b
		.amdhsa_group_segment_fixed_size 0
		.amdhsa_private_segment_fixed_size 0
		.amdhsa_kernarg_size 112
		.amdhsa_user_sgpr_count 2
		.amdhsa_user_sgpr_dispatch_ptr 0
		.amdhsa_user_sgpr_queue_ptr 0
		.amdhsa_user_sgpr_kernarg_segment_ptr 1
		.amdhsa_user_sgpr_dispatch_id 0
		.amdhsa_user_sgpr_kernarg_preload_length 0
		.amdhsa_user_sgpr_kernarg_preload_offset 0
		.amdhsa_user_sgpr_private_segment_size 0
		.amdhsa_uses_dynamic_stack 0
		.amdhsa_enable_private_segment 0
		.amdhsa_system_sgpr_workgroup_id_x 1
		.amdhsa_system_sgpr_workgroup_id_y 0
		.amdhsa_system_sgpr_workgroup_id_z 0
		.amdhsa_system_sgpr_workgroup_info 0
		.amdhsa_system_vgpr_workitem_id 0
		.amdhsa_next_free_vgpr 128
		.amdhsa_next_free_sgpr 30
		.amdhsa_accum_offset 128
		.amdhsa_reserve_vcc 1
		.amdhsa_float_round_mode_32 0
		.amdhsa_float_round_mode_16_64 0
		.amdhsa_float_denorm_mode_32 3
		.amdhsa_float_denorm_mode_16_64 3
		.amdhsa_dx10_clamp 1
		.amdhsa_ieee_mode 1
		.amdhsa_fp16_overflow 0
		.amdhsa_tg_split 0
		.amdhsa_exception_fp_ieee_invalid_op 0
		.amdhsa_exception_fp_denorm_src 0
		.amdhsa_exception_fp_ieee_div_zero 0
		.amdhsa_exception_fp_ieee_overflow 0
		.amdhsa_exception_fp_ieee_underflow 0
		.amdhsa_exception_fp_ieee_inexact 0
		.amdhsa_exception_int_div_zero 0
	.end_amdhsa_kernel
	.section	.text._ZN9rocsparseL18bsrxmvn_4x4_kernelILj128ELj32E21rocsparse_complex_numIdEliS2_S2_S2_EEvT3_20rocsparse_direction_NS_24const_host_device_scalarIT1_EES3_PKS3_PKT2_SC_S9_PKT4_PKT5_S7_PT6_21rocsparse_index_base_b,"axG",@progbits,_ZN9rocsparseL18bsrxmvn_4x4_kernelILj128ELj32E21rocsparse_complex_numIdEliS2_S2_S2_EEvT3_20rocsparse_direction_NS_24const_host_device_scalarIT1_EES3_PKS3_PKT2_SC_S9_PKT4_PKT5_S7_PT6_21rocsparse_index_base_b,comdat
.Lfunc_end38:
	.size	_ZN9rocsparseL18bsrxmvn_4x4_kernelILj128ELj32E21rocsparse_complex_numIdEliS2_S2_S2_EEvT3_20rocsparse_direction_NS_24const_host_device_scalarIT1_EES3_PKS3_PKT2_SC_S9_PKT4_PKT5_S7_PT6_21rocsparse_index_base_b, .Lfunc_end38-_ZN9rocsparseL18bsrxmvn_4x4_kernelILj128ELj32E21rocsparse_complex_numIdEliS2_S2_S2_EEvT3_20rocsparse_direction_NS_24const_host_device_scalarIT1_EES3_PKS3_PKT2_SC_S9_PKT4_PKT5_S7_PT6_21rocsparse_index_base_b
                                        ; -- End function
	.set _ZN9rocsparseL18bsrxmvn_4x4_kernelILj128ELj32E21rocsparse_complex_numIdEliS2_S2_S2_EEvT3_20rocsparse_direction_NS_24const_host_device_scalarIT1_EES3_PKS3_PKT2_SC_S9_PKT4_PKT5_S7_PT6_21rocsparse_index_base_b.num_vgpr, 128
	.set _ZN9rocsparseL18bsrxmvn_4x4_kernelILj128ELj32E21rocsparse_complex_numIdEliS2_S2_S2_EEvT3_20rocsparse_direction_NS_24const_host_device_scalarIT1_EES3_PKS3_PKT2_SC_S9_PKT4_PKT5_S7_PT6_21rocsparse_index_base_b.num_agpr, 0
	.set _ZN9rocsparseL18bsrxmvn_4x4_kernelILj128ELj32E21rocsparse_complex_numIdEliS2_S2_S2_EEvT3_20rocsparse_direction_NS_24const_host_device_scalarIT1_EES3_PKS3_PKT2_SC_S9_PKT4_PKT5_S7_PT6_21rocsparse_index_base_b.numbered_sgpr, 30
	.set _ZN9rocsparseL18bsrxmvn_4x4_kernelILj128ELj32E21rocsparse_complex_numIdEliS2_S2_S2_EEvT3_20rocsparse_direction_NS_24const_host_device_scalarIT1_EES3_PKS3_PKT2_SC_S9_PKT4_PKT5_S7_PT6_21rocsparse_index_base_b.num_named_barrier, 0
	.set _ZN9rocsparseL18bsrxmvn_4x4_kernelILj128ELj32E21rocsparse_complex_numIdEliS2_S2_S2_EEvT3_20rocsparse_direction_NS_24const_host_device_scalarIT1_EES3_PKS3_PKT2_SC_S9_PKT4_PKT5_S7_PT6_21rocsparse_index_base_b.private_seg_size, 0
	.set _ZN9rocsparseL18bsrxmvn_4x4_kernelILj128ELj32E21rocsparse_complex_numIdEliS2_S2_S2_EEvT3_20rocsparse_direction_NS_24const_host_device_scalarIT1_EES3_PKS3_PKT2_SC_S9_PKT4_PKT5_S7_PT6_21rocsparse_index_base_b.uses_vcc, 1
	.set _ZN9rocsparseL18bsrxmvn_4x4_kernelILj128ELj32E21rocsparse_complex_numIdEliS2_S2_S2_EEvT3_20rocsparse_direction_NS_24const_host_device_scalarIT1_EES3_PKS3_PKT2_SC_S9_PKT4_PKT5_S7_PT6_21rocsparse_index_base_b.uses_flat_scratch, 0
	.set _ZN9rocsparseL18bsrxmvn_4x4_kernelILj128ELj32E21rocsparse_complex_numIdEliS2_S2_S2_EEvT3_20rocsparse_direction_NS_24const_host_device_scalarIT1_EES3_PKS3_PKT2_SC_S9_PKT4_PKT5_S7_PT6_21rocsparse_index_base_b.has_dyn_sized_stack, 0
	.set _ZN9rocsparseL18bsrxmvn_4x4_kernelILj128ELj32E21rocsparse_complex_numIdEliS2_S2_S2_EEvT3_20rocsparse_direction_NS_24const_host_device_scalarIT1_EES3_PKS3_PKT2_SC_S9_PKT4_PKT5_S7_PT6_21rocsparse_index_base_b.has_recursion, 0
	.set _ZN9rocsparseL18bsrxmvn_4x4_kernelILj128ELj32E21rocsparse_complex_numIdEliS2_S2_S2_EEvT3_20rocsparse_direction_NS_24const_host_device_scalarIT1_EES3_PKS3_PKT2_SC_S9_PKT4_PKT5_S7_PT6_21rocsparse_index_base_b.has_indirect_call, 0
	.section	.AMDGPU.csdata,"",@progbits
; Kernel info:
; codeLenInByte = 8376
; TotalNumSgprs: 36
; NumVgprs: 128
; NumAgprs: 0
; TotalNumVgprs: 128
; ScratchSize: 0
; MemoryBound: 1
; FloatMode: 240
; IeeeMode: 1
; LDSByteSize: 0 bytes/workgroup (compile time only)
; SGPRBlocks: 4
; VGPRBlocks: 15
; NumSGPRsForWavesPerEU: 36
; NumVGPRsForWavesPerEU: 128
; AccumOffset: 128
; Occupancy: 4
; WaveLimiterHint : 1
; COMPUTE_PGM_RSRC2:SCRATCH_EN: 0
; COMPUTE_PGM_RSRC2:USER_SGPR: 2
; COMPUTE_PGM_RSRC2:TRAP_HANDLER: 0
; COMPUTE_PGM_RSRC2:TGID_X_EN: 1
; COMPUTE_PGM_RSRC2:TGID_Y_EN: 0
; COMPUTE_PGM_RSRC2:TGID_Z_EN: 0
; COMPUTE_PGM_RSRC2:TIDIG_COMP_CNT: 0
; COMPUTE_PGM_RSRC3_GFX90A:ACCUM_OFFSET: 31
; COMPUTE_PGM_RSRC3_GFX90A:TG_SPLIT: 0
	.section	.text._ZN9rocsparseL18bsrxmvn_4x4_kernelILj128ELj64E21rocsparse_complex_numIdEliS2_S2_S2_EEvT3_20rocsparse_direction_NS_24const_host_device_scalarIT1_EES3_PKS3_PKT2_SC_S9_PKT4_PKT5_S7_PT6_21rocsparse_index_base_b,"axG",@progbits,_ZN9rocsparseL18bsrxmvn_4x4_kernelILj128ELj64E21rocsparse_complex_numIdEliS2_S2_S2_EEvT3_20rocsparse_direction_NS_24const_host_device_scalarIT1_EES3_PKS3_PKT2_SC_S9_PKT4_PKT5_S7_PT6_21rocsparse_index_base_b,comdat
	.globl	_ZN9rocsparseL18bsrxmvn_4x4_kernelILj128ELj64E21rocsparse_complex_numIdEliS2_S2_S2_EEvT3_20rocsparse_direction_NS_24const_host_device_scalarIT1_EES3_PKS3_PKT2_SC_S9_PKT4_PKT5_S7_PT6_21rocsparse_index_base_b ; -- Begin function _ZN9rocsparseL18bsrxmvn_4x4_kernelILj128ELj64E21rocsparse_complex_numIdEliS2_S2_S2_EEvT3_20rocsparse_direction_NS_24const_host_device_scalarIT1_EES3_PKS3_PKT2_SC_S9_PKT4_PKT5_S7_PT6_21rocsparse_index_base_b
	.p2align	8
	.type	_ZN9rocsparseL18bsrxmvn_4x4_kernelILj128ELj64E21rocsparse_complex_numIdEliS2_S2_S2_EEvT3_20rocsparse_direction_NS_24const_host_device_scalarIT1_EES3_PKS3_PKT2_SC_S9_PKT4_PKT5_S7_PT6_21rocsparse_index_base_b,@function
_ZN9rocsparseL18bsrxmvn_4x4_kernelILj128ELj64E21rocsparse_complex_numIdEliS2_S2_S2_EEvT3_20rocsparse_direction_NS_24const_host_device_scalarIT1_EES3_PKS3_PKT2_SC_S9_PKT4_PKT5_S7_PT6_21rocsparse_index_base_b: ; @_ZN9rocsparseL18bsrxmvn_4x4_kernelILj128ELj64E21rocsparse_complex_numIdEliS2_S2_S2_EEvT3_20rocsparse_direction_NS_24const_host_device_scalarIT1_EES3_PKS3_PKT2_SC_S9_PKT4_PKT5_S7_PT6_21rocsparse_index_base_b
; %bb.0:
	s_load_dwordx2 s[4:5], s[0:1], 0x8
	s_load_dwordx2 s[12:13], s[0:1], 0x68
	s_add_u32 s3, s0, 8
	s_addc_u32 s8, s1, 0
	s_add_u32 s9, s0, 0x50
	s_load_dwordx2 s[6:7], s[0:1], 0x50
	s_addc_u32 s10, s1, 0
	s_waitcnt lgkmcnt(0)
	s_bitcmp1_b32 s13, 0
	s_cselect_b32 s5, s8, s5
	s_cselect_b32 s3, s3, s4
	v_mov_b32_e32 v2, s3
	v_mov_b32_e32 v3, s5
	flat_load_dwordx4 v[6:9], v[2:3]
	s_cselect_b32 s3, s10, s7
	s_cselect_b32 s4, s9, s6
	v_mov_b32_e32 v2, s4
	v_mov_b32_e32 v3, s3
	flat_load_dwordx4 v[2:5], v[2:3]
	s_waitcnt vmcnt(0) lgkmcnt(0)
	v_cmp_eq_f64_e32 vcc, 0, v[6:7]
	v_cmp_eq_f64_e64 s[4:5], 0, v[8:9]
	s_and_b64 s[8:9], vcc, s[4:5]
	s_mov_b64 s[4:5], -1
	s_and_saveexec_b64 s[6:7], s[8:9]
; %bb.1:
	v_cmp_neq_f64_e32 vcc, 1.0, v[2:3]
	v_cmp_neq_f64_e64 s[4:5], 0, v[4:5]
	s_or_b64 s[4:5], vcc, s[4:5]
	s_orn2_b64 s[4:5], s[4:5], exec
; %bb.2:
	s_or_b64 exec, exec, s[6:7]
	s_and_saveexec_b64 s[6:7], s[4:5]
	s_cbranch_execz .LBB39_8
; %bb.3:
	s_load_dwordx2 s[4:5], s[0:1], 0x20
	s_load_dwordx2 s[14:15], s[0:1], 0x0
	v_lshrrev_b32_e32 v1, 6, v0
	v_lshl_or_b32 v26, s2, 1, v1
	s_mov_b64 s[2:3], 0
	s_waitcnt lgkmcnt(0)
	s_cmp_lg_u64 s[4:5], 0
	s_cbranch_scc0 .LBB39_9
; %bb.4:
	s_load_dword s6, s[0:1], 0x18
                                        ; implicit-def: $vgpr1
	s_waitcnt lgkmcnt(0)
	v_cmp_gt_i32_e32 vcc, s6, v26
	s_and_saveexec_b64 s[6:7], vcc
	s_xor_b64 s[6:7], exec, s[6:7]
	s_cbranch_execz .LBB39_6
; %bb.5:
	v_ashrrev_i32_e32 v27, 31, v26
	v_lshl_add_u64 v[10:11], v[26:27], 2, s[4:5]
	global_load_dword v1, v[10:11], off
	s_mov_b64 s[2:3], exec
	s_waitcnt vmcnt(0)
	v_subrev_u32_e32 v1, s12, v1
.LBB39_6:
	s_or_b64 exec, exec, s[6:7]
	s_branch .LBB39_10
.LBB39_7:
	v_cmp_gt_i32_e32 vcc, s14, v26
	s_andn2_b64 s[2:3], s[2:3], exec
	s_and_b64 s[4:5], vcc, exec
	s_or_b64 s[2:3], s[2:3], s[4:5]
	s_and_b64 exec, exec, s[2:3]
	s_cbranch_execnz .LBB39_11
.LBB39_8:
	s_endpgm
.LBB39_9:
                                        ; implicit-def: $vgpr1
	s_cbranch_execnz .LBB39_7
.LBB39_10:
	v_mov_b32_e32 v26, v1
	s_and_b64 exec, exec, s[2:3]
	s_cbranch_execz .LBB39_8
.LBB39_11:
	s_load_dwordx8 s[4:11], s[0:1], 0x28
	v_ashrrev_i32_e32 v27, 31, v26
	v_lshlrev_b64 v[10:11], 3, v[26:27]
	v_and_b32_e32 v0, 63, v0
	v_mov_b32_e32 v1, 0
	s_waitcnt lgkmcnt(0)
	v_lshl_add_u64 v[12:13], s[4:5], 0, v[10:11]
	s_cmp_eq_u64 s[6:7], 0
	v_lshl_add_u64 v[10:11], s[6:7], 0, v[10:11]
	global_load_dwordx2 v[50:51], v[12:13], off
	v_lshl_add_u64 v[12:13], v[12:13], 0, 8
	s_cselect_b64 vcc, -1, 0
	v_cndmask_b32_e32 v11, v11, v13, vcc
	v_cndmask_b32_e32 v10, v10, v12, vcc
	global_load_dwordx2 v[10:11], v[10:11], off
	s_load_dwordx2 s[4:5], s[0:1], 0x48
	s_cmp_eq_u32 s15, 1
	s_waitcnt vmcnt(1)
	v_subrev_co_u32_e32 v12, vcc, s12, v50
	s_nop 1
	v_subbrev_co_u32_e32 v13, vcc, 0, v51, vcc
	v_lshl_add_u64 v[34:35], v[12:13], 0, v[0:1]
	s_waitcnt vmcnt(0)
	v_subrev_co_u32_e32 v36, vcc, s12, v10
	s_nop 1
	v_subbrev_co_u32_e32 v37, vcc, 0, v11, vcc
	v_lshlrev_b64 v[10:11], 8, v[34:35]
	v_lshl_add_u64 v[38:39], s[10:11], 0, v[10:11]
	v_cmp_lt_i64_e64 s[2:3], v[34:35], v[36:37]
	s_cbranch_scc1 .LBB39_23
; %bb.12:
	v_mov_b64_e32 v[40:41], 0
	v_mov_b64_e32 v[48:49], 0
	;; [unrolled: 1-line block ×8, first 2 shown]
	s_and_saveexec_b64 s[6:7], s[2:3]
	s_cbranch_execz .LBB39_22
; %bb.13:
	v_or_b32_e32 v1, 64, v0
	v_subrev_co_u32_e32 v10, vcc, s12, v1
	v_not_b32_e32 v13, v51
	s_nop 0
	v_subb_co_u32_e64 v11, s[10:11], 0, 0, vcc
	v_lshl_add_u64 v[10:11], v[10:11], 0, v[50:51]
	v_cmp_gt_i64_e32 vcc, v[10:11], v[36:37]
	v_not_b32_e32 v12, v50
	v_mov_b64_e32 v[32:33], 0
	v_cndmask_b32_e32 v11, v37, v11, vcc
	v_cndmask_b32_e32 v10, v36, v10, vcc
	v_sub_co_u32_e32 v14, vcc, s12, v0
	v_mov_b64_e32 v[46:47], 0
	s_nop 0
	v_subb_co_u32_e64 v15, s[10:11], 0, 0, vcc
	v_lshl_add_u64 v[12:13], v[14:15], 0, v[12:13]
	v_lshl_add_u64 v[18:19], v[12:13], 0, v[10:11]
	v_and_b32_e32 v10, 0xc0, v18
	v_mov_b32_e32 v11, 0
	s_mov_b64 s[10:11], 0xc0
	v_cmp_ne_u64_e32 vcc, s[10:11], v[10:11]
	v_mov_b64_e32 v[30:31], 0
	v_mov_b64_e32 v[44:45], 0
	v_mov_b64_e32 v[28:29], 0
	v_mov_b64_e32 v[42:43], 0
	v_mov_b64_e32 v[48:49], 0
	v_mov_b64_e32 v[40:41], 0
	v_mov_b64_e32 v[52:53], v[38:39]
	v_mov_b64_e32 v[54:55], v[34:35]
	s_and_saveexec_b64 s[10:11], vcc
	s_cbranch_execz .LBB39_17
; %bb.14:
	v_lshrrev_b32_e32 v1, 6, v18
	v_add_u32_e32 v1, 1, v1
	v_and_b32_e32 v1, 3, v1
	v_sub_co_u32_e32 v22, vcc, 0, v1
	v_lshl_add_u64 v[20:21], v[34:35], 2, s[8:9]
	s_nop 0
	v_subb_co_u32_e64 v23, s[16:17], 0, 0, vcc
	s_mov_b64 s[14:15], 0
	v_mov_b64_e32 v[40:41], 0
	s_mov_b64 s[16:17], 0x4000
	s_mov_b64 s[18:19], 0x100
	v_mov_b64_e32 v[54:55], v[34:35]
	v_mov_b64_e32 v[52:53], v[38:39]
	;; [unrolled: 1-line block ×9, first 2 shown]
.LBB39_15:                              ; =>This Inner Loop Header: Depth=1
	global_load_dword v1, v[20:21], off
	global_load_dwordx4 v[10:13], v[52:53], off offset:16
	global_load_dwordx4 v[14:17], v[52:53], off
	global_load_dwordx4 v[56:59], v[52:53], off offset:80
	global_load_dwordx4 v[60:63], v[52:53], off offset:64
	;; [unrolled: 1-line block ×14, first 2 shown]
	v_lshl_add_u64 v[22:23], v[22:23], 0, 1
	v_cmp_eq_u64_e32 vcc, 0, v[22:23]
	v_lshl_add_u64 v[52:53], v[52:53], 0, s[16:17]
	v_lshl_add_u64 v[54:55], v[54:55], 0, 64
	v_lshl_add_u64 v[20:21], v[20:21], 0, s[18:19]
	s_or_b64 s[14:15], vcc, s[14:15]
	s_waitcnt vmcnt(16)
	v_subrev_u32_e32 v1, s12, v1
	v_lshlrev_b32_e32 v24, 2, v1
	v_ashrrev_i32_e32 v25, 31, v24
	s_waitcnt lgkmcnt(0)
	v_lshl_add_u64 v[24:25], v[24:25], 4, s[4:5]
	global_load_dwordx4 v[112:115], v[24:25], off
	global_load_dwordx4 v[116:119], v[24:25], off offset:16
	global_load_dwordx4 v[120:123], v[24:25], off offset:32
	;; [unrolled: 1-line block ×3, first 2 shown]
	s_waitcnt vmcnt(3)
	v_fmac_f64_e32 v[48:49], v[14:15], v[112:113]
	v_fmac_f64_e32 v[40:41], v[16:17], v[112:113]
	v_fmac_f64_e32 v[46:47], v[60:61], v[112:113]
	v_fmac_f64_e32 v[32:33], v[62:63], v[112:113]
	v_fmac_f64_e32 v[44:45], v[68:69], v[112:113]
	v_fmac_f64_e32 v[30:31], v[70:71], v[112:113]
	v_fmac_f64_e32 v[42:43], v[72:73], v[112:113]
	v_fmac_f64_e32 v[28:29], v[74:75], v[112:113]
	v_fma_f64 v[16:17], -v[16:17], v[114:115], v[48:49]
	v_fmac_f64_e32 v[40:41], v[14:15], v[114:115]
	v_fma_f64 v[14:15], -v[62:63], v[114:115], v[46:47]
	v_fmac_f64_e32 v[32:33], v[60:61], v[114:115]
	v_fma_f64 v[24:25], -v[70:71], v[114:115], v[44:45]
	v_fmac_f64_e32 v[30:31], v[68:69], v[114:115]
	v_fma_f64 v[42:43], -v[74:75], v[114:115], v[42:43]
	v_fmac_f64_e32 v[28:29], v[72:73], v[114:115]
	s_waitcnt vmcnt(2)
	v_fmac_f64_e32 v[16:17], v[10:11], v[116:117]
	v_fmac_f64_e32 v[40:41], v[12:13], v[116:117]
	v_fmac_f64_e32 v[14:15], v[56:57], v[116:117]
	v_fmac_f64_e32 v[32:33], v[58:59], v[116:117]
	v_fmac_f64_e32 v[24:25], v[64:65], v[116:117]
	v_fmac_f64_e32 v[30:31], v[66:67], v[116:117]
	v_fmac_f64_e32 v[42:43], v[76:77], v[116:117]
	v_fmac_f64_e32 v[28:29], v[78:79], v[116:117]
	v_fma_f64 v[12:13], -v[12:13], v[118:119], v[16:17]
	v_fmac_f64_e32 v[40:41], v[10:11], v[118:119]
	v_fma_f64 v[10:11], -v[58:59], v[118:119], v[14:15]
	v_fmac_f64_e32 v[32:33], v[56:57], v[118:119]
	v_fma_f64 v[14:15], -v[66:67], v[118:119], v[24:25]
	v_fmac_f64_e32 v[30:31], v[64:65], v[118:119]
	v_fma_f64 v[16:17], -v[78:79], v[118:119], v[42:43]
	v_fmac_f64_e32 v[28:29], v[76:77], v[118:119]
	;; [unrolled: 17-line block ×4, first 2 shown]
	s_andn2_b64 exec, exec, s[14:15]
	s_cbranch_execnz .LBB39_15
; %bb.16:
	s_or_b64 exec, exec, s[14:15]
.LBB39_17:
	s_or_b64 exec, exec, s[10:11]
	s_mov_b64 s[10:11], 0xbf
	v_cmp_lt_u64_e32 vcc, s[10:11], v[18:19]
	s_and_saveexec_b64 s[10:11], vcc
	s_cbranch_execz .LBB39_21
; %bb.18:
	v_lshl_add_u64 v[10:11], v[54:55], 2, s[8:9]
	s_mov_b64 s[14:15], 0x200
	v_lshl_add_u64 v[56:57], v[10:11], 0, s[14:15]
	s_mov_b64 s[14:15], 0
	s_mov_b64 s[16:17], 0x4000
	s_movk_i32 s13, 0x4000
	s_mov_b64 s[18:19], 0x8000
	s_mov_b32 s28, 0x8000
	s_mov_b64 s[20:21], 0xc000
	s_mov_b32 s29, 0xc000
	s_mov_b64 s[22:23], 0x100
	s_mov_b64 s[24:25], 0x400
	;; [unrolled: 1-line block ×3, first 2 shown]
.LBB39_19:                              ; =>This Inner Loop Header: Depth=1
	global_load_dword v1, v[56:57], off offset:-512
	global_load_dwordx4 v[58:61], v[52:53], off offset:48
	global_load_dwordx4 v[62:65], v[52:53], off offset:32
	;; [unrolled: 1-line block ×3, first 2 shown]
	global_load_dwordx4 v[70:73], v[52:53], off
	v_lshl_add_u64 v[78:79], v[52:53], 0, s[16:17]
	v_lshl_add_u64 v[54:55], v[54:55], 0, s[22:23]
	s_waitcnt vmcnt(4)
	v_subrev_u32_e32 v1, s12, v1
	v_lshlrev_b32_e32 v10, 2, v1
	v_ashrrev_i32_e32 v11, 31, v10
	s_waitcnt lgkmcnt(0)
	v_lshl_add_u64 v[74:75], v[10:11], 4, s[4:5]
	global_load_dwordx4 v[10:13], v[74:75], off offset:48
	global_load_dwordx4 v[14:17], v[74:75], off offset:32
	;; [unrolled: 1-line block ×3, first 2 shown]
	global_load_dwordx4 v[22:25], v[74:75], off
	s_waitcnt vmcnt(0)
	v_fmac_f64_e32 v[48:49], v[70:71], v[22:23]
	v_fmac_f64_e32 v[40:41], v[72:73], v[22:23]
	v_fma_f64 v[48:49], -v[72:73], v[24:25], v[48:49]
	v_fmac_f64_e32 v[40:41], v[70:71], v[24:25]
	v_fmac_f64_e32 v[48:49], v[66:67], v[18:19]
	v_fmac_f64_e32 v[40:41], v[68:69], v[18:19]
	v_fma_f64 v[48:49], -v[68:69], v[20:21], v[48:49]
	v_fmac_f64_e32 v[40:41], v[66:67], v[20:21]
	v_fmac_f64_e32 v[48:49], v[62:63], v[14:15]
	v_fmac_f64_e32 v[40:41], v[64:65], v[14:15]
	v_fma_f64 v[48:49], -v[64:65], v[16:17], v[48:49]
	v_fmac_f64_e32 v[40:41], v[62:63], v[16:17]
	v_fmac_f64_e32 v[48:49], v[58:59], v[10:11]
	v_fmac_f64_e32 v[40:41], v[60:61], v[10:11]
	v_fma_f64 v[48:49], -v[60:61], v[12:13], v[48:49]
	v_fmac_f64_e32 v[40:41], v[58:59], v[12:13]
	global_load_dwordx4 v[58:61], v[52:53], off offset:112
	global_load_dwordx4 v[62:65], v[52:53], off offset:96
	global_load_dwordx4 v[66:69], v[52:53], off offset:80
	global_load_dwordx4 v[70:73], v[52:53], off offset:64
	s_waitcnt vmcnt(0)
	v_fmac_f64_e32 v[46:47], v[70:71], v[22:23]
	v_fmac_f64_e32 v[32:33], v[72:73], v[22:23]
	v_fma_f64 v[46:47], -v[72:73], v[24:25], v[46:47]
	v_fmac_f64_e32 v[32:33], v[70:71], v[24:25]
	v_fmac_f64_e32 v[46:47], v[66:67], v[18:19]
	v_fmac_f64_e32 v[32:33], v[68:69], v[18:19]
	v_fma_f64 v[46:47], -v[68:69], v[20:21], v[46:47]
	v_fmac_f64_e32 v[32:33], v[66:67], v[20:21]
	v_fmac_f64_e32 v[46:47], v[62:63], v[14:15]
	v_fmac_f64_e32 v[32:33], v[64:65], v[14:15]
	v_fma_f64 v[46:47], -v[64:65], v[16:17], v[46:47]
	v_fmac_f64_e32 v[32:33], v[62:63], v[16:17]
	v_fmac_f64_e32 v[46:47], v[58:59], v[10:11]
	v_fmac_f64_e32 v[32:33], v[60:61], v[10:11]
	v_fma_f64 v[46:47], -v[60:61], v[12:13], v[46:47]
	v_fmac_f64_e32 v[32:33], v[58:59], v[12:13]
	global_load_dwordx4 v[58:61], v[52:53], off offset:176
	global_load_dwordx4 v[62:65], v[52:53], off offset:160
	global_load_dwordx4 v[66:69], v[52:53], off offset:144
	global_load_dwordx4 v[70:73], v[52:53], off offset:128
	;; [unrolled: 21-line block ×3, first 2 shown]
	global_load_dword v1, v[56:57], off offset:-256
	v_add_co_u32_e32 v44, vcc, s13, v52
	s_waitcnt vmcnt(1)
	v_fmac_f64_e32 v[42:43], v[70:71], v[22:23]
	v_fmac_f64_e32 v[28:29], v[72:73], v[22:23]
	v_fma_f64 v[42:43], -v[72:73], v[24:25], v[42:43]
	v_fmac_f64_e32 v[28:29], v[70:71], v[24:25]
	v_fmac_f64_e32 v[42:43], v[66:67], v[18:19]
	;; [unrolled: 1-line block ×3, first 2 shown]
	v_fma_f64 v[22:23], -v[68:69], v[20:21], v[42:43]
	v_fmac_f64_e32 v[28:29], v[66:67], v[20:21]
	s_waitcnt vmcnt(0)
	v_subrev_u32_e32 v1, s12, v1
	v_fmac_f64_e32 v[22:23], v[62:63], v[14:15]
	v_fmac_f64_e32 v[28:29], v[64:65], v[14:15]
	v_lshlrev_b32_e32 v42, 2, v1
	v_fma_f64 v[18:19], -v[64:65], v[16:17], v[22:23]
	v_fmac_f64_e32 v[28:29], v[62:63], v[16:17]
	v_ashrrev_i32_e32 v43, 31, v42
	v_fmac_f64_e32 v[18:19], v[58:59], v[10:11]
	v_fmac_f64_e32 v[28:29], v[60:61], v[10:11]
	v_addc_co_u32_e32 v45, vcc, 0, v53, vcc
	v_lshl_add_u64 v[70:71], v[42:43], 4, s[4:5]
	v_fma_f64 v[76:77], -v[60:61], v[12:13], v[18:19]
	v_fmac_f64_e32 v[28:29], v[58:59], v[12:13]
	global_load_dwordx4 v[10:13], v[44:45], off
	global_load_dwordx4 v[14:17], v[78:79], off offset:48
	global_load_dwordx4 v[18:21], v[78:79], off offset:32
	;; [unrolled: 1-line block ×3, first 2 shown]
	s_nop 0
	global_load_dwordx4 v[42:45], v[70:71], off offset:48
	global_load_dwordx4 v[58:61], v[70:71], off offset:32
	;; [unrolled: 1-line block ×3, first 2 shown]
	global_load_dwordx4 v[66:69], v[70:71], off
	s_waitcnt vmcnt(0)
	v_fmac_f64_e32 v[48:49], v[10:11], v[66:67]
	v_fmac_f64_e32 v[40:41], v[12:13], v[66:67]
	v_fma_f64 v[48:49], -v[12:13], v[68:69], v[48:49]
	v_fmac_f64_e32 v[40:41], v[10:11], v[68:69]
	v_fmac_f64_e32 v[48:49], v[22:23], v[62:63]
	v_fmac_f64_e32 v[40:41], v[24:25], v[62:63]
	v_fma_f64 v[10:11], -v[24:25], v[64:65], v[48:49]
	v_fmac_f64_e32 v[40:41], v[22:23], v[64:65]
	v_fmac_f64_e32 v[10:11], v[18:19], v[58:59]
	v_fmac_f64_e32 v[40:41], v[20:21], v[58:59]
	v_fma_f64 v[10:11], -v[20:21], v[60:61], v[10:11]
	v_fmac_f64_e32 v[40:41], v[18:19], v[60:61]
	v_fmac_f64_e32 v[10:11], v[14:15], v[42:43]
	v_fmac_f64_e32 v[40:41], v[16:17], v[42:43]
	v_fma_f64 v[10:11], -v[16:17], v[44:45], v[10:11]
	v_fmac_f64_e32 v[40:41], v[14:15], v[44:45]
	global_load_dwordx4 v[14:17], v[78:79], off offset:112
	global_load_dwordx4 v[18:21], v[78:79], off offset:96
	;; [unrolled: 1-line block ×4, first 2 shown]
	s_waitcnt vmcnt(0)
	v_fmac_f64_e32 v[46:47], v[70:71], v[66:67]
	v_fma_f64 v[12:13], -v[72:73], v[68:69], v[46:47]
	v_fmac_f64_e32 v[32:33], v[72:73], v[66:67]
	v_fmac_f64_e32 v[32:33], v[70:71], v[68:69]
	v_fmac_f64_e32 v[12:13], v[22:23], v[62:63]
	v_fma_f64 v[12:13], -v[24:25], v[64:65], v[12:13]
	v_fmac_f64_e32 v[32:33], v[24:25], v[62:63]
	v_fmac_f64_e32 v[32:33], v[22:23], v[64:65]
	;; [unrolled: 4-line block ×3, first 2 shown]
	v_fmac_f64_e32 v[12:13], v[14:15], v[42:43]
	v_fma_f64 v[12:13], -v[16:17], v[44:45], v[12:13]
	v_fmac_f64_e32 v[32:33], v[16:17], v[42:43]
	global_load_dwordx4 v[16:19], v[78:79], off offset:176
	global_load_dwordx4 v[20:23], v[78:79], off offset:160
	;; [unrolled: 1-line block ×4, first 2 shown]
	v_fmac_f64_e32 v[32:33], v[14:15], v[44:45]
	s_waitcnt vmcnt(0)
	v_fmac_f64_e32 v[74:75], v[70:71], v[66:67]
	v_fma_f64 v[14:15], -v[72:73], v[68:69], v[74:75]
	v_fmac_f64_e32 v[30:31], v[72:73], v[66:67]
	v_fmac_f64_e32 v[30:31], v[70:71], v[68:69]
	v_fmac_f64_e32 v[14:15], v[46:47], v[62:63]
	v_fma_f64 v[14:15], -v[48:49], v[64:65], v[14:15]
	v_fmac_f64_e32 v[30:31], v[48:49], v[62:63]
	v_fmac_f64_e32 v[30:31], v[46:47], v[64:65]
	v_fmac_f64_e32 v[14:15], v[20:21], v[58:59]
	v_fma_f64 v[14:15], -v[22:23], v[60:61], v[14:15]
	v_fmac_f64_e32 v[30:31], v[22:23], v[58:59]
	v_fmac_f64_e32 v[30:31], v[20:21], v[60:61]
	v_fmac_f64_e32 v[14:15], v[16:17], v[42:43]
	v_fma_f64 v[14:15], -v[18:19], v[44:45], v[14:15]
	v_fmac_f64_e32 v[30:31], v[18:19], v[42:43]
	global_load_dwordx4 v[18:21], v[78:79], off offset:240
	global_load_dwordx4 v[22:25], v[78:79], off offset:224
	;; [unrolled: 1-line block ×4, first 2 shown]
	global_load_dword v1, v[56:57], off
	v_fmac_f64_e32 v[30:31], v[16:17], v[44:45]
	v_lshl_add_u64 v[78:79], v[52:53], 0, s[18:19]
	s_waitcnt vmcnt(1)
	v_fmac_f64_e32 v[28:29], v[72:73], v[66:67]
	v_fmac_f64_e32 v[76:77], v[70:71], v[66:67]
	v_fmac_f64_e32 v[28:29], v[70:71], v[68:69]
	v_fma_f64 v[16:17], -v[72:73], v[68:69], v[76:77]
	v_fmac_f64_e32 v[28:29], v[48:49], v[62:63]
	v_fmac_f64_e32 v[16:17], v[46:47], v[62:63]
	v_fmac_f64_e32 v[28:29], v[46:47], v[64:65]
	v_fma_f64 v[16:17], -v[48:49], v[64:65], v[16:17]
	;; [unrolled: 4-line block ×3, first 2 shown]
	v_fmac_f64_e32 v[28:29], v[20:21], v[42:43]
	s_waitcnt vmcnt(0)
	v_subrev_u32_e32 v1, s12, v1
	v_fmac_f64_e32 v[16:17], v[18:19], v[42:43]
	v_fmac_f64_e32 v[28:29], v[18:19], v[44:45]
	v_lshlrev_b32_e32 v18, 2, v1
	v_add_co_u32_e32 v24, vcc, s28, v52
	v_ashrrev_i32_e32 v19, 31, v18
	s_nop 0
	v_addc_co_u32_e32 v25, vcc, 0, v53, vcc
	v_lshl_add_u64 v[18:19], v[18:19], 4, s[4:5]
	v_fma_f64 v[16:17], -v[20:21], v[44:45], v[16:17]
	global_load_dwordx4 v[20:23], v[24:25], off
	global_load_dwordx4 v[42:45], v[78:79], off offset:48
	global_load_dwordx4 v[46:49], v[78:79], off offset:32
	;; [unrolled: 1-line block ×6, first 2 shown]
	global_load_dwordx4 v[74:77], v[18:19], off
	s_waitcnt vmcnt(0)
	v_fmac_f64_e32 v[10:11], v[20:21], v[74:75]
	v_fmac_f64_e32 v[40:41], v[22:23], v[74:75]
	v_fma_f64 v[10:11], -v[22:23], v[76:77], v[10:11]
	v_fmac_f64_e32 v[40:41], v[20:21], v[76:77]
	v_fmac_f64_e32 v[10:11], v[58:59], v[70:71]
	v_fmac_f64_e32 v[40:41], v[60:61], v[70:71]
	v_fma_f64 v[10:11], -v[60:61], v[72:73], v[10:11]
	v_fmac_f64_e32 v[40:41], v[58:59], v[72:73]
	;; [unrolled: 4-line block ×4, first 2 shown]
	global_load_dwordx4 v[18:21], v[78:79], off offset:112
	global_load_dwordx4 v[22:25], v[78:79], off offset:96
	;; [unrolled: 1-line block ×4, first 2 shown]
	v_add_co_u32_e32 v60, vcc, s29, v52
	s_waitcnt vmcnt(0)
	v_fmac_f64_e32 v[12:13], v[46:47], v[74:75]
	v_fmac_f64_e32 v[32:33], v[48:49], v[74:75]
	v_fma_f64 v[12:13], -v[48:49], v[76:77], v[12:13]
	v_fmac_f64_e32 v[32:33], v[46:47], v[76:77]
	v_fmac_f64_e32 v[12:13], v[42:43], v[70:71]
	v_fmac_f64_e32 v[32:33], v[44:45], v[70:71]
	v_fma_f64 v[12:13], -v[44:45], v[72:73], v[12:13]
	v_fmac_f64_e32 v[32:33], v[42:43], v[72:73]
	;; [unrolled: 4-line block ×4, first 2 shown]
	global_load_dwordx4 v[18:21], v[78:79], off offset:176
	global_load_dwordx4 v[22:25], v[78:79], off offset:160
	;; [unrolled: 1-line block ×4, first 2 shown]
	v_addc_co_u32_e32 v61, vcc, 0, v53, vcc
	v_cmp_ge_i64_e32 vcc, v[54:55], v[36:37]
	s_or_b64 s[14:15], vcc, s[14:15]
	s_waitcnt vmcnt(0)
	v_fmac_f64_e32 v[14:15], v[46:47], v[74:75]
	v_fmac_f64_e32 v[30:31], v[48:49], v[74:75]
	v_fma_f64 v[14:15], -v[48:49], v[76:77], v[14:15]
	v_fmac_f64_e32 v[30:31], v[46:47], v[76:77]
	v_fmac_f64_e32 v[14:15], v[42:43], v[70:71]
	v_fmac_f64_e32 v[30:31], v[44:45], v[70:71]
	v_fma_f64 v[14:15], -v[44:45], v[72:73], v[14:15]
	v_fmac_f64_e32 v[30:31], v[42:43], v[72:73]
	;; [unrolled: 4-line block ×4, first 2 shown]
	global_load_dwordx4 v[18:21], v[78:79], off offset:240
	global_load_dwordx4 v[22:25], v[78:79], off offset:224
	;; [unrolled: 1-line block ×4, first 2 shown]
	global_load_dword v1, v[56:57], off offset:256
	v_lshl_add_u64 v[78:79], v[52:53], 0, s[20:21]
	v_lshl_add_u64 v[56:57], v[56:57], 0, s[24:25]
	;; [unrolled: 1-line block ×3, first 2 shown]
	s_waitcnt vmcnt(1)
	v_fmac_f64_e32 v[16:17], v[46:47], v[74:75]
	v_fmac_f64_e32 v[28:29], v[48:49], v[74:75]
	v_fma_f64 v[16:17], -v[48:49], v[76:77], v[16:17]
	v_fmac_f64_e32 v[28:29], v[46:47], v[76:77]
	v_fmac_f64_e32 v[16:17], v[42:43], v[70:71]
	;; [unrolled: 1-line block ×3, first 2 shown]
	v_fma_f64 v[16:17], -v[44:45], v[72:73], v[16:17]
	v_fmac_f64_e32 v[28:29], v[42:43], v[72:73]
	s_waitcnt vmcnt(0)
	v_subrev_u32_e32 v1, s12, v1
	v_fmac_f64_e32 v[16:17], v[22:23], v[66:67]
	v_fmac_f64_e32 v[28:29], v[24:25], v[66:67]
	v_lshlrev_b32_e32 v58, 2, v1
	v_fma_f64 v[16:17], -v[24:25], v[68:69], v[16:17]
	v_fmac_f64_e32 v[28:29], v[22:23], v[68:69]
	v_ashrrev_i32_e32 v59, 31, v58
	v_fmac_f64_e32 v[16:17], v[18:19], v[62:63]
	v_fmac_f64_e32 v[28:29], v[20:21], v[62:63]
	v_lshl_add_u64 v[74:75], v[58:59], 4, s[4:5]
	v_fma_f64 v[16:17], -v[20:21], v[64:65], v[16:17]
	v_fmac_f64_e32 v[28:29], v[18:19], v[64:65]
	global_load_dwordx4 v[18:21], v[60:61], off
	global_load_dwordx4 v[22:25], v[78:79], off offset:48
	global_load_dwordx4 v[42:45], v[78:79], off offset:32
	;; [unrolled: 1-line block ×3, first 2 shown]
	s_nop 0
	global_load_dwordx4 v[58:61], v[74:75], off offset:48
	global_load_dwordx4 v[62:65], v[74:75], off offset:32
	global_load_dwordx4 v[66:69], v[74:75], off offset:16
	global_load_dwordx4 v[70:73], v[74:75], off
	s_waitcnt vmcnt(0)
	v_fmac_f64_e32 v[10:11], v[18:19], v[70:71]
	v_fmac_f64_e32 v[40:41], v[20:21], v[70:71]
	v_fma_f64 v[10:11], -v[20:21], v[72:73], v[10:11]
	v_fmac_f64_e32 v[40:41], v[18:19], v[72:73]
	v_fmac_f64_e32 v[10:11], v[46:47], v[66:67]
	v_fmac_f64_e32 v[40:41], v[48:49], v[66:67]
	v_fma_f64 v[10:11], -v[48:49], v[68:69], v[10:11]
	v_fmac_f64_e32 v[40:41], v[46:47], v[68:69]
	v_fmac_f64_e32 v[10:11], v[42:43], v[62:63]
	v_fmac_f64_e32 v[40:41], v[44:45], v[62:63]
	v_fma_f64 v[10:11], -v[44:45], v[64:65], v[10:11]
	v_fmac_f64_e32 v[40:41], v[42:43], v[64:65]
	v_fmac_f64_e32 v[10:11], v[22:23], v[58:59]
	v_fmac_f64_e32 v[40:41], v[24:25], v[58:59]
	v_fma_f64 v[48:49], -v[24:25], v[60:61], v[10:11]
	v_fmac_f64_e32 v[40:41], v[22:23], v[60:61]
	global_load_dwordx4 v[18:21], v[78:79], off offset:112
	global_load_dwordx4 v[22:25], v[78:79], off offset:96
	global_load_dwordx4 v[42:45], v[78:79], off offset:80
	global_load_dwordx4 v[74:77], v[78:79], off offset:64
	s_waitcnt vmcnt(0)
	v_fmac_f64_e32 v[12:13], v[74:75], v[70:71]
	v_fmac_f64_e32 v[32:33], v[76:77], v[70:71]
	v_fma_f64 v[10:11], -v[76:77], v[72:73], v[12:13]
	v_fmac_f64_e32 v[32:33], v[74:75], v[72:73]
	v_fmac_f64_e32 v[10:11], v[42:43], v[66:67]
	v_fmac_f64_e32 v[32:33], v[44:45], v[66:67]
	v_fma_f64 v[10:11], -v[44:45], v[68:69], v[10:11]
	v_fmac_f64_e32 v[32:33], v[42:43], v[68:69]
	v_fmac_f64_e32 v[10:11], v[22:23], v[62:63]
	v_fmac_f64_e32 v[32:33], v[24:25], v[62:63]
	v_fma_f64 v[10:11], -v[24:25], v[64:65], v[10:11]
	v_fmac_f64_e32 v[32:33], v[22:23], v[64:65]
	v_fmac_f64_e32 v[10:11], v[18:19], v[58:59]
	v_fmac_f64_e32 v[32:33], v[20:21], v[58:59]
	v_fma_f64 v[46:47], -v[20:21], v[60:61], v[10:11]
	v_fmac_f64_e32 v[32:33], v[18:19], v[60:61]
	global_load_dwordx4 v[10:13], v[78:79], off offset:176
	global_load_dwordx4 v[18:21], v[78:79], off offset:160
	global_load_dwordx4 v[22:25], v[78:79], off offset:144
	global_load_dwordx4 v[42:45], v[78:79], off offset:128
	;; [unrolled: 21-line block ×3, first 2 shown]
	s_waitcnt vmcnt(0)
	v_fmac_f64_e32 v[16:17], v[74:75], v[70:71]
	v_fmac_f64_e32 v[28:29], v[76:77], v[70:71]
	v_fma_f64 v[14:15], -v[76:77], v[72:73], v[16:17]
	v_fmac_f64_e32 v[28:29], v[74:75], v[72:73]
	v_fmac_f64_e32 v[14:15], v[22:23], v[66:67]
	v_fmac_f64_e32 v[28:29], v[24:25], v[66:67]
	v_fma_f64 v[14:15], -v[24:25], v[68:69], v[14:15]
	v_fmac_f64_e32 v[28:29], v[22:23], v[68:69]
	v_fmac_f64_e32 v[14:15], v[18:19], v[62:63]
	v_fmac_f64_e32 v[28:29], v[20:21], v[62:63]
	v_fma_f64 v[14:15], -v[20:21], v[64:65], v[14:15]
	v_fmac_f64_e32 v[28:29], v[18:19], v[64:65]
	v_fmac_f64_e32 v[14:15], v[10:11], v[58:59]
	v_fmac_f64_e32 v[28:29], v[12:13], v[58:59]
	v_fma_f64 v[42:43], -v[12:13], v[60:61], v[14:15]
	v_fmac_f64_e32 v[28:29], v[10:11], v[60:61]
	s_andn2_b64 exec, exec, s[14:15]
	s_cbranch_execnz .LBB39_19
; %bb.20:
	s_or_b64 exec, exec, s[14:15]
.LBB39_21:
	s_or_b64 exec, exec, s[10:11]
.LBB39_22:
	s_or_b64 exec, exec, s[6:7]
	s_cbranch_execz .LBB39_24
	s_branch .LBB39_35
.LBB39_23:
                                        ; implicit-def: $vgpr40_vgpr41
                                        ; implicit-def: $vgpr48_vgpr49
                                        ; implicit-def: $vgpr42_vgpr43
                                        ; implicit-def: $vgpr28_vgpr29
                                        ; implicit-def: $vgpr44_vgpr45
                                        ; implicit-def: $vgpr30_vgpr31
                                        ; implicit-def: $vgpr46_vgpr47
                                        ; implicit-def: $vgpr32_vgpr33
.LBB39_24:
	v_mov_b64_e32 v[40:41], 0
	v_mov_b64_e32 v[48:49], 0
	;; [unrolled: 1-line block ×8, first 2 shown]
	s_and_saveexec_b64 s[6:7], s[2:3]
	s_cbranch_execz .LBB39_34
; %bb.25:
	v_or_b32_e32 v1, 64, v0
	v_subrev_co_u32_e32 v10, vcc, s12, v1
	v_not_b32_e32 v13, v51
	s_nop 0
	v_subb_co_u32_e64 v11, s[2:3], 0, 0, vcc
	v_lshl_add_u64 v[10:11], v[10:11], 0, v[50:51]
	v_cmp_gt_i64_e32 vcc, v[10:11], v[36:37]
	v_not_b32_e32 v12, v50
	v_mov_b64_e32 v[32:33], 0
	v_cndmask_b32_e32 v11, v37, v11, vcc
	v_cndmask_b32_e32 v10, v36, v10, vcc
	v_sub_co_u32_e32 v14, vcc, s12, v0
	v_mov_b64_e32 v[46:47], 0
	s_nop 0
	v_subb_co_u32_e64 v15, s[2:3], 0, 0, vcc
	v_lshl_add_u64 v[12:13], v[14:15], 0, v[12:13]
	v_lshl_add_u64 v[50:51], v[12:13], 0, v[10:11]
	v_and_b32_e32 v10, 0xc0, v50
	v_mov_b32_e32 v11, 0
	s_mov_b64 s[2:3], 0xc0
	v_cmp_ne_u64_e32 vcc, s[2:3], v[10:11]
	v_mov_b64_e32 v[30:31], 0
	v_mov_b64_e32 v[44:45], 0
	;; [unrolled: 1-line block ×6, first 2 shown]
	s_and_saveexec_b64 s[2:3], vcc
	s_cbranch_execz .LBB39_29
; %bb.26:
	v_lshrrev_b32_e32 v1, 6, v50
	v_add_u32_e32 v1, 1, v1
	v_and_b32_e32 v1, 3, v1
	v_sub_co_u32_e32 v54, vcc, 0, v1
	v_lshl_add_u64 v[52:53], v[34:35], 2, s[8:9]
	s_nop 0
	v_subb_co_u32_e64 v55, s[14:15], 0, 0, vcc
	s_mov_b64 s[10:11], 0
	v_mov_b64_e32 v[40:41], 0
	s_mov_b64 s[14:15], 0x4000
	s_mov_b64 s[16:17], 0x100
	v_mov_b64_e32 v[48:49], 0
	v_mov_b64_e32 v[42:43], 0
	;; [unrolled: 1-line block ×7, first 2 shown]
.LBB39_27:                              ; =>This Inner Loop Header: Depth=1
	global_load_dword v1, v[52:53], off
	global_load_dwordx4 v[10:13], v[38:39], off offset:48
	global_load_dwordx4 v[14:17], v[38:39], off offset:32
	global_load_dwordx4 v[18:21], v[38:39], off offset:16
	global_load_dwordx4 v[22:25], v[38:39], off
	global_load_dwordx4 v[56:59], v[38:39], off offset:112
	global_load_dwordx4 v[60:63], v[38:39], off offset:96
	;; [unrolled: 1-line block ×12, first 2 shown]
	v_lshl_add_u64 v[54:55], v[54:55], 0, 1
	v_cmp_eq_u64_e32 vcc, 0, v[54:55]
	v_lshl_add_u64 v[38:39], v[38:39], 0, s[14:15]
	v_lshl_add_u64 v[34:35], v[34:35], 0, 64
	;; [unrolled: 1-line block ×3, first 2 shown]
	s_or_b64 s[10:11], vcc, s[10:11]
	s_waitcnt vmcnt(16)
	v_subrev_u32_e32 v1, s12, v1
	v_lshlrev_b32_e32 v104, 2, v1
	v_ashrrev_i32_e32 v105, 31, v104
	s_waitcnt lgkmcnt(0)
	v_lshl_add_u64 v[120:121], v[104:105], 4, s[4:5]
	global_load_dwordx4 v[104:107], v[120:121], off
	global_load_dwordx4 v[108:111], v[120:121], off offset:16
	global_load_dwordx4 v[112:115], v[120:121], off offset:32
	;; [unrolled: 1-line block ×3, first 2 shown]
	s_waitcnt vmcnt(3)
	v_fmac_f64_e32 v[48:49], v[22:23], v[104:105]
	v_fmac_f64_e32 v[40:41], v[24:25], v[104:105]
	v_fmac_f64_e32 v[46:47], v[18:19], v[104:105]
	v_fmac_f64_e32 v[32:33], v[20:21], v[104:105]
	v_fmac_f64_e32 v[44:45], v[14:15], v[104:105]
	v_fmac_f64_e32 v[30:31], v[16:17], v[104:105]
	v_fmac_f64_e32 v[42:43], v[10:11], v[104:105]
	v_fmac_f64_e32 v[28:29], v[12:13], v[104:105]
	v_fma_f64 v[24:25], -v[24:25], v[106:107], v[48:49]
	v_fmac_f64_e32 v[40:41], v[22:23], v[106:107]
	v_fma_f64 v[20:21], -v[20:21], v[106:107], v[46:47]
	v_fmac_f64_e32 v[32:33], v[18:19], v[106:107]
	v_fma_f64 v[16:17], -v[16:17], v[106:107], v[44:45]
	v_fmac_f64_e32 v[30:31], v[14:15], v[106:107]
	v_fma_f64 v[12:13], -v[12:13], v[106:107], v[42:43]
	v_fmac_f64_e32 v[28:29], v[10:11], v[106:107]
	s_waitcnt vmcnt(2)
	v_fmac_f64_e32 v[24:25], v[68:69], v[108:109]
	v_fmac_f64_e32 v[40:41], v[70:71], v[108:109]
	v_fmac_f64_e32 v[20:21], v[64:65], v[108:109]
	v_fmac_f64_e32 v[32:33], v[66:67], v[108:109]
	v_fmac_f64_e32 v[16:17], v[60:61], v[108:109]
	v_fmac_f64_e32 v[30:31], v[62:63], v[108:109]
	v_fmac_f64_e32 v[12:13], v[56:57], v[108:109]
	v_fmac_f64_e32 v[28:29], v[58:59], v[108:109]
	v_fma_f64 v[10:11], -v[70:71], v[110:111], v[24:25]
	v_fmac_f64_e32 v[40:41], v[68:69], v[110:111]
	v_fma_f64 v[14:15], -v[66:67], v[110:111], v[20:21]
	v_fmac_f64_e32 v[32:33], v[64:65], v[110:111]
	v_fma_f64 v[16:17], -v[62:63], v[110:111], v[16:17]
	v_fmac_f64_e32 v[30:31], v[60:61], v[110:111]
	v_fma_f64 v[12:13], -v[58:59], v[110:111], v[12:13]
	v_fmac_f64_e32 v[28:29], v[56:57], v[110:111]
	;; [unrolled: 17-line block ×4, first 2 shown]
	s_andn2_b64 exec, exec, s[10:11]
	s_cbranch_execnz .LBB39_27
; %bb.28:
	s_or_b64 exec, exec, s[10:11]
.LBB39_29:
	s_or_b64 exec, exec, s[2:3]
	s_mov_b64 s[2:3], 0xbf
	v_cmp_lt_u64_e32 vcc, s[2:3], v[50:51]
	s_and_saveexec_b64 s[2:3], vcc
	s_cbranch_execz .LBB39_33
; %bb.30:
	v_lshl_add_u64 v[10:11], v[34:35], 2, s[8:9]
	s_mov_b64 s[8:9], 0x200
	v_lshl_add_u64 v[14:15], v[10:11], 0, s[8:9]
	s_mov_b64 s[8:9], 0
	s_mov_b64 s[10:11], 0x4000
	s_movk_i32 s13, 0x4000
	s_mov_b64 s[14:15], 0x8000
	s_mov_b32 s24, 0x8000
	s_mov_b64 s[16:17], 0xc000
	s_mov_b32 s25, 0xc000
	s_mov_b64 s[18:19], 0x100
	s_mov_b64 s[20:21], 0x400
	;; [unrolled: 1-line block ×3, first 2 shown]
.LBB39_31:                              ; =>This Inner Loop Header: Depth=1
	global_load_dword v1, v[14:15], off offset:-512
	global_load_dwordx4 v[16:19], v[38:39], off offset:48
	global_load_dwordx4 v[20:23], v[38:39], off offset:32
	;; [unrolled: 1-line block ×3, first 2 shown]
	global_load_dwordx4 v[54:57], v[38:39], off
	v_lshl_add_u64 v[34:35], v[34:35], 0, s[18:19]
	s_waitcnt vmcnt(4)
	v_subrev_u32_e32 v1, s12, v1
	v_lshlrev_b32_e32 v10, 2, v1
	v_ashrrev_i32_e32 v11, 31, v10
	s_waitcnt lgkmcnt(0)
	v_lshl_add_u64 v[24:25], v[10:11], 4, s[4:5]
	global_load_dwordx4 v[10:13], v[24:25], off offset:48
	global_load_dwordx4 v[58:61], v[24:25], off offset:32
	;; [unrolled: 1-line block ×3, first 2 shown]
	global_load_dwordx4 v[66:69], v[24:25], off
	s_waitcnt vmcnt(0)
	v_fmac_f64_e32 v[48:49], v[54:55], v[66:67]
	v_fmac_f64_e32 v[40:41], v[56:57], v[66:67]
	;; [unrolled: 1-line block ×8, first 2 shown]
	v_fma_f64 v[24:25], -v[56:57], v[68:69], v[48:49]
	v_fmac_f64_e32 v[40:41], v[54:55], v[68:69]
	v_fma_f64 v[54:55], -v[52:53], v[68:69], v[46:47]
	v_fmac_f64_e32 v[32:33], v[50:51], v[68:69]
	v_fma_f64 v[50:51], -v[22:23], v[68:69], v[44:45]
	v_fmac_f64_e32 v[30:31], v[20:21], v[68:69]
	v_fma_f64 v[52:53], -v[18:19], v[68:69], v[42:43]
	v_fmac_f64_e32 v[28:29], v[16:17], v[68:69]
	global_load_dwordx4 v[16:19], v[38:39], off offset:112
	global_load_dwordx4 v[20:23], v[38:39], off offset:96
	;; [unrolled: 1-line block ×4, first 2 shown]
	v_lshl_add_u64 v[68:69], v[38:39], 0, s[10:11]
	s_waitcnt vmcnt(3)
	v_fmac_f64_e32 v[52:53], v[16:17], v[62:63]
	s_waitcnt vmcnt(2)
	v_fmac_f64_e32 v[50:51], v[20:21], v[62:63]
	;; [unrolled: 2-line block ×4, first 2 shown]
	v_fmac_f64_e32 v[40:41], v[48:49], v[62:63]
	v_fmac_f64_e32 v[32:33], v[44:45], v[62:63]
	;; [unrolled: 1-line block ×4, first 2 shown]
	v_fma_f64 v[24:25], -v[48:49], v[64:65], v[24:25]
	v_fmac_f64_e32 v[40:41], v[46:47], v[64:65]
	v_fma_f64 v[54:55], -v[44:45], v[64:65], v[54:55]
	v_fmac_f64_e32 v[32:33], v[42:43], v[64:65]
	;; [unrolled: 2-line block ×4, first 2 shown]
	global_load_dwordx4 v[16:19], v[38:39], off offset:176
	global_load_dwordx4 v[20:23], v[38:39], off offset:160
	;; [unrolled: 1-line block ×4, first 2 shown]
	s_waitcnt vmcnt(3)
	v_fmac_f64_e32 v[52:53], v[16:17], v[58:59]
	s_waitcnt vmcnt(2)
	v_fmac_f64_e32 v[50:51], v[20:21], v[58:59]
	;; [unrolled: 2-line block ×4, first 2 shown]
	v_fmac_f64_e32 v[40:41], v[48:49], v[58:59]
	v_fmac_f64_e32 v[32:33], v[44:45], v[58:59]
	;; [unrolled: 1-line block ×4, first 2 shown]
	v_fma_f64 v[24:25], -v[48:49], v[60:61], v[24:25]
	v_fmac_f64_e32 v[40:41], v[46:47], v[60:61]
	v_fma_f64 v[54:55], -v[44:45], v[60:61], v[54:55]
	v_fmac_f64_e32 v[32:33], v[42:43], v[60:61]
	v_fma_f64 v[50:51], -v[22:23], v[60:61], v[50:51]
	v_fmac_f64_e32 v[30:31], v[20:21], v[60:61]
	v_fma_f64 v[52:53], -v[18:19], v[60:61], v[52:53]
	v_fmac_f64_e32 v[28:29], v[16:17], v[60:61]
	global_load_dwordx4 v[16:19], v[38:39], off offset:240
	global_load_dwordx4 v[20:23], v[38:39], off offset:224
	global_load_dwordx4 v[42:45], v[38:39], off offset:208
	global_load_dwordx4 v[46:49], v[38:39], off offset:192
	global_load_dword v1, v[14:15], off offset:-256
	s_waitcnt vmcnt(4)
	v_fmac_f64_e32 v[52:53], v[16:17], v[10:11]
	s_waitcnt vmcnt(3)
	v_fmac_f64_e32 v[50:51], v[20:21], v[10:11]
	;; [unrolled: 2-line block ×4, first 2 shown]
	s_waitcnt vmcnt(0)
	v_subrev_u32_e32 v1, s12, v1
	v_fmac_f64_e32 v[24:25], v[46:47], v[10:11]
	v_fmac_f64_e32 v[40:41], v[46:47], v[12:13]
	v_lshlrev_b32_e32 v46, 2, v1
	v_fma_f64 v[24:25], -v[48:49], v[12:13], v[24:25]
	v_add_co_u32_e32 v48, vcc, s13, v38
	v_ashrrev_i32_e32 v47, 31, v46
	v_fmac_f64_e32 v[32:33], v[44:45], v[10:11]
	v_fmac_f64_e32 v[30:31], v[22:23], v[10:11]
	;; [unrolled: 1-line block ×3, first 2 shown]
	v_addc_co_u32_e32 v49, vcc, 0, v39, vcc
	v_lshl_add_u64 v[70:71], v[46:47], 4, s[4:5]
	v_fma_f64 v[62:63], -v[44:45], v[12:13], v[54:55]
	v_fmac_f64_e32 v[32:33], v[42:43], v[12:13]
	v_fma_f64 v[64:65], -v[22:23], v[12:13], v[50:51]
	v_fmac_f64_e32 v[30:31], v[20:21], v[12:13]
	;; [unrolled: 2-line block ×3, first 2 shown]
	global_load_dwordx4 v[10:13], v[48:49], off
	global_load_dwordx4 v[16:19], v[68:69], off offset:48
	global_load_dwordx4 v[20:23], v[68:69], off offset:32
	;; [unrolled: 1-line block ×3, first 2 shown]
	s_nop 0
	global_load_dwordx4 v[46:49], v[70:71], off offset:48
	global_load_dwordx4 v[50:53], v[70:71], off offset:32
	global_load_dwordx4 v[54:57], v[70:71], off offset:16
	global_load_dwordx4 v[58:61], v[70:71], off
	v_lshl_add_u64 v[70:71], v[38:39], 0, s[14:15]
	s_waitcnt vmcnt(0)
	v_fmac_f64_e32 v[24:25], v[10:11], v[58:59]
	v_fmac_f64_e32 v[40:41], v[12:13], v[58:59]
	v_fmac_f64_e32 v[62:63], v[42:43], v[58:59]
	v_fmac_f64_e32 v[32:33], v[44:45], v[58:59]
	v_fmac_f64_e32 v[64:65], v[20:21], v[58:59]
	v_fmac_f64_e32 v[30:31], v[22:23], v[58:59]
	v_fmac_f64_e32 v[66:67], v[16:17], v[58:59]
	v_fmac_f64_e32 v[28:29], v[18:19], v[58:59]
	v_fma_f64 v[24:25], -v[12:13], v[60:61], v[24:25]
	v_fmac_f64_e32 v[40:41], v[10:11], v[60:61]
	v_fma_f64 v[62:63], -v[44:45], v[60:61], v[62:63]
	v_fmac_f64_e32 v[32:33], v[42:43], v[60:61]
	;; [unrolled: 2-line block ×4, first 2 shown]
	global_load_dwordx4 v[10:13], v[68:69], off offset:112
	global_load_dwordx4 v[16:19], v[68:69], off offset:96
	;; [unrolled: 1-line block ×4, first 2 shown]
	s_waitcnt vmcnt(3)
	v_fmac_f64_e32 v[66:67], v[10:11], v[54:55]
	s_waitcnt vmcnt(2)
	v_fmac_f64_e32 v[64:65], v[16:17], v[54:55]
	;; [unrolled: 2-line block ×4, first 2 shown]
	v_fmac_f64_e32 v[40:41], v[44:45], v[54:55]
	v_fmac_f64_e32 v[32:33], v[22:23], v[54:55]
	;; [unrolled: 1-line block ×4, first 2 shown]
	v_fma_f64 v[24:25], -v[44:45], v[56:57], v[24:25]
	v_fmac_f64_e32 v[40:41], v[42:43], v[56:57]
	v_fma_f64 v[58:59], -v[22:23], v[56:57], v[62:63]
	v_fmac_f64_e32 v[32:33], v[20:21], v[56:57]
	;; [unrolled: 2-line block ×4, first 2 shown]
	global_load_dwordx4 v[10:13], v[68:69], off offset:176
	global_load_dwordx4 v[16:19], v[68:69], off offset:160
	;; [unrolled: 1-line block ×4, first 2 shown]
	s_waitcnt vmcnt(3)
	v_fmac_f64_e32 v[62:63], v[10:11], v[50:51]
	s_waitcnt vmcnt(2)
	v_fmac_f64_e32 v[60:61], v[16:17], v[50:51]
	;; [unrolled: 2-line block ×4, first 2 shown]
	v_fmac_f64_e32 v[40:41], v[44:45], v[50:51]
	v_fmac_f64_e32 v[32:33], v[22:23], v[50:51]
	;; [unrolled: 1-line block ×4, first 2 shown]
	v_fma_f64 v[24:25], -v[44:45], v[52:53], v[24:25]
	v_fmac_f64_e32 v[40:41], v[42:43], v[52:53]
	v_fma_f64 v[54:55], -v[22:23], v[52:53], v[58:59]
	v_fmac_f64_e32 v[32:33], v[20:21], v[52:53]
	;; [unrolled: 2-line block ×4, first 2 shown]
	global_load_dwordx4 v[20:23], v[68:69], off offset:240
	global_load_dwordx4 v[42:45], v[68:69], off offset:224
	;; [unrolled: 1-line block ×4, first 2 shown]
	global_load_dword v1, v[14:15], off
	s_waitcnt vmcnt(4)
	v_fmac_f64_e32 v[28:29], v[22:23], v[46:47]
	v_fmac_f64_e32 v[58:59], v[20:21], v[46:47]
	s_waitcnt vmcnt(2)
	v_fmac_f64_e32 v[54:55], v[16:17], v[46:47]
	v_fmac_f64_e32 v[28:29], v[20:21], v[48:49]
	s_waitcnt vmcnt(0)
	v_subrev_u32_e32 v1, s12, v1
	v_lshlrev_b32_e32 v20, 2, v1
	v_fma_f64 v[12:13], -v[18:19], v[48:49], v[54:55]
	v_add_co_u32_e32 v54, vcc, s24, v38
	v_ashrrev_i32_e32 v21, 31, v20
	v_fmac_f64_e32 v[24:25], v[50:51], v[46:47]
	v_fmac_f64_e32 v[40:41], v[52:53], v[46:47]
	;; [unrolled: 1-line block ×5, first 2 shown]
	v_addc_co_u32_e32 v55, vcc, 0, v39, vcc
	v_lshl_add_u64 v[20:21], v[20:21], 4, s[4:5]
	v_fma_f64 v[10:11], -v[52:53], v[48:49], v[24:25]
	v_fmac_f64_e32 v[40:41], v[50:51], v[48:49]
	v_fmac_f64_e32 v[32:33], v[16:17], v[48:49]
	v_fma_f64 v[16:17], -v[44:45], v[48:49], v[56:57]
	v_fmac_f64_e32 v[30:31], v[42:43], v[48:49]
	v_fma_f64 v[18:19], -v[22:23], v[48:49], v[58:59]
	global_load_dwordx4 v[22:25], v[54:55], off
	global_load_dwordx4 v[42:45], v[70:71], off offset:48
	global_load_dwordx4 v[46:49], v[70:71], off offset:32
	global_load_dwordx4 v[50:53], v[70:71], off offset:16
	s_nop 0
	global_load_dwordx4 v[54:57], v[20:21], off offset:48
	global_load_dwordx4 v[58:61], v[20:21], off offset:32
	;; [unrolled: 1-line block ×3, first 2 shown]
	global_load_dwordx4 v[66:69], v[20:21], off
	s_waitcnt vmcnt(0)
	v_fmac_f64_e32 v[10:11], v[22:23], v[66:67]
	v_fmac_f64_e32 v[40:41], v[24:25], v[66:67]
	;; [unrolled: 1-line block ×8, first 2 shown]
	v_fma_f64 v[72:73], -v[24:25], v[68:69], v[10:11]
	v_fmac_f64_e32 v[40:41], v[22:23], v[68:69]
	v_fma_f64 v[24:25], -v[52:53], v[68:69], v[12:13]
	v_fmac_f64_e32 v[32:33], v[50:51], v[68:69]
	;; [unrolled: 2-line block ×4, first 2 shown]
	global_load_dwordx4 v[10:13], v[70:71], off offset:112
	global_load_dwordx4 v[16:19], v[70:71], off offset:96
	global_load_dwordx4 v[20:23], v[70:71], off offset:80
	global_load_dwordx4 v[42:45], v[70:71], off offset:64
	s_waitcnt vmcnt(3)
	v_fmac_f64_e32 v[46:47], v[10:11], v[62:63]
	s_waitcnt vmcnt(2)
	v_fmac_f64_e32 v[50:51], v[16:17], v[62:63]
	;; [unrolled: 2-line block ×4, first 2 shown]
	v_fmac_f64_e32 v[40:41], v[44:45], v[62:63]
	v_fmac_f64_e32 v[32:33], v[22:23], v[62:63]
	;; [unrolled: 1-line block ×4, first 2 shown]
	v_fma_f64 v[48:49], -v[44:45], v[64:65], v[72:73]
	v_fmac_f64_e32 v[40:41], v[42:43], v[64:65]
	v_fma_f64 v[24:25], -v[22:23], v[64:65], v[24:25]
	v_fmac_f64_e32 v[32:33], v[20:21], v[64:65]
	;; [unrolled: 2-line block ×4, first 2 shown]
	global_load_dwordx4 v[10:13], v[70:71], off offset:176
	global_load_dwordx4 v[16:19], v[70:71], off offset:160
	;; [unrolled: 1-line block ×4, first 2 shown]
	s_waitcnt vmcnt(3)
	v_fmac_f64_e32 v[46:47], v[10:11], v[58:59]
	s_waitcnt vmcnt(2)
	v_fmac_f64_e32 v[50:51], v[16:17], v[58:59]
	;; [unrolled: 2-line block ×4, first 2 shown]
	v_fmac_f64_e32 v[40:41], v[44:45], v[58:59]
	v_fmac_f64_e32 v[32:33], v[22:23], v[58:59]
	;; [unrolled: 1-line block ×3, first 2 shown]
	v_fma_f64 v[52:53], -v[44:45], v[60:61], v[48:49]
	v_fmac_f64_e32 v[40:41], v[42:43], v[60:61]
	v_fma_f64 v[24:25], -v[22:23], v[60:61], v[24:25]
	v_fmac_f64_e32 v[32:33], v[20:21], v[60:61]
	;; [unrolled: 2-line block ×3, first 2 shown]
	v_fma_f64 v[62:63], -v[12:13], v[60:61], v[46:47]
	global_load_dwordx4 v[20:23], v[70:71], off offset:240
	global_load_dwordx4 v[42:45], v[70:71], off offset:224
	;; [unrolled: 1-line block ×4, first 2 shown]
	global_load_dword v1, v[14:15], off offset:256
	v_fmac_f64_e32 v[28:29], v[12:13], v[58:59]
	v_fmac_f64_e32 v[28:29], v[10:11], v[60:61]
	v_lshl_add_u64 v[70:71], v[38:39], 0, s[16:17]
	v_lshl_add_u64 v[14:15], v[14:15], 0, s[20:21]
	s_waitcnt vmcnt(4)
	v_fmac_f64_e32 v[62:63], v[20:21], v[54:55]
	s_waitcnt vmcnt(3)
	v_fmac_f64_e32 v[50:51], v[42:43], v[54:55]
	;; [unrolled: 2-line block ×3, first 2 shown]
	v_fma_f64 v[12:13], -v[18:19], v[56:57], v[24:25]
	s_waitcnt vmcnt(0)
	v_subrev_u32_e32 v1, s12, v1
	v_lshlrev_b32_e32 v24, 2, v1
	v_fmac_f64_e32 v[52:53], v[46:47], v[54:55]
	v_fmac_f64_e32 v[40:41], v[48:49], v[54:55]
	;; [unrolled: 1-line block ×5, first 2 shown]
	v_add_co_u32_e32 v54, vcc, s25, v38
	v_ashrrev_i32_e32 v25, 31, v24
	s_nop 0
	v_addc_co_u32_e32 v55, vcc, 0, v39, vcc
	v_lshl_add_u64 v[24:25], v[24:25], 4, s[4:5]
	v_fma_f64 v[10:11], -v[48:49], v[56:57], v[52:53]
	v_fmac_f64_e32 v[40:41], v[46:47], v[56:57]
	v_fmac_f64_e32 v[32:33], v[16:17], v[56:57]
	v_fma_f64 v[16:17], -v[44:45], v[56:57], v[50:51]
	v_fmac_f64_e32 v[30:31], v[42:43], v[56:57]
	v_fma_f64 v[18:19], -v[22:23], v[56:57], v[62:63]
	v_fmac_f64_e32 v[28:29], v[20:21], v[56:57]
	global_load_dwordx4 v[20:23], v[54:55], off
	global_load_dwordx4 v[42:45], v[70:71], off offset:48
	global_load_dwordx4 v[46:49], v[70:71], off offset:32
	;; [unrolled: 1-line block ×3, first 2 shown]
	s_nop 0
	global_load_dwordx4 v[54:57], v[24:25], off offset:48
	global_load_dwordx4 v[58:61], v[24:25], off offset:32
	;; [unrolled: 1-line block ×3, first 2 shown]
	global_load_dwordx4 v[66:69], v[24:25], off
	v_cmp_ge_i64_e32 vcc, v[34:35], v[36:37]
	v_lshl_add_u64 v[38:39], v[38:39], 0, s[22:23]
	s_or_b64 s[8:9], vcc, s[8:9]
	s_waitcnt vmcnt(0)
	v_fmac_f64_e32 v[10:11], v[20:21], v[66:67]
	v_fmac_f64_e32 v[40:41], v[22:23], v[66:67]
	;; [unrolled: 1-line block ×8, first 2 shown]
	v_fma_f64 v[24:25], -v[22:23], v[68:69], v[10:11]
	v_fmac_f64_e32 v[40:41], v[20:21], v[68:69]
	v_fma_f64 v[72:73], -v[52:53], v[68:69], v[12:13]
	v_fmac_f64_e32 v[32:33], v[50:51], v[68:69]
	v_fma_f64 v[50:51], -v[48:49], v[68:69], v[16:17]
	v_fmac_f64_e32 v[30:31], v[46:47], v[68:69]
	v_fma_f64 v[46:47], -v[44:45], v[68:69], v[18:19]
	v_fmac_f64_e32 v[28:29], v[42:43], v[68:69]
	global_load_dwordx4 v[10:13], v[70:71], off offset:112
	global_load_dwordx4 v[16:19], v[70:71], off offset:96
	global_load_dwordx4 v[20:23], v[70:71], off offset:80
	global_load_dwordx4 v[42:45], v[70:71], off offset:64
	s_waitcnt vmcnt(3)
	v_fmac_f64_e32 v[46:47], v[10:11], v[62:63]
	s_waitcnt vmcnt(2)
	v_fmac_f64_e32 v[50:51], v[16:17], v[62:63]
	s_waitcnt vmcnt(1)
	v_fmac_f64_e32 v[72:73], v[20:21], v[62:63]
	s_waitcnt vmcnt(0)
	v_fmac_f64_e32 v[24:25], v[42:43], v[62:63]
	v_fmac_f64_e32 v[40:41], v[44:45], v[62:63]
	v_fmac_f64_e32 v[32:33], v[22:23], v[62:63]
	v_fmac_f64_e32 v[30:31], v[18:19], v[62:63]
	v_fmac_f64_e32 v[28:29], v[12:13], v[62:63]
	v_fma_f64 v[24:25], -v[44:45], v[64:65], v[24:25]
	v_fmac_f64_e32 v[40:41], v[42:43], v[64:65]
	v_fma_f64 v[48:49], -v[22:23], v[64:65], v[72:73]
	v_fmac_f64_e32 v[32:33], v[20:21], v[64:65]
	v_fma_f64 v[50:51], -v[18:19], v[64:65], v[50:51]
	v_fmac_f64_e32 v[30:31], v[16:17], v[64:65]
	v_fma_f64 v[46:47], -v[12:13], v[64:65], v[46:47]
	v_fmac_f64_e32 v[28:29], v[10:11], v[64:65]
	global_load_dwordx4 v[10:13], v[70:71], off offset:176
	global_load_dwordx4 v[16:19], v[70:71], off offset:160
	global_load_dwordx4 v[20:23], v[70:71], off offset:144
	global_load_dwordx4 v[42:45], v[70:71], off offset:128
	s_waitcnt vmcnt(3)
	v_fmac_f64_e32 v[46:47], v[10:11], v[58:59]
	s_waitcnt vmcnt(2)
	v_fmac_f64_e32 v[50:51], v[16:17], v[58:59]
	s_waitcnt vmcnt(1)
	v_fmac_f64_e32 v[48:49], v[20:21], v[58:59]
	s_waitcnt vmcnt(0)
	v_fmac_f64_e32 v[24:25], v[42:43], v[58:59]
	v_fmac_f64_e32 v[40:41], v[44:45], v[58:59]
	v_fmac_f64_e32 v[32:33], v[22:23], v[58:59]
	v_fmac_f64_e32 v[30:31], v[18:19], v[58:59]
	v_fmac_f64_e32 v[28:29], v[12:13], v[58:59]
	;; [unrolled: 24-line block ×3, first 2 shown]
	v_fma_f64 v[48:49], -v[44:45], v[56:57], v[24:25]
	v_fmac_f64_e32 v[40:41], v[42:43], v[56:57]
	v_fma_f64 v[46:47], -v[22:23], v[56:57], v[52:53]
	v_fmac_f64_e32 v[32:33], v[20:21], v[56:57]
	;; [unrolled: 2-line block ×4, first 2 shown]
	s_andn2_b64 exec, exec, s[8:9]
	s_cbranch_execnz .LBB39_31
; %bb.32:
	s_or_b64 exec, exec, s[8:9]
.LBB39_33:
	s_or_b64 exec, exec, s[2:3]
.LBB39_34:
	s_or_b64 exec, exec, s[6:7]
.LBB39_35:
	v_mov_b32_dpp v22, v32 row_shr:1 row_mask:0xf bank_mask:0xf
	v_mov_b32_dpp v23, v33 row_shr:1 row_mask:0xf bank_mask:0xf
	;; [unrolled: 1-line block ×10, first 2 shown]
	v_add_f64 v[22:23], v[32:33], v[22:23]
	v_mov_b32_dpp v32, v44 row_shr:1 row_mask:0xf bank_mask:0xf
	v_mov_b32_dpp v33, v45 row_shr:1 row_mask:0xf bank_mask:0xf
	;; [unrolled: 1-line block ×4, first 2 shown]
	v_add_f64 v[38:39], v[42:43], v[38:39]
	v_mov_b32_dpp v42, v28 row_shr:1 row_mask:0xf bank_mask:0xf
	v_mov_b32_dpp v43, v29 row_shr:1 row_mask:0xf bank_mask:0xf
	v_add_f64 v[10:11], v[48:49], v[10:11]
	v_add_f64 v[14:15], v[40:41], v[14:15]
	v_add_f64 v[18:19], v[46:47], v[18:19]
	v_add_f64 v[32:33], v[44:45], v[32:33]
	v_add_f64 v[30:31], v[30:31], v[36:37]
	v_add_f64 v[28:29], v[28:29], v[42:43]
	v_mov_b32_dpp v12, v10 row_shr:2 row_mask:0xf bank_mask:0xf
	v_mov_b32_dpp v13, v11 row_shr:2 row_mask:0xf bank_mask:0xf
	v_mov_b32_dpp v16, v14 row_shr:2 row_mask:0xf bank_mask:0xf
	v_mov_b32_dpp v17, v15 row_shr:2 row_mask:0xf bank_mask:0xf
	v_mov_b32_dpp v20, v18 row_shr:2 row_mask:0xf bank_mask:0xf
	v_mov_b32_dpp v21, v19 row_shr:2 row_mask:0xf bank_mask:0xf
	v_mov_b32_dpp v24, v22 row_shr:2 row_mask:0xf bank_mask:0xf
	v_mov_b32_dpp v25, v23 row_shr:2 row_mask:0xf bank_mask:0xf
	v_mov_b32_dpp v34, v32 row_shr:2 row_mask:0xf bank_mask:0xf
	v_mov_b32_dpp v35, v33 row_shr:2 row_mask:0xf bank_mask:0xf
	v_mov_b32_dpp v36, v30 row_shr:2 row_mask:0xf bank_mask:0xf
	v_mov_b32_dpp v37, v31 row_shr:2 row_mask:0xf bank_mask:0xf
	v_mov_b32_dpp v40, v38 row_shr:2 row_mask:0xf bank_mask:0xf
	v_mov_b32_dpp v41, v39 row_shr:2 row_mask:0xf bank_mask:0xf
	v_mov_b32_dpp v42, v28 row_shr:2 row_mask:0xf bank_mask:0xf
	v_mov_b32_dpp v43, v29 row_shr:2 row_mask:0xf bank_mask:0xf
	v_add_f64 v[10:11], v[10:11], v[12:13]
	v_add_f64 v[14:15], v[14:15], v[16:17]
	v_add_f64 v[18:19], v[18:19], v[20:21]
	v_add_f64 v[22:23], v[22:23], v[24:25]
	v_add_f64 v[32:33], v[32:33], v[34:35]
	v_add_f64 v[30:31], v[30:31], v[36:37]
	v_add_f64 v[38:39], v[38:39], v[40:41]
	v_add_f64 v[28:29], v[28:29], v[42:43]
	v_mov_b32_dpp v12, v10 row_shr:4 row_mask:0xf bank_mask:0xe
	v_mov_b32_dpp v13, v11 row_shr:4 row_mask:0xf bank_mask:0xe
	v_mov_b32_dpp v16, v14 row_shr:4 row_mask:0xf bank_mask:0xe
	v_mov_b32_dpp v17, v15 row_shr:4 row_mask:0xf bank_mask:0xe
	v_mov_b32_dpp v20, v18 row_shr:4 row_mask:0xf bank_mask:0xe
	v_mov_b32_dpp v21, v19 row_shr:4 row_mask:0xf bank_mask:0xe
	v_mov_b32_dpp v24, v22 row_shr:4 row_mask:0xf bank_mask:0xe
	v_mov_b32_dpp v25, v23 row_shr:4 row_mask:0xf bank_mask:0xe
	v_mov_b32_dpp v34, v32 row_shr:4 row_mask:0xf bank_mask:0xe
	v_mov_b32_dpp v35, v33 row_shr:4 row_mask:0xf bank_mask:0xe
	v_mov_b32_dpp v36, v30 row_shr:4 row_mask:0xf bank_mask:0xe
	v_mov_b32_dpp v37, v31 row_shr:4 row_mask:0xf bank_mask:0xe
	v_mov_b32_dpp v40, v38 row_shr:4 row_mask:0xf bank_mask:0xe
	v_mov_b32_dpp v41, v39 row_shr:4 row_mask:0xf bank_mask:0xe
	v_mov_b32_dpp v42, v28 row_shr:4 row_mask:0xf bank_mask:0xe
	v_mov_b32_dpp v43, v29 row_shr:4 row_mask:0xf bank_mask:0xe
	v_add_f64 v[10:11], v[10:11], v[12:13]
	v_add_f64 v[14:15], v[14:15], v[16:17]
	;; [unrolled: 24-line block ×3, first 2 shown]
	v_add_f64 v[18:19], v[18:19], v[20:21]
	v_add_f64 v[22:23], v[22:23], v[24:25]
	;; [unrolled: 1-line block ×6, first 2 shown]
	v_mov_b32_dpp v12, v10 row_bcast:15 row_mask:0xa bank_mask:0xf
	v_mov_b32_dpp v13, v11 row_bcast:15 row_mask:0xa bank_mask:0xf
	;; [unrolled: 1-line block ×16, first 2 shown]
	v_add_f64 v[10:11], v[10:11], v[12:13]
	v_add_f64 v[14:15], v[14:15], v[16:17]
	;; [unrolled: 1-line block ×8, first 2 shown]
	v_mov_b32_dpp v12, v10 row_bcast:31 row_mask:0xc bank_mask:0xf
	v_mov_b32_dpp v13, v11 row_bcast:31 row_mask:0xc bank_mask:0xf
	;; [unrolled: 1-line block ×16, first 2 shown]
	v_cmp_eq_u32_e32 vcc, 63, v0
	s_and_b64 exec, exec, vcc
	s_cbranch_execz .LBB39_8
; %bb.36:
	s_load_dwordx2 s[2:3], s[0:1], 0x60
	v_add_f64 v[0:1], v[10:11], v[12:13]
	v_add_f64 v[10:11], v[14:15], v[16:17]
	;; [unrolled: 1-line block ×8, first 2 shown]
	v_cmp_eq_f64_e32 vcc, 0, v[2:3]
	v_cmp_eq_f64_e64 s[0:1], 0, v[4:5]
	v_mul_f64 v[22:23], v[10:11], -v[8:9]
	v_mul_f64 v[24:25], v[6:7], v[10:11]
	v_mul_f64 v[18:19], v[12:13], -v[8:9]
	v_mul_f64 v[20:21], v[6:7], v[12:13]
	;; [unrolled: 2-line block ×4, first 2 shown]
	s_and_b64 s[0:1], vcc, s[0:1]
	v_fmac_f64_e32 v[22:23], v[6:7], v[0:1]
	v_fmac_f64_e32 v[24:25], v[8:9], v[0:1]
	v_lshlrev_b32_e32 v0, 2, v26
	v_fmac_f64_e32 v[18:19], v[6:7], v[44:45]
	v_fmac_f64_e32 v[20:21], v[8:9], v[44:45]
	;; [unrolled: 1-line block ×6, first 2 shown]
	s_waitcnt lgkmcnt(0)
	s_and_saveexec_b64 s[4:5], s[0:1]
	s_xor_b64 s[0:1], exec, s[4:5]
	s_cbranch_execz .LBB39_38
; %bb.37:
	v_ashrrev_i32_e32 v1, 31, v0
	v_lshl_add_u64 v[0:1], v[0:1], 4, s[2:3]
	global_store_dwordx4 v[0:1], v[22:25], off
	global_store_dwordx4 v[0:1], v[18:21], off offset:16
	global_store_dwordx4 v[0:1], v[14:17], off offset:32
	;; [unrolled: 1-line block ×3, first 2 shown]
                                        ; implicit-def: $vgpr4_vgpr5
                                        ; implicit-def: $vgpr22_vgpr23
                                        ; implicit-def: $vgpr0
                                        ; implicit-def: $vgpr18_vgpr19
                                        ; implicit-def: $vgpr14_vgpr15
                                        ; implicit-def: $vgpr10_vgpr11
.LBB39_38:
	s_andn2_saveexec_b64 s[0:1], s[0:1]
	s_cbranch_execz .LBB39_8
; %bb.39:
	v_ashrrev_i32_e32 v1, 31, v0
	v_lshl_add_u64 v[0:1], v[0:1], 4, s[2:3]
	global_load_dwordx4 v[6:9], v[0:1], off
	global_load_dwordx4 v[26:29], v[0:1], off offset:16
	global_load_dwordx4 v[30:33], v[0:1], off offset:32
	;; [unrolled: 1-line block ×3, first 2 shown]
	s_waitcnt vmcnt(3)
	v_fmac_f64_e32 v[22:23], v[2:3], v[6:7]
	v_fmac_f64_e32 v[24:25], v[4:5], v[6:7]
	s_waitcnt vmcnt(2)
	v_fmac_f64_e32 v[18:19], v[2:3], v[26:27]
	v_fmac_f64_e32 v[20:21], v[4:5], v[26:27]
	;; [unrolled: 3-line block ×4, first 2 shown]
	v_fma_f64 v[22:23], -v[4:5], v[8:9], v[22:23]
	v_fmac_f64_e32 v[24:25], v[2:3], v[8:9]
	v_fma_f64 v[18:19], -v[4:5], v[28:29], v[18:19]
	v_fmac_f64_e32 v[20:21], v[2:3], v[28:29]
	;; [unrolled: 2-line block ×4, first 2 shown]
	global_store_dwordx4 v[0:1], v[22:25], off
	global_store_dwordx4 v[0:1], v[18:21], off offset:16
	global_store_dwordx4 v[0:1], v[14:17], off offset:32
	;; [unrolled: 1-line block ×3, first 2 shown]
	s_endpgm
	.section	.rodata,"a",@progbits
	.p2align	6, 0x0
	.amdhsa_kernel _ZN9rocsparseL18bsrxmvn_4x4_kernelILj128ELj64E21rocsparse_complex_numIdEliS2_S2_S2_EEvT3_20rocsparse_direction_NS_24const_host_device_scalarIT1_EES3_PKS3_PKT2_SC_S9_PKT4_PKT5_S7_PT6_21rocsparse_index_base_b
		.amdhsa_group_segment_fixed_size 0
		.amdhsa_private_segment_fixed_size 0
		.amdhsa_kernarg_size 112
		.amdhsa_user_sgpr_count 2
		.amdhsa_user_sgpr_dispatch_ptr 0
		.amdhsa_user_sgpr_queue_ptr 0
		.amdhsa_user_sgpr_kernarg_segment_ptr 1
		.amdhsa_user_sgpr_dispatch_id 0
		.amdhsa_user_sgpr_kernarg_preload_length 0
		.amdhsa_user_sgpr_kernarg_preload_offset 0
		.amdhsa_user_sgpr_private_segment_size 0
		.amdhsa_uses_dynamic_stack 0
		.amdhsa_enable_private_segment 0
		.amdhsa_system_sgpr_workgroup_id_x 1
		.amdhsa_system_sgpr_workgroup_id_y 0
		.amdhsa_system_sgpr_workgroup_id_z 0
		.amdhsa_system_sgpr_workgroup_info 0
		.amdhsa_system_vgpr_workitem_id 0
		.amdhsa_next_free_vgpr 128
		.amdhsa_next_free_sgpr 30
		.amdhsa_accum_offset 128
		.amdhsa_reserve_vcc 1
		.amdhsa_float_round_mode_32 0
		.amdhsa_float_round_mode_16_64 0
		.amdhsa_float_denorm_mode_32 3
		.amdhsa_float_denorm_mode_16_64 3
		.amdhsa_dx10_clamp 1
		.amdhsa_ieee_mode 1
		.amdhsa_fp16_overflow 0
		.amdhsa_tg_split 0
		.amdhsa_exception_fp_ieee_invalid_op 0
		.amdhsa_exception_fp_denorm_src 0
		.amdhsa_exception_fp_ieee_div_zero 0
		.amdhsa_exception_fp_ieee_overflow 0
		.amdhsa_exception_fp_ieee_underflow 0
		.amdhsa_exception_fp_ieee_inexact 0
		.amdhsa_exception_int_div_zero 0
	.end_amdhsa_kernel
	.section	.text._ZN9rocsparseL18bsrxmvn_4x4_kernelILj128ELj64E21rocsparse_complex_numIdEliS2_S2_S2_EEvT3_20rocsparse_direction_NS_24const_host_device_scalarIT1_EES3_PKS3_PKT2_SC_S9_PKT4_PKT5_S7_PT6_21rocsparse_index_base_b,"axG",@progbits,_ZN9rocsparseL18bsrxmvn_4x4_kernelILj128ELj64E21rocsparse_complex_numIdEliS2_S2_S2_EEvT3_20rocsparse_direction_NS_24const_host_device_scalarIT1_EES3_PKS3_PKT2_SC_S9_PKT4_PKT5_S7_PT6_21rocsparse_index_base_b,comdat
.Lfunc_end39:
	.size	_ZN9rocsparseL18bsrxmvn_4x4_kernelILj128ELj64E21rocsparse_complex_numIdEliS2_S2_S2_EEvT3_20rocsparse_direction_NS_24const_host_device_scalarIT1_EES3_PKS3_PKT2_SC_S9_PKT4_PKT5_S7_PT6_21rocsparse_index_base_b, .Lfunc_end39-_ZN9rocsparseL18bsrxmvn_4x4_kernelILj128ELj64E21rocsparse_complex_numIdEliS2_S2_S2_EEvT3_20rocsparse_direction_NS_24const_host_device_scalarIT1_EES3_PKS3_PKT2_SC_S9_PKT4_PKT5_S7_PT6_21rocsparse_index_base_b
                                        ; -- End function
	.set _ZN9rocsparseL18bsrxmvn_4x4_kernelILj128ELj64E21rocsparse_complex_numIdEliS2_S2_S2_EEvT3_20rocsparse_direction_NS_24const_host_device_scalarIT1_EES3_PKS3_PKT2_SC_S9_PKT4_PKT5_S7_PT6_21rocsparse_index_base_b.num_vgpr, 128
	.set _ZN9rocsparseL18bsrxmvn_4x4_kernelILj128ELj64E21rocsparse_complex_numIdEliS2_S2_S2_EEvT3_20rocsparse_direction_NS_24const_host_device_scalarIT1_EES3_PKS3_PKT2_SC_S9_PKT4_PKT5_S7_PT6_21rocsparse_index_base_b.num_agpr, 0
	.set _ZN9rocsparseL18bsrxmvn_4x4_kernelILj128ELj64E21rocsparse_complex_numIdEliS2_S2_S2_EEvT3_20rocsparse_direction_NS_24const_host_device_scalarIT1_EES3_PKS3_PKT2_SC_S9_PKT4_PKT5_S7_PT6_21rocsparse_index_base_b.numbered_sgpr, 30
	.set _ZN9rocsparseL18bsrxmvn_4x4_kernelILj128ELj64E21rocsparse_complex_numIdEliS2_S2_S2_EEvT3_20rocsparse_direction_NS_24const_host_device_scalarIT1_EES3_PKS3_PKT2_SC_S9_PKT4_PKT5_S7_PT6_21rocsparse_index_base_b.num_named_barrier, 0
	.set _ZN9rocsparseL18bsrxmvn_4x4_kernelILj128ELj64E21rocsparse_complex_numIdEliS2_S2_S2_EEvT3_20rocsparse_direction_NS_24const_host_device_scalarIT1_EES3_PKS3_PKT2_SC_S9_PKT4_PKT5_S7_PT6_21rocsparse_index_base_b.private_seg_size, 0
	.set _ZN9rocsparseL18bsrxmvn_4x4_kernelILj128ELj64E21rocsparse_complex_numIdEliS2_S2_S2_EEvT3_20rocsparse_direction_NS_24const_host_device_scalarIT1_EES3_PKS3_PKT2_SC_S9_PKT4_PKT5_S7_PT6_21rocsparse_index_base_b.uses_vcc, 1
	.set _ZN9rocsparseL18bsrxmvn_4x4_kernelILj128ELj64E21rocsparse_complex_numIdEliS2_S2_S2_EEvT3_20rocsparse_direction_NS_24const_host_device_scalarIT1_EES3_PKS3_PKT2_SC_S9_PKT4_PKT5_S7_PT6_21rocsparse_index_base_b.uses_flat_scratch, 0
	.set _ZN9rocsparseL18bsrxmvn_4x4_kernelILj128ELj64E21rocsparse_complex_numIdEliS2_S2_S2_EEvT3_20rocsparse_direction_NS_24const_host_device_scalarIT1_EES3_PKS3_PKT2_SC_S9_PKT4_PKT5_S7_PT6_21rocsparse_index_base_b.has_dyn_sized_stack, 0
	.set _ZN9rocsparseL18bsrxmvn_4x4_kernelILj128ELj64E21rocsparse_complex_numIdEliS2_S2_S2_EEvT3_20rocsparse_direction_NS_24const_host_device_scalarIT1_EES3_PKS3_PKT2_SC_S9_PKT4_PKT5_S7_PT6_21rocsparse_index_base_b.has_recursion, 0
	.set _ZN9rocsparseL18bsrxmvn_4x4_kernelILj128ELj64E21rocsparse_complex_numIdEliS2_S2_S2_EEvT3_20rocsparse_direction_NS_24const_host_device_scalarIT1_EES3_PKS3_PKT2_SC_S9_PKT4_PKT5_S7_PT6_21rocsparse_index_base_b.has_indirect_call, 0
	.section	.AMDGPU.csdata,"",@progbits
; Kernel info:
; codeLenInByte = 8584
; TotalNumSgprs: 36
; NumVgprs: 128
; NumAgprs: 0
; TotalNumVgprs: 128
; ScratchSize: 0
; MemoryBound: 1
; FloatMode: 240
; IeeeMode: 1
; LDSByteSize: 0 bytes/workgroup (compile time only)
; SGPRBlocks: 4
; VGPRBlocks: 15
; NumSGPRsForWavesPerEU: 36
; NumVGPRsForWavesPerEU: 128
; AccumOffset: 128
; Occupancy: 4
; WaveLimiterHint : 1
; COMPUTE_PGM_RSRC2:SCRATCH_EN: 0
; COMPUTE_PGM_RSRC2:USER_SGPR: 2
; COMPUTE_PGM_RSRC2:TRAP_HANDLER: 0
; COMPUTE_PGM_RSRC2:TGID_X_EN: 1
; COMPUTE_PGM_RSRC2:TGID_Y_EN: 0
; COMPUTE_PGM_RSRC2:TGID_Z_EN: 0
; COMPUTE_PGM_RSRC2:TIDIG_COMP_CNT: 0
; COMPUTE_PGM_RSRC3_GFX90A:ACCUM_OFFSET: 31
; COMPUTE_PGM_RSRC3_GFX90A:TG_SPLIT: 0
	.section	.text._ZN9rocsparseL18bsrxmvn_4x4_kernelILj128ELj4EfllfffEEvT3_20rocsparse_direction_NS_24const_host_device_scalarIT1_EES1_PKS1_PKT2_SA_S7_PKT4_PKT5_S5_PT6_21rocsparse_index_base_b,"axG",@progbits,_ZN9rocsparseL18bsrxmvn_4x4_kernelILj128ELj4EfllfffEEvT3_20rocsparse_direction_NS_24const_host_device_scalarIT1_EES1_PKS1_PKT2_SA_S7_PKT4_PKT5_S5_PT6_21rocsparse_index_base_b,comdat
	.globl	_ZN9rocsparseL18bsrxmvn_4x4_kernelILj128ELj4EfllfffEEvT3_20rocsparse_direction_NS_24const_host_device_scalarIT1_EES1_PKS1_PKT2_SA_S7_PKT4_PKT5_S5_PT6_21rocsparse_index_base_b ; -- Begin function _ZN9rocsparseL18bsrxmvn_4x4_kernelILj128ELj4EfllfffEEvT3_20rocsparse_direction_NS_24const_host_device_scalarIT1_EES1_PKS1_PKT2_SA_S7_PKT4_PKT5_S5_PT6_21rocsparse_index_base_b
	.p2align	8
	.type	_ZN9rocsparseL18bsrxmvn_4x4_kernelILj128ELj4EfllfffEEvT3_20rocsparse_direction_NS_24const_host_device_scalarIT1_EES1_PKS1_PKT2_SA_S7_PKT4_PKT5_S5_PT6_21rocsparse_index_base_b,@function
_ZN9rocsparseL18bsrxmvn_4x4_kernelILj128ELj4EfllfffEEvT3_20rocsparse_direction_NS_24const_host_device_scalarIT1_EES1_PKS1_PKT2_SA_S7_PKT4_PKT5_S5_PT6_21rocsparse_index_base_b: ; @_ZN9rocsparseL18bsrxmvn_4x4_kernelILj128ELj4EfllfffEEvT3_20rocsparse_direction_NS_24const_host_device_scalarIT1_EES1_PKS1_PKT2_SA_S7_PKT4_PKT5_S5_PT6_21rocsparse_index_base_b
; %bb.0:
	s_load_dwordx2 s[4:5], s[0:1], 0x60
	s_load_dwordx4 s[16:19], s[0:1], 0x10
	s_load_dwordx2 s[20:21], s[0:1], 0x50
	s_waitcnt lgkmcnt(0)
	s_bitcmp1_b32 s5, 0
	s_cselect_b64 s[8:9], -1, 0
	s_xor_b64 s[6:7], s[8:9], -1
	s_and_b64 vcc, exec, s[8:9]
	s_cbranch_vccnz .LBB40_2
; %bb.1:
	s_load_dword s16, s[16:17], 0x0
.LBB40_2:
	s_andn2_b64 vcc, exec, s[6:7]
	s_cbranch_vccnz .LBB40_4
; %bb.3:
	s_load_dword s20, s[20:21], 0x0
.LBB40_4:
	s_waitcnt lgkmcnt(0)
	v_cmp_neq_f32_e64 s[6:7], s16, 0
	v_cmp_neq_f32_e64 s[8:9], s20, 1.0
	s_or_b64 s[6:7], s[6:7], s[8:9]
	s_andn2_b64 vcc, exec, s[6:7]
	s_cbranch_vccnz .LBB40_10
; %bb.5:
	s_load_dwordx2 s[6:7], s[0:1], 0x20
	v_lshrrev_b32_e32 v1, 2, v0
	v_lshl_or_b32 v6, s2, 5, v1
	v_mov_b32_e32 v7, 0
	s_mov_b64 s[2:3], 0
	s_waitcnt lgkmcnt(0)
	s_cmp_lg_u64 s[6:7], 0
	s_cbranch_scc0 .LBB40_11
; %bb.6:
	v_cmp_gt_i64_e32 vcc, s[18:19], v[6:7]
                                        ; implicit-def: $vgpr2_vgpr3
                                        ; implicit-def: $vgpr4_vgpr5
	s_and_saveexec_b64 s[8:9], vcc
	s_xor_b64 s[8:9], exec, s[8:9]
	s_cbranch_execz .LBB40_8
; %bb.7:
	v_lshl_add_u64 v[2:3], v[6:7], 3, s[6:7]
	global_load_dwordx2 v[2:3], v[2:3], off
	s_mov_b32 s5, 0
	s_mov_b64 s[2:3], exec
	v_mov_b64_e32 v[4:5], s[4:5]
	s_waitcnt vmcnt(0)
	v_subrev_co_u32_e32 v2, vcc, s4, v2
	s_nop 1
	v_subbrev_co_u32_e32 v3, vcc, 0, v3, vcc
.LBB40_8:
	s_or_b64 exec, exec, s[8:9]
.LBB40_9:
	s_and_saveexec_b64 s[4:5], s[2:3]
	s_cbranch_execnz .LBB40_15
.LBB40_10:
	s_endpgm
.LBB40_11:
                                        ; implicit-def: $vgpr2_vgpr3
                                        ; implicit-def: $vgpr4_vgpr5
	s_cbranch_execz .LBB40_9
; %bb.12:
	s_load_dwordx2 s[6:7], s[0:1], 0x0
	s_waitcnt lgkmcnt(0)
	v_cmp_gt_i64_e32 vcc, s[6:7], v[6:7]
	s_and_saveexec_b64 s[6:7], vcc
; %bb.13:
	s_mov_b32 s5, 0
	s_or_b64 s[2:3], s[2:3], exec
; %bb.14:
	s_or_b64 exec, exec, s[6:7]
	v_mov_b64_e32 v[4:5], s[4:5]
	v_mov_b64_e32 v[2:3], v[6:7]
	s_and_saveexec_b64 s[4:5], s[2:3]
	s_cbranch_execz .LBB40_10
.LBB40_15:
	s_load_dwordx8 s[8:15], s[0:1], 0x28
	v_lshlrev_b64 v[6:7], 3, v[2:3]
	v_and_b32_e32 v0, 3, v0
	v_mov_b32_e32 v1, 0
	s_waitcnt lgkmcnt(0)
	v_lshl_add_u64 v[8:9], s[8:9], 0, v[6:7]
	s_cmp_eq_u64 s[10:11], 0
	v_lshl_add_u64 v[6:7], s[10:11], 0, v[6:7]
	global_load_dwordx2 v[16:17], v[8:9], off
	v_lshl_add_u64 v[8:9], v[8:9], 0, 8
	s_cselect_b64 vcc, -1, 0
	v_cndmask_b32_e32 v7, v7, v9, vcc
	v_cndmask_b32_e32 v6, v6, v8, vcc
	global_load_dwordx2 v[8:9], v[6:7], off
	s_load_dword s2, s[0:1], 0x8
	s_load_dwordx2 s[10:11], s[0:1], 0x48
	s_waitcnt lgkmcnt(0)
	s_cmp_eq_u32 s2, 1
	s_waitcnt vmcnt(1)
	v_sub_co_u32_e32 v6, vcc, v16, v4
	s_nop 1
	v_subb_co_u32_e32 v7, vcc, v17, v5, vcc
	v_lshl_add_u64 v[6:7], v[6:7], 0, v[0:1]
	s_waitcnt vmcnt(0)
	v_sub_co_u32_e32 v8, vcc, v8, v4
	v_lshlrev_b64 v[10:11], 6, v[6:7]
	s_nop 0
	v_subb_co_u32_e32 v9, vcc, v9, v5, vcc
	v_lshl_add_u64 v[10:11], s[14:15], 0, v[10:11]
	v_cmp_lt_i64_e64 s[2:3], v[6:7], v[8:9]
	s_cbranch_scc1 .LBB40_27
; %bb.16:
	v_mov_b32_e32 v14, v1
	v_mov_b32_e32 v13, v1
	;; [unrolled: 1-line block ×3, first 2 shown]
	s_and_saveexec_b64 s[14:15], s[2:3]
	s_cbranch_execz .LBB40_26
; %bb.17:
	v_or_b32_e32 v1, 4, v0
	v_sub_co_u32_e32 v12, vcc, v1, v4
	v_not_b32_e32 v15, v17
	s_nop 0
	v_subb_co_u32_e32 v13, vcc, 0, v5, vcc
	v_lshl_add_u64 v[12:13], v[12:13], 0, v[16:17]
	v_cmp_gt_i64_e32 vcc, v[12:13], v[8:9]
	v_not_b32_e32 v14, v16
	v_mov_b64_e32 v[20:21], v[10:11]
	v_cndmask_b32_e32 v13, v9, v13, vcc
	v_cndmask_b32_e32 v12, v8, v12, vcc
	v_sub_co_u32_e32 v18, vcc, v4, v0
	s_nop 1
	v_subbrev_co_u32_e32 v19, vcc, 0, v5, vcc
	v_lshl_add_u64 v[14:15], v[18:19], 0, v[14:15]
	v_lshl_add_u64 v[22:23], v[14:15], 0, v[12:13]
	v_and_b32_e32 v12, 12, v22
	v_mov_b32_e32 v13, 0
	v_cmp_ne_u64_e32 vcc, 12, v[12:13]
	v_mov_b32_e32 v12, v13
	v_mov_b32_e32 v14, v13
	;; [unrolled: 1-line block ×3, first 2 shown]
	v_mov_b64_e32 v[18:19], v[6:7]
	s_and_saveexec_b64 s[4:5], vcc
	s_cbranch_execz .LBB40_21
; %bb.18:
	v_lshrrev_b32_e32 v1, 2, v22
	v_add_u32_e32 v1, 1, v1
	v_and_b32_e32 v1, 3, v1
	v_sub_co_u32_e32 v26, vcc, 0, v1
	v_mov_b32_e32 v12, 0
	s_nop 0
	v_subb_co_u32_e64 v27, s[8:9], 0, 0, vcc
	v_lshl_add_u64 v[24:25], v[6:7], 3, s[12:13]
	s_mov_b64 s[6:7], 0
	s_mov_b64 s[8:9], 0x100
	v_mov_b64_e32 v[20:21], v[10:11]
	v_mov_b64_e32 v[18:19], v[6:7]
	v_mov_b32_e32 v13, v12
	v_mov_b32_e32 v14, v12
	v_mov_b32_e32 v15, v12
.LBB40_19:                              ; =>This Inner Loop Header: Depth=1
	global_load_dwordx2 v[36:37], v[24:25], off
	global_load_dwordx4 v[42:45], v[20:21], off
	global_load_dwordx4 v[28:31], v[20:21], off offset:16
	global_load_dwordx4 v[32:35], v[20:21], off offset:48
	;; [unrolled: 1-line block ×3, first 2 shown]
	v_lshl_add_u64 v[26:27], v[26:27], 0, 1
	v_lshl_add_u64 v[20:21], v[20:21], 0, s[8:9]
	;; [unrolled: 1-line block ×4, first 2 shown]
	s_waitcnt vmcnt(4)
	v_sub_co_u32_e32 v36, vcc, v36, v4
	s_nop 1
	v_subb_co_u32_e32 v37, vcc, v37, v5, vcc
	v_lshl_add_u64 v[36:37], v[36:37], 4, s[10:11]
	global_load_dwordx4 v[36:39], v[36:37], off
	s_waitcnt vmcnt(4)
	v_mov_b32_e32 v40, v42
	s_waitcnt vmcnt(3)
	v_mov_b32_e32 v41, v28
	v_mov_b32_e32 v28, v43
	v_mov_b32_e32 v42, v44
	v_mov_b32_e32 v43, v30
	v_mov_b32_e32 v30, v45
	s_waitcnt vmcnt(1)
	v_mov_b32_e32 v44, v46
	v_mov_b32_e32 v45, v32
	;; [unrolled: 1-line block ×5, first 2 shown]
	v_cmp_eq_u64_e32 vcc, 0, v[26:27]
	v_mov_b32_e32 v34, v49
	s_or_b64 s[6:7], vcc, s[6:7]
	s_waitcnt vmcnt(0)
	v_pk_fma_f32 v[12:13], v[40:41], v[36:37], v[12:13] op_sel_hi:[1,0,1]
	v_pk_fma_f32 v[14:15], v[44:45], v[36:37], v[14:15] op_sel_hi:[1,0,1]
	v_pk_fma_f32 v[12:13], v[28:29], v[36:37], v[12:13] op_sel:[0,1,0]
	v_pk_fma_f32 v[14:15], v[32:33], v[36:37], v[14:15] op_sel:[0,1,0]
	v_mov_b32_e32 v40, v39
	v_pk_fma_f32 v[12:13], v[42:43], v[38:39], v[12:13] op_sel_hi:[1,0,1]
	v_pk_fma_f32 v[14:15], v[46:47], v[38:39], v[14:15] op_sel_hi:[1,0,1]
	;; [unrolled: 1-line block ×4, first 2 shown]
	s_andn2_b64 exec, exec, s[6:7]
	s_cbranch_execnz .LBB40_19
; %bb.20:
	s_or_b64 exec, exec, s[6:7]
.LBB40_21:
	s_or_b64 exec, exec, s[4:5]
	v_cmp_lt_u64_e32 vcc, 11, v[22:23]
	s_and_saveexec_b64 s[18:19], vcc
	s_cbranch_execz .LBB40_25
; %bb.22:
	v_lshl_add_u64 v[22:23], v[18:19], 3, s[12:13]
	v_lshl_add_u64 v[22:23], v[22:23], 0, 64
	s_mov_b64 s[22:23], 0
	s_mov_b64 s[24:25], 0x80
	;; [unrolled: 1-line block ×3, first 2 shown]
.LBB40_23:                              ; =>This Inner Loop Header: Depth=1
	global_load_dwordx2 v[24:25], v[22:23], off offset:-64
	global_load_dwordx2 v[58:59], v[22:23], off offset:-32
	global_load_dwordx2 v[60:61], v[22:23], off
	global_load_dwordx4 v[82:85], v[20:21], off
	global_load_dwordx2 v[62:63], v[22:23], off offset:32
	global_load_dwordx4 v[26:29], v[20:21], off offset:16
	global_load_dwordx4 v[30:33], v[20:21], off offset:48
	;; [unrolled: 1-line block ×15, first 2 shown]
	v_lshl_add_u64 v[18:19], v[18:19], 0, 16
	v_cmp_ge_i64_e32 vcc, v[18:19], v[8:9]
	s_or_b64 s[22:23], vcc, s[22:23]
	v_lshl_add_u64 v[22:23], v[22:23], 0, s[24:25]
	v_lshl_add_u64 v[20:21], v[20:21], 0, s[26:27]
	s_waitcnt vmcnt(19)
	v_sub_co_u32_e32 v24, vcc, v24, v4
	s_waitcnt vmcnt(18)
	v_sub_co_u32_e64 v58, s[4:5], v58, v4
	s_waitcnt vmcnt(17)
	v_sub_co_u32_e64 v60, s[6:7], v60, v4
	;; [unrolled: 2-line block ×3, first 2 shown]
	v_subb_co_u32_e32 v25, vcc, v25, v5, vcc
	v_subb_co_u32_e64 v59, vcc, v59, v5, s[4:5]
	v_subb_co_u32_e64 v61, vcc, v61, v5, s[6:7]
	;; [unrolled: 1-line block ×3, first 2 shown]
	v_lshl_add_u64 v[24:25], v[24:25], 4, s[10:11]
	v_lshl_add_u64 v[76:77], v[58:59], 4, s[10:11]
	;; [unrolled: 1-line block ×4, first 2 shown]
	global_load_dwordx4 v[58:61], v[24:25], off
	global_load_dwordx4 v[62:65], v[76:77], off
	;; [unrolled: 1-line block ×4, first 2 shown]
	v_mov_b32_e32 v74, v82
	s_waitcnt vmcnt(18)
	v_mov_b32_e32 v75, v26
	s_waitcnt vmcnt(16)
	v_mov_b32_e32 v24, v86
	v_mov_b32_e32 v25, v30
	;; [unrolled: 1-line block ×10, first 2 shown]
	s_waitcnt vmcnt(12)
	v_mov_b32_e32 v80, v94
	v_mov_b32_e32 v81, v38
	;; [unrolled: 1-line block ×12, first 2 shown]
	s_waitcnt vmcnt(8)
	v_mov_b32_e32 v84, v102
	v_mov_b32_e32 v85, v46
	;; [unrolled: 1-line block ×9, first 2 shown]
	s_waitcnt vmcnt(3)
	v_pk_fma_f32 v[12:13], v[74:75], v[58:59], v[12:13] op_sel_hi:[1,0,1]
	v_pk_fma_f32 v[14:15], v[24:25], v[58:59], v[14:15] op_sel_hi:[1,0,1]
	v_pk_fma_f32 v[12:13], v[26:27], v[58:59], v[12:13] op_sel:[0,1,0]
	v_pk_fma_f32 v[14:15], v[30:31], v[58:59], v[14:15] op_sel:[0,1,0]
	v_pk_fma_f32 v[12:13], v[76:77], v[60:61], v[12:13] op_sel_hi:[1,0,1]
	v_pk_fma_f32 v[14:15], v[78:79], v[60:61], v[14:15] op_sel_hi:[1,0,1]
	v_mov_b32_e32 v58, v61
	v_pk_fma_f32 v[12:13], v[28:29], v[58:59], v[12:13] op_sel_hi:[1,0,1]
	v_pk_fma_f32 v[14:15], v[32:33], v[58:59], v[14:15] op_sel_hi:[1,0,1]
	s_waitcnt vmcnt(2)
	v_pk_fma_f32 v[12:13], v[80:81], v[62:63], v[12:13] op_sel_hi:[1,0,1]
	v_pk_fma_f32 v[14:15], v[86:87], v[62:63], v[14:15] op_sel_hi:[1,0,1]
	v_pk_fma_f32 v[12:13], v[38:39], v[62:63], v[12:13] op_sel:[0,1,0]
	v_pk_fma_f32 v[14:15], v[34:35], v[62:63], v[14:15] op_sel:[0,1,0]
	v_mov_b32_e32 v28, v65
	v_pk_fma_f32 v[12:13], v[82:83], v[64:65], v[12:13] op_sel_hi:[1,0,1]
	v_pk_fma_f32 v[14:15], v[88:89], v[64:65], v[14:15] op_sel_hi:[1,0,1]
	;; [unrolled: 1-line block ×4, first 2 shown]
	s_waitcnt vmcnt(1)
	v_pk_fma_f32 v[12:13], v[84:85], v[66:67], v[12:13] op_sel_hi:[1,0,1]
	v_pk_fma_f32 v[14:15], v[90:91], v[66:67], v[14:15] op_sel_hi:[1,0,1]
	v_mov_b32_e32 v26, v100
	v_mov_b32_e32 v27, v44
	v_pk_fma_f32 v[12:13], v[46:47], v[66:67], v[12:13] op_sel:[0,1,0]
	v_pk_fma_f32 v[14:15], v[42:43], v[66:67], v[14:15] op_sel:[0,1,0]
	v_mov_b32_e32 v44, v101
	v_mov_b32_e32 v76, v69
	v_pk_fma_f32 v[12:13], v[92:93], v[68:69], v[12:13] op_sel_hi:[1,0,1]
	v_pk_fma_f32 v[14:15], v[26:27], v[68:69], v[14:15] op_sel_hi:[1,0,1]
	v_mov_b32_e32 v74, v110
	v_mov_b32_e32 v75, v54
	;; [unrolled: 1-line block ×4, first 2 shown]
	v_pk_fma_f32 v[12:13], v[48:49], v[76:77], v[12:13] op_sel_hi:[1,0,1]
	v_pk_fma_f32 v[14:15], v[44:45], v[76:77], v[14:15] op_sel_hi:[1,0,1]
	v_mov_b32_e32 v54, v111
	v_mov_b32_e32 v50, v107
	s_waitcnt vmcnt(0)
	v_pk_fma_f32 v[12:13], v[74:75], v[70:71], v[12:13] op_sel_hi:[1,0,1]
	v_pk_fma_f32 v[14:15], v[30:31], v[70:71], v[14:15] op_sel_hi:[1,0,1]
	v_mov_b32_e32 v24, v112
	v_mov_b32_e32 v25, v56
	;; [unrolled: 1-line block ×4, first 2 shown]
	v_pk_fma_f32 v[12:13], v[54:55], v[70:71], v[12:13] op_sel:[0,1,0]
	v_pk_fma_f32 v[14:15], v[50:51], v[70:71], v[14:15] op_sel:[0,1,0]
	v_mov_b32_e32 v56, v113
	v_mov_b32_e32 v52, v109
	v_mov_b32_e32 v32, v73
	v_pk_fma_f32 v[12:13], v[24:25], v[72:73], v[12:13] op_sel_hi:[1,0,1]
	v_pk_fma_f32 v[14:15], v[60:61], v[72:73], v[14:15] op_sel_hi:[1,0,1]
	;; [unrolled: 1-line block ×4, first 2 shown]
	s_andn2_b64 exec, exec, s[22:23]
	s_cbranch_execnz .LBB40_23
; %bb.24:
	s_or_b64 exec, exec, s[22:23]
.LBB40_25:
	s_or_b64 exec, exec, s[18:19]
	v_mov_b32_e32 v1, v15
.LBB40_26:
	s_or_b64 exec, exec, s[14:15]
	v_mov_b32_e32 v15, v1
	s_cbranch_execz .LBB40_28
	s_branch .LBB40_39
.LBB40_27:
                                        ; implicit-def: $vgpr15
                                        ; implicit-def: $vgpr13
.LBB40_28:
	v_mov_b32_e32 v15, 0
	v_mov_b32_e32 v14, 0
	;; [unrolled: 1-line block ×4, first 2 shown]
	s_and_saveexec_b64 s[4:5], s[2:3]
	s_cbranch_execz .LBB40_38
; %bb.29:
	v_or_b32_e32 v1, 4, v0
	v_sub_co_u32_e32 v12, vcc, v1, v4
	v_not_b32_e32 v14, v16
	s_nop 0
	v_subb_co_u32_e32 v13, vcc, 0, v5, vcc
	v_lshl_add_u64 v[12:13], v[12:13], 0, v[16:17]
	v_cmp_gt_i64_e32 vcc, v[12:13], v[8:9]
	v_not_b32_e32 v15, v17
	s_nop 0
	v_cndmask_b32_e32 v13, v9, v13, vcc
	v_cndmask_b32_e32 v12, v8, v12, vcc
	v_sub_co_u32_e32 v16, vcc, v4, v0
	s_nop 1
	v_subbrev_co_u32_e32 v17, vcc, 0, v5, vcc
	v_lshl_add_u64 v[14:15], v[16:17], 0, v[14:15]
	v_lshl_add_u64 v[16:17], v[14:15], 0, v[12:13]
	v_and_b32_e32 v12, 12, v16
	v_mov_b32_e32 v13, 0
	v_cmp_ne_u64_e32 vcc, 12, v[12:13]
	v_mov_b32_e32 v12, v13
	v_mov_b32_e32 v14, v13
	;; [unrolled: 1-line block ×3, first 2 shown]
	s_and_saveexec_b64 s[2:3], vcc
	s_cbranch_execz .LBB40_33
; %bb.30:
	v_lshrrev_b32_e32 v1, 2, v16
	v_add_u32_e32 v1, 1, v1
	v_and_b32_e32 v1, 3, v1
	v_sub_co_u32_e32 v20, vcc, 0, v1
	v_mov_b32_e32 v12, 0
	s_nop 0
	v_subb_co_u32_e64 v21, s[8:9], 0, 0, vcc
	v_lshl_add_u64 v[18:19], v[6:7], 3, s[12:13]
	s_mov_b64 s[6:7], 0
	s_mov_b64 s[8:9], 0x100
	v_mov_b32_e32 v13, v12
	v_mov_b32_e32 v14, v12
	;; [unrolled: 1-line block ×3, first 2 shown]
.LBB40_31:                              ; =>This Inner Loop Header: Depth=1
	global_load_dwordx2 v[30:31], v[18:19], off
	global_load_dwordx4 v[22:25], v[10:11], off offset:16
	global_load_dwordx4 v[26:29], v[10:11], off
	v_lshl_add_u64 v[20:21], v[20:21], 0, 1
	v_lshl_add_u64 v[6:7], v[6:7], 0, 4
	;; [unrolled: 1-line block ×3, first 2 shown]
	s_waitcnt vmcnt(2)
	v_sub_co_u32_e32 v30, vcc, v30, v4
	s_nop 1
	v_subb_co_u32_e32 v31, vcc, v31, v5, vcc
	v_lshl_add_u64 v[42:43], v[30:31], 4, s[10:11]
	global_load_dwordx4 v[30:33], v[42:43], off
	global_load_dwordx4 v[34:37], v[10:11], off offset:32
	global_load_dwordx4 v[38:41], v[10:11], off offset:48
	v_cmp_eq_u64_e32 vcc, 0, v[20:21]
	v_lshl_add_u64 v[10:11], v[10:11], 0, s[8:9]
	s_or_b64 s[6:7], vcc, s[6:7]
	s_waitcnt vmcnt(2)
	v_pk_fma_f32 v[12:13], v[26:27], v[30:31], v[12:13] op_sel_hi:[1,0,1]
	v_pk_fma_f32 v[14:15], v[28:29], v[30:31], v[14:15] op_sel_hi:[1,0,1]
	v_pk_fma_f32 v[12:13], v[22:23], v[30:31], v[12:13] op_sel:[0,1,0]
	v_pk_fma_f32 v[14:15], v[24:25], v[30:31], v[14:15] op_sel:[0,1,0]
	v_mov_b32_e32 v26, v33
	s_waitcnt vmcnt(1)
	v_pk_fma_f32 v[12:13], v[34:35], v[32:33], v[12:13] op_sel_hi:[1,0,1]
	v_pk_fma_f32 v[14:15], v[36:37], v[32:33], v[14:15] op_sel_hi:[1,0,1]
	s_waitcnt vmcnt(0)
	v_pk_fma_f32 v[12:13], v[38:39], v[26:27], v[12:13] op_sel_hi:[1,0,1]
	v_pk_fma_f32 v[14:15], v[40:41], v[26:27], v[14:15] op_sel_hi:[1,0,1]
	s_andn2_b64 exec, exec, s[6:7]
	s_cbranch_execnz .LBB40_31
; %bb.32:
	s_or_b64 exec, exec, s[6:7]
.LBB40_33:
	s_or_b64 exec, exec, s[2:3]
	v_cmp_lt_u64_e32 vcc, 11, v[16:17]
	s_and_saveexec_b64 s[2:3], vcc
	s_cbranch_execz .LBB40_37
; %bb.34:
	v_lshl_add_u64 v[16:17], v[6:7], 3, s[12:13]
	v_lshl_add_u64 v[16:17], v[16:17], 0, 64
	s_mov_b64 s[6:7], 0
	s_mov_b64 s[8:9], 0x80
	;; [unrolled: 1-line block ×3, first 2 shown]
.LBB40_35:                              ; =>This Inner Loop Header: Depth=1
	global_load_dwordx2 v[74:75], v[16:17], off offset:-64
	global_load_dwordx2 v[76:77], v[16:17], off offset:-32
	global_load_dwordx2 v[78:79], v[16:17], off
	global_load_dwordx2 v[80:81], v[16:17], off offset:32
	global_load_dwordx4 v[18:21], v[10:11], off offset:48
	global_load_dwordx4 v[22:25], v[10:11], off offset:32
	;; [unrolled: 1-line block ×3, first 2 shown]
	global_load_dwordx4 v[30:33], v[10:11], off
	global_load_dwordx4 v[34:37], v[10:11], off offset:304
	global_load_dwordx4 v[38:41], v[10:11], off offset:288
	;; [unrolled: 1-line block ×10, first 2 shown]
	v_lshl_add_u64 v[6:7], v[6:7], 0, 16
	v_lshl_add_u64 v[16:17], v[16:17], 0, s[8:9]
	s_waitcnt vmcnt(17)
	v_sub_co_u32_e32 v74, vcc, v74, v4
	s_nop 1
	v_subb_co_u32_e32 v75, vcc, v75, v5, vcc
	s_waitcnt vmcnt(16)
	v_sub_co_u32_e32 v76, vcc, v76, v4
	v_lshl_add_u64 v[98:99], v[74:75], 4, s[10:11]
	s_nop 0
	v_subb_co_u32_e32 v77, vcc, v77, v5, vcc
	s_waitcnt vmcnt(15)
	v_sub_co_u32_e32 v78, vcc, v78, v4
	v_lshl_add_u64 v[100:101], v[76:77], 4, s[10:11]
	;; [unrolled: 5-line block ×3, first 2 shown]
	s_nop 0
	v_subb_co_u32_e32 v81, vcc, v81, v5, vcc
	v_lshl_add_u64 v[104:105], v[80:81], 4, s[10:11]
	global_load_dwordx4 v[74:77], v[98:99], off
	global_load_dwordx4 v[78:81], v[100:101], off
	;; [unrolled: 1-line block ×4, first 2 shown]
	global_load_dwordx4 v[90:93], v[10:11], off offset:800
	global_load_dwordx4 v[94:97], v[10:11], off offset:816
	v_cmp_ge_i64_e32 vcc, v[6:7], v[8:9]
	v_lshl_add_u64 v[10:11], v[10:11], 0, s[12:13]
	s_or_b64 s[6:7], vcc, s[6:7]
	s_waitcnt vmcnt(5)
	v_pk_fma_f32 v[12:13], v[30:31], v[74:75], v[12:13] op_sel_hi:[1,0,1]
	v_pk_fma_f32 v[14:15], v[32:33], v[74:75], v[14:15] op_sel_hi:[1,0,1]
	v_pk_fma_f32 v[12:13], v[26:27], v[74:75], v[12:13] op_sel:[0,1,0]
	v_pk_fma_f32 v[14:15], v[28:29], v[74:75], v[14:15] op_sel:[0,1,0]
	v_mov_b32_e32 v30, v77
	v_pk_fma_f32 v[12:13], v[22:23], v[76:77], v[12:13] op_sel_hi:[1,0,1]
	v_pk_fma_f32 v[14:15], v[24:25], v[76:77], v[14:15] op_sel_hi:[1,0,1]
	v_pk_fma_f32 v[12:13], v[18:19], v[30:31], v[12:13] op_sel_hi:[1,0,1]
	v_pk_fma_f32 v[14:15], v[20:21], v[30:31], v[14:15] op_sel_hi:[1,0,1]
	s_waitcnt vmcnt(4)
	v_pk_fma_f32 v[12:13], v[46:47], v[78:79], v[12:13] op_sel_hi:[1,0,1]
	v_pk_fma_f32 v[14:15], v[48:49], v[78:79], v[14:15] op_sel_hi:[1,0,1]
	v_pk_fma_f32 v[12:13], v[42:43], v[78:79], v[12:13] op_sel:[0,1,0]
	v_pk_fma_f32 v[14:15], v[44:45], v[78:79], v[14:15] op_sel:[0,1,0]
	v_mov_b32_e32 v32, v81
	v_pk_fma_f32 v[12:13], v[38:39], v[80:81], v[12:13] op_sel_hi:[1,0,1]
	v_pk_fma_f32 v[14:15], v[40:41], v[80:81], v[14:15] op_sel_hi:[1,0,1]
	v_pk_fma_f32 v[12:13], v[34:35], v[32:33], v[12:13] op_sel_hi:[1,0,1]
	v_pk_fma_f32 v[14:15], v[36:37], v[32:33], v[14:15] op_sel_hi:[1,0,1]
	;; [unrolled: 10-line block ×3, first 2 shown]
	s_waitcnt vmcnt(2)
	v_pk_fma_f32 v[12:13], v[70:71], v[86:87], v[12:13] op_sel_hi:[1,0,1]
	v_pk_fma_f32 v[14:15], v[72:73], v[86:87], v[14:15] op_sel_hi:[1,0,1]
	v_pk_fma_f32 v[12:13], v[66:67], v[86:87], v[12:13] op_sel:[0,1,0]
	v_pk_fma_f32 v[14:15], v[68:69], v[86:87], v[14:15] op_sel:[0,1,0]
	v_mov_b32_e32 v100, v89
	s_waitcnt vmcnt(1)
	v_pk_fma_f32 v[12:13], v[90:91], v[88:89], v[12:13] op_sel_hi:[1,0,1]
	v_pk_fma_f32 v[14:15], v[92:93], v[88:89], v[14:15] op_sel_hi:[1,0,1]
	s_waitcnt vmcnt(0)
	v_pk_fma_f32 v[12:13], v[94:95], v[100:101], v[12:13] op_sel_hi:[1,0,1]
	v_pk_fma_f32 v[14:15], v[96:97], v[100:101], v[14:15] op_sel_hi:[1,0,1]
	s_andn2_b64 exec, exec, s[6:7]
	s_cbranch_execnz .LBB40_35
; %bb.36:
	s_or_b64 exec, exec, s[6:7]
.LBB40_37:
	s_or_b64 exec, exec, s[2:3]
.LBB40_38:
	s_or_b64 exec, exec, s[4:5]
.LBB40_39:
	v_mov_b32_dpp v4, v12 row_shr:1 row_mask:0xf bank_mask:0xf
	v_mov_b32_dpp v5, v13 row_shr:1 row_mask:0xf bank_mask:0xf
	;; [unrolled: 1-line block ×4, first 2 shown]
	v_pk_add_f32 v[4:5], v[12:13], v[4:5]
	v_pk_add_f32 v[8:9], v[14:15], v[8:9]
	v_cmp_eq_u32_e32 vcc, 3, v0
	v_mov_b32_dpp v6, v4 row_shr:2 row_mask:0xf bank_mask:0xf
	v_mov_b32_dpp v7, v5 row_shr:2 row_mask:0xf bank_mask:0xf
	;; [unrolled: 1-line block ×4, first 2 shown]
	s_and_b64 exec, exec, vcc
	s_cbranch_execz .LBB40_10
; %bb.40:
	s_load_dwordx2 s[0:1], s[0:1], 0x58
	v_cmp_eq_f32_e64 s[2:3], s20, 0
	v_pk_add_f32 v[6:7], v[4:5], v[6:7]
	v_pk_add_f32 v[4:5], v[8:9], v[10:11]
	s_and_b64 vcc, exec, s[2:3]
	s_waitcnt lgkmcnt(0)
	v_lshl_add_u64 v[0:1], v[2:3], 4, s[0:1]
	s_cbranch_vccz .LBB40_42
; %bb.41:
	v_pk_mul_f32 v[8:9], s[16:17], v[6:7] op_sel_hi:[0,1]
	v_pk_mul_f32 v[10:11], s[16:17], v[4:5] op_sel_hi:[0,1]
	global_store_dwordx4 v[0:1], v[8:11], off
	s_cbranch_execnz .LBB40_10
	s_branch .LBB40_43
.LBB40_42:
.LBB40_43:
	global_load_dwordx4 v[8:11], v[0:1], off
	v_pk_mul_f32 v[2:3], s[16:17], v[6:7] op_sel_hi:[0,1]
	v_pk_mul_f32 v[4:5], s[16:17], v[4:5] op_sel_hi:[0,1]
	s_waitcnt vmcnt(0)
	v_pk_fma_f32 v[2:3], s[20:21], v[8:9], v[2:3] op_sel_hi:[0,1,1]
	v_pk_fma_f32 v[4:5], s[20:21], v[10:11], v[4:5] op_sel_hi:[0,1,1]
	global_store_dwordx4 v[0:1], v[2:5], off
	s_endpgm
	.section	.rodata,"a",@progbits
	.p2align	6, 0x0
	.amdhsa_kernel _ZN9rocsparseL18bsrxmvn_4x4_kernelILj128ELj4EfllfffEEvT3_20rocsparse_direction_NS_24const_host_device_scalarIT1_EES1_PKS1_PKT2_SA_S7_PKT4_PKT5_S5_PT6_21rocsparse_index_base_b
		.amdhsa_group_segment_fixed_size 0
		.amdhsa_private_segment_fixed_size 0
		.amdhsa_kernarg_size 104
		.amdhsa_user_sgpr_count 2
		.amdhsa_user_sgpr_dispatch_ptr 0
		.amdhsa_user_sgpr_queue_ptr 0
		.amdhsa_user_sgpr_kernarg_segment_ptr 1
		.amdhsa_user_sgpr_dispatch_id 0
		.amdhsa_user_sgpr_kernarg_preload_length 0
		.amdhsa_user_sgpr_kernarg_preload_offset 0
		.amdhsa_user_sgpr_private_segment_size 0
		.amdhsa_uses_dynamic_stack 0
		.amdhsa_enable_private_segment 0
		.amdhsa_system_sgpr_workgroup_id_x 1
		.amdhsa_system_sgpr_workgroup_id_y 0
		.amdhsa_system_sgpr_workgroup_id_z 0
		.amdhsa_system_sgpr_workgroup_info 0
		.amdhsa_system_vgpr_workitem_id 0
		.amdhsa_next_free_vgpr 114
		.amdhsa_next_free_sgpr 28
		.amdhsa_accum_offset 116
		.amdhsa_reserve_vcc 1
		.amdhsa_float_round_mode_32 0
		.amdhsa_float_round_mode_16_64 0
		.amdhsa_float_denorm_mode_32 3
		.amdhsa_float_denorm_mode_16_64 3
		.amdhsa_dx10_clamp 1
		.amdhsa_ieee_mode 1
		.amdhsa_fp16_overflow 0
		.amdhsa_tg_split 0
		.amdhsa_exception_fp_ieee_invalid_op 0
		.amdhsa_exception_fp_denorm_src 0
		.amdhsa_exception_fp_ieee_div_zero 0
		.amdhsa_exception_fp_ieee_overflow 0
		.amdhsa_exception_fp_ieee_underflow 0
		.amdhsa_exception_fp_ieee_inexact 0
		.amdhsa_exception_int_div_zero 0
	.end_amdhsa_kernel
	.section	.text._ZN9rocsparseL18bsrxmvn_4x4_kernelILj128ELj4EfllfffEEvT3_20rocsparse_direction_NS_24const_host_device_scalarIT1_EES1_PKS1_PKT2_SA_S7_PKT4_PKT5_S5_PT6_21rocsparse_index_base_b,"axG",@progbits,_ZN9rocsparseL18bsrxmvn_4x4_kernelILj128ELj4EfllfffEEvT3_20rocsparse_direction_NS_24const_host_device_scalarIT1_EES1_PKS1_PKT2_SA_S7_PKT4_PKT5_S5_PT6_21rocsparse_index_base_b,comdat
.Lfunc_end40:
	.size	_ZN9rocsparseL18bsrxmvn_4x4_kernelILj128ELj4EfllfffEEvT3_20rocsparse_direction_NS_24const_host_device_scalarIT1_EES1_PKS1_PKT2_SA_S7_PKT4_PKT5_S5_PT6_21rocsparse_index_base_b, .Lfunc_end40-_ZN9rocsparseL18bsrxmvn_4x4_kernelILj128ELj4EfllfffEEvT3_20rocsparse_direction_NS_24const_host_device_scalarIT1_EES1_PKS1_PKT2_SA_S7_PKT4_PKT5_S5_PT6_21rocsparse_index_base_b
                                        ; -- End function
	.set _ZN9rocsparseL18bsrxmvn_4x4_kernelILj128ELj4EfllfffEEvT3_20rocsparse_direction_NS_24const_host_device_scalarIT1_EES1_PKS1_PKT2_SA_S7_PKT4_PKT5_S5_PT6_21rocsparse_index_base_b.num_vgpr, 114
	.set _ZN9rocsparseL18bsrxmvn_4x4_kernelILj128ELj4EfllfffEEvT3_20rocsparse_direction_NS_24const_host_device_scalarIT1_EES1_PKS1_PKT2_SA_S7_PKT4_PKT5_S5_PT6_21rocsparse_index_base_b.num_agpr, 0
	.set _ZN9rocsparseL18bsrxmvn_4x4_kernelILj128ELj4EfllfffEEvT3_20rocsparse_direction_NS_24const_host_device_scalarIT1_EES1_PKS1_PKT2_SA_S7_PKT4_PKT5_S5_PT6_21rocsparse_index_base_b.numbered_sgpr, 28
	.set _ZN9rocsparseL18bsrxmvn_4x4_kernelILj128ELj4EfllfffEEvT3_20rocsparse_direction_NS_24const_host_device_scalarIT1_EES1_PKS1_PKT2_SA_S7_PKT4_PKT5_S5_PT6_21rocsparse_index_base_b.num_named_barrier, 0
	.set _ZN9rocsparseL18bsrxmvn_4x4_kernelILj128ELj4EfllfffEEvT3_20rocsparse_direction_NS_24const_host_device_scalarIT1_EES1_PKS1_PKT2_SA_S7_PKT4_PKT5_S5_PT6_21rocsparse_index_base_b.private_seg_size, 0
	.set _ZN9rocsparseL18bsrxmvn_4x4_kernelILj128ELj4EfllfffEEvT3_20rocsparse_direction_NS_24const_host_device_scalarIT1_EES1_PKS1_PKT2_SA_S7_PKT4_PKT5_S5_PT6_21rocsparse_index_base_b.uses_vcc, 1
	.set _ZN9rocsparseL18bsrxmvn_4x4_kernelILj128ELj4EfllfffEEvT3_20rocsparse_direction_NS_24const_host_device_scalarIT1_EES1_PKS1_PKT2_SA_S7_PKT4_PKT5_S5_PT6_21rocsparse_index_base_b.uses_flat_scratch, 0
	.set _ZN9rocsparseL18bsrxmvn_4x4_kernelILj128ELj4EfllfffEEvT3_20rocsparse_direction_NS_24const_host_device_scalarIT1_EES1_PKS1_PKT2_SA_S7_PKT4_PKT5_S5_PT6_21rocsparse_index_base_b.has_dyn_sized_stack, 0
	.set _ZN9rocsparseL18bsrxmvn_4x4_kernelILj128ELj4EfllfffEEvT3_20rocsparse_direction_NS_24const_host_device_scalarIT1_EES1_PKS1_PKT2_SA_S7_PKT4_PKT5_S5_PT6_21rocsparse_index_base_b.has_recursion, 0
	.set _ZN9rocsparseL18bsrxmvn_4x4_kernelILj128ELj4EfllfffEEvT3_20rocsparse_direction_NS_24const_host_device_scalarIT1_EES1_PKS1_PKT2_SA_S7_PKT4_PKT5_S5_PT6_21rocsparse_index_base_b.has_indirect_call, 0
	.section	.AMDGPU.csdata,"",@progbits
; Kernel info:
; codeLenInByte = 3140
; TotalNumSgprs: 34
; NumVgprs: 114
; NumAgprs: 0
; TotalNumVgprs: 114
; ScratchSize: 0
; MemoryBound: 1
; FloatMode: 240
; IeeeMode: 1
; LDSByteSize: 0 bytes/workgroup (compile time only)
; SGPRBlocks: 4
; VGPRBlocks: 14
; NumSGPRsForWavesPerEU: 34
; NumVGPRsForWavesPerEU: 114
; AccumOffset: 116
; Occupancy: 4
; WaveLimiterHint : 1
; COMPUTE_PGM_RSRC2:SCRATCH_EN: 0
; COMPUTE_PGM_RSRC2:USER_SGPR: 2
; COMPUTE_PGM_RSRC2:TRAP_HANDLER: 0
; COMPUTE_PGM_RSRC2:TGID_X_EN: 1
; COMPUTE_PGM_RSRC2:TGID_Y_EN: 0
; COMPUTE_PGM_RSRC2:TGID_Z_EN: 0
; COMPUTE_PGM_RSRC2:TIDIG_COMP_CNT: 0
; COMPUTE_PGM_RSRC3_GFX90A:ACCUM_OFFSET: 28
; COMPUTE_PGM_RSRC3_GFX90A:TG_SPLIT: 0
	.section	.text._ZN9rocsparseL18bsrxmvn_4x4_kernelILj128ELj8EfllfffEEvT3_20rocsparse_direction_NS_24const_host_device_scalarIT1_EES1_PKS1_PKT2_SA_S7_PKT4_PKT5_S5_PT6_21rocsparse_index_base_b,"axG",@progbits,_ZN9rocsparseL18bsrxmvn_4x4_kernelILj128ELj8EfllfffEEvT3_20rocsparse_direction_NS_24const_host_device_scalarIT1_EES1_PKS1_PKT2_SA_S7_PKT4_PKT5_S5_PT6_21rocsparse_index_base_b,comdat
	.globl	_ZN9rocsparseL18bsrxmvn_4x4_kernelILj128ELj8EfllfffEEvT3_20rocsparse_direction_NS_24const_host_device_scalarIT1_EES1_PKS1_PKT2_SA_S7_PKT4_PKT5_S5_PT6_21rocsparse_index_base_b ; -- Begin function _ZN9rocsparseL18bsrxmvn_4x4_kernelILj128ELj8EfllfffEEvT3_20rocsparse_direction_NS_24const_host_device_scalarIT1_EES1_PKS1_PKT2_SA_S7_PKT4_PKT5_S5_PT6_21rocsparse_index_base_b
	.p2align	8
	.type	_ZN9rocsparseL18bsrxmvn_4x4_kernelILj128ELj8EfllfffEEvT3_20rocsparse_direction_NS_24const_host_device_scalarIT1_EES1_PKS1_PKT2_SA_S7_PKT4_PKT5_S5_PT6_21rocsparse_index_base_b,@function
_ZN9rocsparseL18bsrxmvn_4x4_kernelILj128ELj8EfllfffEEvT3_20rocsparse_direction_NS_24const_host_device_scalarIT1_EES1_PKS1_PKT2_SA_S7_PKT4_PKT5_S5_PT6_21rocsparse_index_base_b: ; @_ZN9rocsparseL18bsrxmvn_4x4_kernelILj128ELj8EfllfffEEvT3_20rocsparse_direction_NS_24const_host_device_scalarIT1_EES1_PKS1_PKT2_SA_S7_PKT4_PKT5_S5_PT6_21rocsparse_index_base_b
; %bb.0:
	s_load_dwordx2 s[4:5], s[0:1], 0x60
	s_load_dwordx4 s[12:15], s[0:1], 0x10
	s_load_dwordx2 s[16:17], s[0:1], 0x50
	s_waitcnt lgkmcnt(0)
	s_bitcmp1_b32 s5, 0
	s_cselect_b64 s[8:9], -1, 0
	s_xor_b64 s[6:7], s[8:9], -1
	s_and_b64 vcc, exec, s[8:9]
	s_cbranch_vccnz .LBB41_2
; %bb.1:
	s_load_dword s12, s[12:13], 0x0
.LBB41_2:
	s_andn2_b64 vcc, exec, s[6:7]
	s_cbranch_vccnz .LBB41_4
; %bb.3:
	s_load_dword s16, s[16:17], 0x0
.LBB41_4:
	s_waitcnt lgkmcnt(0)
	v_cmp_neq_f32_e64 s[6:7], s12, 0
	v_cmp_neq_f32_e64 s[8:9], s16, 1.0
	s_or_b64 s[6:7], s[6:7], s[8:9]
	s_andn2_b64 vcc, exec, s[6:7]
	s_cbranch_vccnz .LBB41_10
; %bb.5:
	s_load_dwordx2 s[6:7], s[0:1], 0x20
	v_lshrrev_b32_e32 v1, 3, v0
	v_lshl_or_b32 v2, s2, 4, v1
	v_mov_b32_e32 v3, 0
	s_mov_b64 s[2:3], 0
	s_waitcnt lgkmcnt(0)
	s_cmp_lg_u64 s[6:7], 0
	s_cbranch_scc0 .LBB41_11
; %bb.6:
	v_cmp_gt_i64_e32 vcc, s[14:15], v[2:3]
                                        ; implicit-def: $vgpr40_vgpr41
                                        ; implicit-def: $vgpr42_vgpr43
	s_and_saveexec_b64 s[8:9], vcc
	s_xor_b64 s[8:9], exec, s[8:9]
	s_cbranch_execz .LBB41_8
; %bb.7:
	v_lshl_add_u64 v[4:5], v[2:3], 3, s[6:7]
	global_load_dwordx2 v[4:5], v[4:5], off
	s_mov_b32 s5, 0
	s_mov_b64 s[2:3], exec
	v_mov_b64_e32 v[42:43], s[4:5]
	s_waitcnt vmcnt(0)
	v_subrev_co_u32_e32 v40, vcc, s4, v4
	s_nop 1
	v_subbrev_co_u32_e32 v41, vcc, 0, v5, vcc
.LBB41_8:
	s_or_b64 exec, exec, s[8:9]
.LBB41_9:
	s_and_saveexec_b64 s[4:5], s[2:3]
	s_cbranch_execnz .LBB41_15
.LBB41_10:
	s_endpgm
.LBB41_11:
                                        ; implicit-def: $vgpr40_vgpr41
                                        ; implicit-def: $vgpr42_vgpr43
	s_cbranch_execz .LBB41_9
; %bb.12:
	s_load_dwordx2 s[6:7], s[0:1], 0x0
	s_waitcnt lgkmcnt(0)
	v_cmp_gt_i64_e32 vcc, s[6:7], v[2:3]
	s_and_saveexec_b64 s[6:7], vcc
; %bb.13:
	s_mov_b32 s5, 0
	s_or_b64 s[2:3], s[2:3], exec
; %bb.14:
	s_or_b64 exec, exec, s[6:7]
	v_mov_b64_e32 v[42:43], s[4:5]
	v_mov_b64_e32 v[40:41], v[2:3]
	s_and_saveexec_b64 s[4:5], s[2:3]
	s_cbranch_execz .LBB41_10
.LBB41_15:
	s_load_dwordx8 s[4:11], s[0:1], 0x28
	v_lshlrev_b64 v[2:3], 3, v[40:41]
	v_and_b32_e32 v44, 7, v0
	v_mov_b32_e32 v45, 0
	s_waitcnt lgkmcnt(0)
	v_lshl_add_u64 v[4:5], s[4:5], 0, v[2:3]
	s_cmp_eq_u64 s[6:7], 0
	v_lshl_add_u64 v[2:3], s[6:7], 0, v[2:3]
	global_load_dwordx2 v[52:53], v[4:5], off
	v_lshl_add_u64 v[4:5], v[4:5], 0, 8
	s_cselect_b64 vcc, -1, 0
	v_cndmask_b32_e32 v3, v3, v5, vcc
	v_cndmask_b32_e32 v2, v2, v4, vcc
	global_load_dwordx2 v[2:3], v[2:3], off
	s_load_dword s2, s[0:1], 0x8
	s_load_dwordx2 s[4:5], s[0:1], 0x48
	s_waitcnt lgkmcnt(0)
	s_cmp_eq_u32 s2, 1
	s_waitcnt vmcnt(1)
	v_sub_co_u32_e32 v0, vcc, v52, v42
	s_nop 1
	v_subb_co_u32_e32 v1, vcc, v53, v43, vcc
	v_lshl_add_u64 v[46:47], v[0:1], 0, v[44:45]
	s_waitcnt vmcnt(0)
	v_sub_co_u32_e32 v48, vcc, v2, v42
	v_lshlrev_b64 v[0:1], 6, v[46:47]
	s_nop 0
	v_subb_co_u32_e32 v49, vcc, v3, v43, vcc
	v_lshl_add_u64 v[50:51], s[10:11], 0, v[0:1]
	v_cmp_lt_i64_e64 s[2:3], v[46:47], v[48:49]
	s_cbranch_scc1 .LBB41_27
; %bb.16:
	v_mov_b32_e32 v20, v45
	v_mov_b32_e32 v23, v45
	;; [unrolled: 1-line block ×3, first 2 shown]
	s_and_saveexec_b64 s[6:7], s[2:3]
	s_cbranch_execz .LBB41_26
; %bb.17:
	v_or_b32_e32 v0, 8, v44
	v_sub_co_u32_e32 v0, vcc, v0, v42
	v_not_b32_e32 v3, v53
	s_nop 0
	v_subb_co_u32_e32 v1, vcc, 0, v43, vcc
	v_lshl_add_u64 v[0:1], v[0:1], 0, v[52:53]
	v_cmp_gt_i64_e32 vcc, v[0:1], v[48:49]
	v_not_b32_e32 v2, v52
	v_mov_b32_e32 v23, 0
	v_cndmask_b32_e32 v1, v49, v1, vcc
	v_cndmask_b32_e32 v0, v48, v0, vcc
	v_sub_co_u32_e32 v4, vcc, v42, v44
	v_mov_b32_e32 v20, v23
	s_nop 0
	v_subbrev_co_u32_e32 v5, vcc, 0, v43, vcc
	v_lshl_add_u64 v[2:3], v[4:5], 0, v[2:3]
	v_lshl_add_u64 v[0:1], v[2:3], 0, v[0:1]
	v_and_b32_e32 v22, 24, v0
	v_cmp_ne_u64_e32 vcc, 24, v[22:23]
	v_mov_b32_e32 v22, v23
	v_mov_b32_e32 v21, v23
	v_mov_b64_e32 v[54:55], v[46:47]
	v_mov_b64_e32 v[56:57], v[50:51]
	s_and_saveexec_b64 s[10:11], vcc
	s_cbranch_execz .LBB41_21
; %bb.18:
	v_lshrrev_b32_e32 v2, 3, v0
	v_add_u32_e32 v2, 1, v2
	v_and_b32_e32 v4, 3, v2
	v_sub_co_u32_e32 v4, vcc, 0, v4
	v_mov_b32_e32 v21, 0
	s_nop 0
	v_subb_co_u32_e64 v5, s[18:19], 0, 0, vcc
	v_lshl_add_u64 v[2:3], v[46:47], 3, s[8:9]
	s_mov_b64 s[14:15], 0
	s_mov_b64 s[18:19], 0x200
	v_mov_b64_e32 v[56:57], v[50:51]
	v_mov_b64_e32 v[54:55], v[46:47]
	v_mov_b32_e32 v20, v21
	v_mov_b32_e32 v23, v21
	;; [unrolled: 1-line block ×3, first 2 shown]
.LBB41_19:                              ; =>This Inner Loop Header: Depth=1
	global_load_dwordx2 v[14:15], v[2:3], off
	global_load_dwordx4 v[24:27], v[56:57], off
	global_load_dwordx4 v[6:9], v[56:57], off offset:16
	global_load_dwordx4 v[10:13], v[56:57], off offset:48
	;; [unrolled: 1-line block ×3, first 2 shown]
	v_lshl_add_u64 v[4:5], v[4:5], 0, 1
	v_lshl_add_u64 v[56:57], v[56:57], 0, s[18:19]
	;; [unrolled: 1-line block ×4, first 2 shown]
	s_waitcnt vmcnt(4)
	v_sub_co_u32_e32 v14, vcc, v14, v42
	s_nop 1
	v_subb_co_u32_e32 v15, vcc, v15, v43, vcc
	v_lshl_add_u64 v[14:15], v[14:15], 4, s[4:5]
	global_load_dwordx4 v[14:17], v[14:15], off
	s_waitcnt vmcnt(4)
	v_mov_b32_e32 v18, v24
	s_waitcnt vmcnt(3)
	v_mov_b32_e32 v19, v6
	v_mov_b32_e32 v6, v25
	;; [unrolled: 1-line block ×5, first 2 shown]
	s_waitcnt vmcnt(1)
	v_mov_b32_e32 v26, v28
	v_mov_b32_e32 v27, v10
	;; [unrolled: 1-line block ×5, first 2 shown]
	v_cmp_eq_u64_e32 vcc, 0, v[4:5]
	v_mov_b32_e32 v12, v31
	s_or_b64 s[14:15], vcc, s[14:15]
	s_waitcnt vmcnt(0)
	v_pk_fma_f32 v[18:19], v[18:19], v[14:15], v[22:23] op_sel_hi:[1,0,1]
	v_pk_fma_f32 v[20:21], v[26:27], v[14:15], v[20:21] op_sel_hi:[1,0,1]
	v_pk_fma_f32 v[6:7], v[6:7], v[14:15], v[18:19] op_sel:[0,1,0]
	v_pk_fma_f32 v[10:11], v[10:11], v[14:15], v[20:21] op_sel:[0,1,0]
	v_mov_b32_e32 v30, v17
	v_pk_fma_f32 v[6:7], v[24:25], v[16:17], v[6:7] op_sel_hi:[1,0,1]
	v_pk_fma_f32 v[10:11], v[28:29], v[16:17], v[10:11] op_sel_hi:[1,0,1]
	;; [unrolled: 1-line block ×4, first 2 shown]
	s_andn2_b64 exec, exec, s[14:15]
	s_cbranch_execnz .LBB41_19
; %bb.20:
	s_or_b64 exec, exec, s[14:15]
.LBB41_21:
	s_or_b64 exec, exec, s[10:11]
	v_cmp_lt_u64_e32 vcc, 23, v[0:1]
	s_and_saveexec_b64 s[10:11], vcc
	s_cbranch_execz .LBB41_25
; %bb.22:
	v_lshl_add_u64 v[0:1], v[54:55], 3, s[8:9]
	s_mov_b64 s[14:15], 0x80
	v_lshl_add_u64 v[58:59], v[0:1], 0, s[14:15]
	s_mov_b64 s[14:15], 0
	s_mov_b64 s[18:19], 0x800
	;; [unrolled: 1-line block ×3, first 2 shown]
.LBB41_23:                              ; =>This Inner Loop Header: Depth=1
	global_load_dwordx2 v[36:37], v[58:59], off offset:-128
	global_load_dwordx2 v[38:39], v[58:59], off offset:-64
	global_load_dwordx2 v[60:61], v[58:59], off
	global_load_dwordx4 v[72:75], v[56:57], off
	global_load_dwordx4 v[28:31], v[56:57], off offset:16
	global_load_dwordx2 v[62:63], v[58:59], off offset:64
	global_load_dwordx4 v[0:3], v[56:57], off offset:1072
	global_load_dwordx4 v[8:11], v[56:57], off offset:1056
	;; [unrolled: 1-line block ×11, first 2 shown]
	v_lshl_add_u64 v[54:55], v[54:55], 0, 32
	v_lshl_add_u64 v[58:59], v[58:59], 0, s[20:21]
	s_waitcnt vmcnt(16)
	v_sub_co_u32_e32 v36, vcc, v36, v42
	s_nop 1
	v_subb_co_u32_e32 v37, vcc, v37, v43, vcc
	s_waitcnt vmcnt(15)
	v_sub_co_u32_e32 v38, vcc, v38, v42
	v_lshl_add_u64 v[70:71], v[36:37], 4, s[4:5]
	s_nop 0
	v_subb_co_u32_e32 v39, vcc, v39, v43, vcc
	s_waitcnt vmcnt(14)
	v_sub_co_u32_e32 v64, vcc, v60, v42
	s_waitcnt vmcnt(13)
	v_mov_b32_e32 v66, v72
	v_subb_co_u32_e32 v65, vcc, v61, v43, vcc
	s_waitcnt vmcnt(11)
	v_sub_co_u32_e32 v68, vcc, v62, v42
	v_mov_b32_e32 v67, v28
	v_mov_b32_e32 v28, v73
	v_subb_co_u32_e32 v69, vcc, v63, v43, vcc
	v_lshl_add_u64 v[72:73], v[38:39], 4, s[4:5]
	global_load_dwordx4 v[36:39], v[70:71], off
	global_load_dwordx4 v[60:63], v[72:73], off
	v_lshl_add_u64 v[64:65], v[64:65], 4, s[4:5]
	v_lshl_add_u64 v[68:69], v[68:69], 4, s[4:5]
	v_cmp_ge_i64_e32 vcc, v[54:55], v[48:49]
	s_or_b64 s[14:15], vcc, s[14:15]
	s_waitcnt vmcnt(1)
	v_pk_fma_f32 v[22:23], v[66:67], v[36:37], v[22:23] op_sel_hi:[1,0,1]
	v_mov_b32_e32 v66, v76
	v_mov_b32_e32 v67, v32
	v_pk_fma_f32 v[20:21], v[66:67], v[36:37], v[20:21] op_sel_hi:[1,0,1]
	v_mov_b32_e32 v66, v74
	v_mov_b32_e32 v67, v30
	;; [unrolled: 1-line block ×3, first 2 shown]
	v_pk_fma_f32 v[22:23], v[28:29], v[36:37], v[22:23] op_sel:[0,1,0]
	v_pk_fma_f32 v[20:21], v[32:33], v[36:37], v[20:21] op_sel:[0,1,0]
	v_pk_fma_f32 v[28:29], v[66:67], v[38:39], v[22:23] op_sel_hi:[1,0,1]
	v_mov_b32_e32 v22, v78
	v_mov_b32_e32 v23, v34
	v_pk_fma_f32 v[32:33], v[22:23], v[38:39], v[20:21] op_sel_hi:[1,0,1]
	v_mov_b32_e32 v36, v39
	v_mov_b32_e32 v30, v75
	;; [unrolled: 1-line block ×3, first 2 shown]
	global_load_dwordx4 v[20:23], v[56:57], off offset:1552
	global_load_dwordx4 v[92:95], v[56:57], off offset:1568
	v_pk_fma_f32 v[66:67], v[30:31], v[36:37], v[28:29] op_sel_hi:[1,0,1]
	global_load_dwordx4 v[28:31], v[56:57], off offset:1584
	v_pk_fma_f32 v[70:71], v[34:35], v[36:37], v[32:33] op_sel_hi:[1,0,1]
	global_load_dwordx4 v[36:39], v[64:65], off
	global_load_dwordx4 v[32:35], v[68:69], off
	v_mov_b32_e32 v64, v84
	v_mov_b32_e32 v65, v24
	s_waitcnt vmcnt(5)
	v_pk_fma_f32 v[64:65], v[64:65], v[60:61], v[66:67] op_sel_hi:[1,0,1]
	v_mov_b32_e32 v66, v80
	v_mov_b32_e32 v67, v16
	;; [unrolled: 1-line block ×3, first 2 shown]
	v_pk_fma_f32 v[66:67], v[66:67], v[60:61], v[70:71] op_sel_hi:[1,0,1]
	v_mov_b32_e32 v16, v81
	v_mov_b32_e32 v68, v86
	;; [unrolled: 1-line block ×3, first 2 shown]
	v_pk_fma_f32 v[24:25], v[24:25], v[60:61], v[64:65] op_sel:[0,1,0]
	v_mov_b32_e32 v64, v82
	v_mov_b32_e32 v65, v18
	v_pk_fma_f32 v[16:17], v[16:17], v[60:61], v[66:67] op_sel:[0,1,0]
	v_pk_fma_f32 v[24:25], v[68:69], v[62:63], v[24:25] op_sel_hi:[1,0,1]
	v_pk_fma_f32 v[16:17], v[64:65], v[62:63], v[16:17] op_sel_hi:[1,0,1]
	v_mov_b32_e32 v62, v63
	v_mov_b32_e32 v26, v87
	;; [unrolled: 1-line block ×7, first 2 shown]
	v_pk_fma_f32 v[24:25], v[26:27], v[62:63], v[24:25] op_sel_hi:[1,0,1]
	v_mov_b32_e32 v26, v12
	v_mov_b32_e32 v27, v4
	v_pk_fma_f32 v[16:17], v[18:19], v[62:63], v[16:17] op_sel_hi:[1,0,1]
	v_mov_b32_e32 v18, v8
	v_mov_b32_e32 v19, v0
	v_pk_mov_b32 v[12:13], v[12:13], v[60:61] op_sel:[1,0]
	v_pk_mov_b32 v[8:9], v[8:9], v[64:65] op_sel:[1,0]
	v_mov_b32_e32 v4, v14
	v_mov_b32_e32 v5, v6
	;; [unrolled: 1-line block ×8, first 2 shown]
	v_lshl_add_u64 v[56:57], v[56:57], 0, s[18:19]
	s_waitcnt vmcnt(4)
	v_mov_b32_e32 v15, v20
	s_waitcnt vmcnt(3)
	v_mov_b32_e32 v10, v92
	v_mov_b32_e32 v20, v89
	s_waitcnt vmcnt(2)
	v_mov_b32_e32 v11, v28
	s_waitcnt vmcnt(1)
	v_pk_fma_f32 v[24:25], v[26:27], v[36:37], v[24:25] op_sel_hi:[1,0,1]
	v_pk_fma_f32 v[16:17], v[18:19], v[36:37], v[16:17] op_sel_hi:[1,0,1]
	v_pk_fma_f32 v[12:13], v[12:13], v[36:37], v[24:25] op_sel:[0,1,0]
	v_pk_fma_f32 v[8:9], v[8:9], v[36:37], v[16:17] op_sel:[0,1,0]
	v_mov_b32_e32 v64, v39
	v_pk_fma_f32 v[4:5], v[4:5], v[38:39], v[12:13] op_sel_hi:[1,0,1]
	v_pk_fma_f32 v[0:1], v[0:1], v[38:39], v[8:9] op_sel_hi:[1,0,1]
	;; [unrolled: 1-line block ×4, first 2 shown]
	v_mov_b32_e32 v28, v93
	s_waitcnt vmcnt(0)
	v_pk_fma_f32 v[2:3], v[14:15], v[32:33], v[4:5] op_sel_hi:[1,0,1]
	v_pk_fma_f32 v[0:1], v[10:11], v[32:33], v[0:1] op_sel_hi:[1,0,1]
	v_mov_b32_e32 v61, v22
	v_mov_b32_e32 v62, v94
	;; [unrolled: 1-line block ×3, first 2 shown]
	v_pk_fma_f32 v[2:3], v[20:21], v[32:33], v[2:3] op_sel:[0,1,0]
	v_pk_fma_f32 v[0:1], v[28:29], v[32:33], v[0:1] op_sel:[0,1,0]
	v_mov_b32_e32 v22, v91
	v_mov_b32_e32 v30, v95
	;; [unrolled: 1-line block ×3, first 2 shown]
	v_pk_fma_f32 v[2:3], v[60:61], v[34:35], v[2:3] op_sel_hi:[1,0,1]
	v_pk_fma_f32 v[0:1], v[62:63], v[34:35], v[0:1] op_sel_hi:[1,0,1]
	;; [unrolled: 1-line block ×4, first 2 shown]
	s_andn2_b64 exec, exec, s[14:15]
	s_cbranch_execnz .LBB41_23
; %bb.24:
	s_or_b64 exec, exec, s[14:15]
.LBB41_25:
	s_or_b64 exec, exec, s[10:11]
	v_mov_b32_e32 v45, v21
.LBB41_26:
	s_or_b64 exec, exec, s[6:7]
	v_mov_b32_e32 v21, v45
	s_cbranch_execz .LBB41_28
	s_branch .LBB41_39
.LBB41_27:
                                        ; implicit-def: $vgpr21
                                        ; implicit-def: $vgpr23
.LBB41_28:
	v_mov_b32_e32 v21, 0
	v_mov_b32_e32 v20, 0
	;; [unrolled: 1-line block ×4, first 2 shown]
	s_and_saveexec_b64 s[6:7], s[2:3]
	s_cbranch_execz .LBB41_38
; %bb.29:
	v_or_b32_e32 v0, 8, v44
	v_sub_co_u32_e32 v0, vcc, v0, v42
	v_not_b32_e32 v3, v53
	s_nop 0
	v_subb_co_u32_e32 v1, vcc, 0, v43, vcc
	v_lshl_add_u64 v[0:1], v[0:1], 0, v[52:53]
	v_cmp_gt_i64_e32 vcc, v[0:1], v[48:49]
	v_not_b32_e32 v2, v52
	v_mov_b32_e32 v23, 0
	v_cndmask_b32_e32 v1, v49, v1, vcc
	v_cndmask_b32_e32 v0, v48, v0, vcc
	v_sub_co_u32_e32 v4, vcc, v42, v44
	v_mov_b32_e32 v20, v23
	s_nop 0
	v_subbrev_co_u32_e32 v5, vcc, 0, v43, vcc
	v_lshl_add_u64 v[2:3], v[4:5], 0, v[2:3]
	v_lshl_add_u64 v[0:1], v[2:3], 0, v[0:1]
	v_and_b32_e32 v22, 24, v0
	v_cmp_ne_u64_e32 vcc, 24, v[22:23]
	v_mov_b32_e32 v22, v23
	v_mov_b32_e32 v21, v23
	s_and_saveexec_b64 s[2:3], vcc
	s_cbranch_execz .LBB41_33
; %bb.30:
	v_lshrrev_b32_e32 v2, 3, v0
	v_add_u32_e32 v2, 1, v2
	v_and_b32_e32 v4, 3, v2
	v_sub_co_u32_e32 v4, vcc, 0, v4
	v_mov_b32_e32 v21, 0
	s_nop 0
	v_subb_co_u32_e64 v5, s[14:15], 0, 0, vcc
	v_lshl_add_u64 v[2:3], v[46:47], 3, s[8:9]
	s_mov_b64 s[10:11], 0
	s_mov_b64 s[14:15], 0x200
	v_mov_b32_e32 v20, v21
	v_mov_b32_e32 v23, v21
	;; [unrolled: 1-line block ×3, first 2 shown]
.LBB41_31:                              ; =>This Inner Loop Header: Depth=1
	global_load_dwordx2 v[14:15], v[2:3], off
	global_load_dwordx4 v[6:9], v[50:51], off offset:16
	global_load_dwordx4 v[10:13], v[50:51], off
	v_lshl_add_u64 v[4:5], v[4:5], 0, 1
	v_lshl_add_u64 v[46:47], v[46:47], 0, 8
	;; [unrolled: 1-line block ×3, first 2 shown]
	s_waitcnt vmcnt(2)
	v_sub_co_u32_e32 v14, vcc, v14, v42
	s_nop 1
	v_subb_co_u32_e32 v15, vcc, v15, v43, vcc
	v_lshl_add_u64 v[18:19], v[14:15], 4, s[4:5]
	global_load_dwordx4 v[14:17], v[18:19], off
	global_load_dwordx4 v[24:27], v[50:51], off offset:32
	global_load_dwordx4 v[28:31], v[50:51], off offset:48
	v_cmp_eq_u64_e32 vcc, 0, v[4:5]
	v_lshl_add_u64 v[50:51], v[50:51], 0, s[14:15]
	s_or_b64 s[10:11], vcc, s[10:11]
	s_waitcnt vmcnt(2)
	v_pk_fma_f32 v[10:11], v[10:11], v[14:15], v[22:23] op_sel_hi:[1,0,1]
	v_pk_fma_f32 v[12:13], v[12:13], v[14:15], v[20:21] op_sel_hi:[1,0,1]
	v_pk_fma_f32 v[6:7], v[6:7], v[14:15], v[10:11] op_sel:[0,1,0]
	v_pk_fma_f32 v[8:9], v[8:9], v[14:15], v[12:13] op_sel:[0,1,0]
	v_mov_b32_e32 v18, v17
	s_waitcnt vmcnt(1)
	v_pk_fma_f32 v[6:7], v[24:25], v[16:17], v[6:7] op_sel_hi:[1,0,1]
	v_pk_fma_f32 v[8:9], v[26:27], v[16:17], v[8:9] op_sel_hi:[1,0,1]
	s_waitcnt vmcnt(0)
	v_pk_fma_f32 v[22:23], v[28:29], v[18:19], v[6:7] op_sel_hi:[1,0,1]
	v_pk_fma_f32 v[20:21], v[30:31], v[18:19], v[8:9] op_sel_hi:[1,0,1]
	s_andn2_b64 exec, exec, s[10:11]
	s_cbranch_execnz .LBB41_31
; %bb.32:
	s_or_b64 exec, exec, s[10:11]
.LBB41_33:
	s_or_b64 exec, exec, s[2:3]
	v_cmp_lt_u64_e32 vcc, 23, v[0:1]
	s_and_saveexec_b64 s[2:3], vcc
	s_cbranch_execz .LBB41_37
; %bb.34:
	v_lshl_add_u64 v[0:1], v[46:47], 3, s[8:9]
	s_mov_b64 s[8:9], 0x80
	v_lshl_add_u64 v[0:1], v[0:1], 0, s[8:9]
	s_mov_b64 s[8:9], 0
	s_mov_b64 s[10:11], 0x100
	;; [unrolled: 1-line block ×3, first 2 shown]
.LBB41_35:                              ; =>This Inner Loop Header: Depth=1
	global_load_dwordx2 v[18:19], v[0:1], off offset:-128
	global_load_dwordx2 v[76:77], v[0:1], off offset:-64
	global_load_dwordx2 v[78:79], v[0:1], off
	global_load_dwordx2 v[80:81], v[0:1], off offset:64
	global_load_dwordx4 v[2:5], v[50:51], off offset:48
	global_load_dwordx4 v[6:9], v[50:51], off offset:32
	global_load_dwordx4 v[10:13], v[50:51], off offset:16
	global_load_dwordx4 v[14:17], v[50:51], off
	global_load_dwordx4 v[24:27], v[50:51], off offset:560
	global_load_dwordx4 v[28:31], v[50:51], off offset:544
	;; [unrolled: 1-line block ×10, first 2 shown]
	v_lshl_add_u64 v[46:47], v[46:47], 0, 32
	v_lshl_add_u64 v[0:1], v[0:1], 0, s[10:11]
	s_waitcnt vmcnt(17)
	v_sub_co_u32_e32 v18, vcc, v18, v42
	s_nop 1
	v_subb_co_u32_e32 v19, vcc, v19, v43, vcc
	s_waitcnt vmcnt(16)
	v_sub_co_u32_e32 v76, vcc, v76, v42
	v_lshl_add_u64 v[18:19], v[18:19], 4, s[4:5]
	s_nop 0
	v_subb_co_u32_e32 v77, vcc, v77, v43, vcc
	s_waitcnt vmcnt(15)
	v_sub_co_u32_e32 v78, vcc, v78, v42
	v_lshl_add_u64 v[100:101], v[76:77], 4, s[4:5]
	;; [unrolled: 5-line block ×3, first 2 shown]
	s_nop 0
	v_subb_co_u32_e32 v81, vcc, v81, v43, vcc
	v_lshl_add_u64 v[104:105], v[80:81], 4, s[4:5]
	global_load_dwordx4 v[76:79], v[18:19], off
	global_load_dwordx4 v[80:83], v[100:101], off
	;; [unrolled: 1-line block ×4, first 2 shown]
	global_load_dwordx4 v[92:95], v[50:51], off offset:1568
	global_load_dwordx4 v[96:99], v[50:51], off offset:1584
	v_cmp_ge_i64_e32 vcc, v[46:47], v[48:49]
	v_lshl_add_u64 v[50:51], v[50:51], 0, s[14:15]
	s_or_b64 s[8:9], vcc, s[8:9]
	s_waitcnt vmcnt(5)
	v_pk_fma_f32 v[14:15], v[14:15], v[76:77], v[22:23] op_sel_hi:[1,0,1]
	v_pk_fma_f32 v[16:17], v[16:17], v[76:77], v[20:21] op_sel_hi:[1,0,1]
	v_pk_fma_f32 v[10:11], v[10:11], v[76:77], v[14:15] op_sel:[0,1,0]
	v_pk_fma_f32 v[12:13], v[12:13], v[76:77], v[16:17] op_sel:[0,1,0]
	v_mov_b32_e32 v18, v79
	v_pk_fma_f32 v[6:7], v[6:7], v[78:79], v[10:11] op_sel_hi:[1,0,1]
	v_pk_fma_f32 v[8:9], v[8:9], v[78:79], v[12:13] op_sel_hi:[1,0,1]
	v_pk_fma_f32 v[2:3], v[2:3], v[18:19], v[6:7] op_sel_hi:[1,0,1]
	v_pk_fma_f32 v[4:5], v[4:5], v[18:19], v[8:9] op_sel_hi:[1,0,1]
	s_waitcnt vmcnt(4)
	v_pk_fma_f32 v[2:3], v[36:37], v[80:81], v[2:3] op_sel_hi:[1,0,1]
	v_pk_fma_f32 v[4:5], v[38:39], v[80:81], v[4:5] op_sel_hi:[1,0,1]
	v_pk_fma_f32 v[2:3], v[32:33], v[80:81], v[2:3] op_sel:[0,1,0]
	v_pk_fma_f32 v[4:5], v[34:35], v[80:81], v[4:5] op_sel:[0,1,0]
	v_mov_b32_e32 v20, v83
	v_pk_fma_f32 v[2:3], v[28:29], v[82:83], v[2:3] op_sel_hi:[1,0,1]
	v_pk_fma_f32 v[4:5], v[30:31], v[82:83], v[4:5] op_sel_hi:[1,0,1]
	v_pk_fma_f32 v[2:3], v[24:25], v[20:21], v[2:3] op_sel_hi:[1,0,1]
	v_pk_fma_f32 v[4:5], v[26:27], v[20:21], v[4:5] op_sel_hi:[1,0,1]
	;; [unrolled: 10-line block ×3, first 2 shown]
	s_waitcnt vmcnt(2)
	v_pk_fma_f32 v[2:3], v[72:73], v[88:89], v[2:3] op_sel_hi:[1,0,1]
	v_pk_fma_f32 v[4:5], v[74:75], v[88:89], v[4:5] op_sel_hi:[1,0,1]
	v_pk_fma_f32 v[2:3], v[68:69], v[88:89], v[2:3] op_sel:[0,1,0]
	v_pk_fma_f32 v[4:5], v[70:71], v[88:89], v[4:5] op_sel:[0,1,0]
	v_mov_b32_e32 v100, v91
	s_waitcnt vmcnt(1)
	v_pk_fma_f32 v[2:3], v[92:93], v[90:91], v[2:3] op_sel_hi:[1,0,1]
	v_pk_fma_f32 v[4:5], v[94:95], v[90:91], v[4:5] op_sel_hi:[1,0,1]
	s_waitcnt vmcnt(0)
	v_pk_fma_f32 v[22:23], v[96:97], v[100:101], v[2:3] op_sel_hi:[1,0,1]
	v_pk_fma_f32 v[20:21], v[98:99], v[100:101], v[4:5] op_sel_hi:[1,0,1]
	s_andn2_b64 exec, exec, s[8:9]
	s_cbranch_execnz .LBB41_35
; %bb.36:
	s_or_b64 exec, exec, s[8:9]
.LBB41_37:
	s_or_b64 exec, exec, s[2:3]
.LBB41_38:
	s_or_b64 exec, exec, s[6:7]
.LBB41_39:
	v_mov_b32_dpp v0, v22 row_shr:1 row_mask:0xf bank_mask:0xf
	v_mov_b32_dpp v1, v23 row_shr:1 row_mask:0xf bank_mask:0xf
	;; [unrolled: 1-line block ×4, first 2 shown]
	v_pk_add_f32 v[0:1], v[22:23], v[0:1]
	v_pk_add_f32 v[4:5], v[20:21], v[4:5]
	v_cmp_eq_u32_e32 vcc, 7, v44
	v_mov_b32_dpp v2, v0 row_shr:2 row_mask:0xf bank_mask:0xf
	v_mov_b32_dpp v3, v1 row_shr:2 row_mask:0xf bank_mask:0xf
	;; [unrolled: 1-line block ×4, first 2 shown]
	v_pk_add_f32 v[0:1], v[0:1], v[2:3]
	v_pk_add_f32 v[6:7], v[4:5], v[6:7]
	s_nop 0
	v_mov_b32_dpp v2, v0 row_shr:4 row_mask:0xf bank_mask:0xe
	v_mov_b32_dpp v3, v1 row_shr:4 row_mask:0xf bank_mask:0xe
	;; [unrolled: 1-line block ×4, first 2 shown]
	s_and_b64 exec, exec, vcc
	s_cbranch_execz .LBB41_10
; %bb.40:
	s_load_dwordx2 s[0:1], s[0:1], 0x58
	v_cmp_eq_f32_e64 s[2:3], s16, 0
	v_pk_add_f32 v[4:5], v[0:1], v[2:3]
	v_pk_add_f32 v[2:3], v[6:7], v[8:9]
	s_and_b64 vcc, exec, s[2:3]
	s_waitcnt lgkmcnt(0)
	v_lshl_add_u64 v[0:1], v[40:41], 4, s[0:1]
	s_cbranch_vccz .LBB41_42
; %bb.41:
	v_pk_mul_f32 v[6:7], s[12:13], v[4:5] op_sel_hi:[0,1]
	v_pk_mul_f32 v[8:9], s[12:13], v[2:3] op_sel_hi:[0,1]
	global_store_dwordx4 v[0:1], v[6:9], off
	s_cbranch_execnz .LBB41_10
	s_branch .LBB41_43
.LBB41_42:
.LBB41_43:
	global_load_dwordx4 v[6:9], v[0:1], off
	v_pk_mul_f32 v[4:5], s[12:13], v[4:5] op_sel_hi:[0,1]
	v_pk_mul_f32 v[10:11], s[12:13], v[2:3] op_sel_hi:[0,1]
	s_waitcnt vmcnt(0)
	v_pk_fma_f32 v[2:3], s[16:17], v[6:7], v[4:5] op_sel_hi:[0,1,1]
	v_pk_fma_f32 v[4:5], s[16:17], v[8:9], v[10:11] op_sel_hi:[0,1,1]
	global_store_dwordx4 v[0:1], v[2:5], off
	s_endpgm
	.section	.rodata,"a",@progbits
	.p2align	6, 0x0
	.amdhsa_kernel _ZN9rocsparseL18bsrxmvn_4x4_kernelILj128ELj8EfllfffEEvT3_20rocsparse_direction_NS_24const_host_device_scalarIT1_EES1_PKS1_PKT2_SA_S7_PKT4_PKT5_S5_PT6_21rocsparse_index_base_b
		.amdhsa_group_segment_fixed_size 0
		.amdhsa_private_segment_fixed_size 0
		.amdhsa_kernarg_size 104
		.amdhsa_user_sgpr_count 2
		.amdhsa_user_sgpr_dispatch_ptr 0
		.amdhsa_user_sgpr_queue_ptr 0
		.amdhsa_user_sgpr_kernarg_segment_ptr 1
		.amdhsa_user_sgpr_dispatch_id 0
		.amdhsa_user_sgpr_kernarg_preload_length 0
		.amdhsa_user_sgpr_kernarg_preload_offset 0
		.amdhsa_user_sgpr_private_segment_size 0
		.amdhsa_uses_dynamic_stack 0
		.amdhsa_enable_private_segment 0
		.amdhsa_system_sgpr_workgroup_id_x 1
		.amdhsa_system_sgpr_workgroup_id_y 0
		.amdhsa_system_sgpr_workgroup_id_z 0
		.amdhsa_system_sgpr_workgroup_info 0
		.amdhsa_system_vgpr_workitem_id 0
		.amdhsa_next_free_vgpr 106
		.amdhsa_next_free_sgpr 22
		.amdhsa_accum_offset 108
		.amdhsa_reserve_vcc 1
		.amdhsa_float_round_mode_32 0
		.amdhsa_float_round_mode_16_64 0
		.amdhsa_float_denorm_mode_32 3
		.amdhsa_float_denorm_mode_16_64 3
		.amdhsa_dx10_clamp 1
		.amdhsa_ieee_mode 1
		.amdhsa_fp16_overflow 0
		.amdhsa_tg_split 0
		.amdhsa_exception_fp_ieee_invalid_op 0
		.amdhsa_exception_fp_denorm_src 0
		.amdhsa_exception_fp_ieee_div_zero 0
		.amdhsa_exception_fp_ieee_overflow 0
		.amdhsa_exception_fp_ieee_underflow 0
		.amdhsa_exception_fp_ieee_inexact 0
		.amdhsa_exception_int_div_zero 0
	.end_amdhsa_kernel
	.section	.text._ZN9rocsparseL18bsrxmvn_4x4_kernelILj128ELj8EfllfffEEvT3_20rocsparse_direction_NS_24const_host_device_scalarIT1_EES1_PKS1_PKT2_SA_S7_PKT4_PKT5_S5_PT6_21rocsparse_index_base_b,"axG",@progbits,_ZN9rocsparseL18bsrxmvn_4x4_kernelILj128ELj8EfllfffEEvT3_20rocsparse_direction_NS_24const_host_device_scalarIT1_EES1_PKS1_PKT2_SA_S7_PKT4_PKT5_S5_PT6_21rocsparse_index_base_b,comdat
.Lfunc_end41:
	.size	_ZN9rocsparseL18bsrxmvn_4x4_kernelILj128ELj8EfllfffEEvT3_20rocsparse_direction_NS_24const_host_device_scalarIT1_EES1_PKS1_PKT2_SA_S7_PKT4_PKT5_S5_PT6_21rocsparse_index_base_b, .Lfunc_end41-_ZN9rocsparseL18bsrxmvn_4x4_kernelILj128ELj8EfllfffEEvT3_20rocsparse_direction_NS_24const_host_device_scalarIT1_EES1_PKS1_PKT2_SA_S7_PKT4_PKT5_S5_PT6_21rocsparse_index_base_b
                                        ; -- End function
	.set _ZN9rocsparseL18bsrxmvn_4x4_kernelILj128ELj8EfllfffEEvT3_20rocsparse_direction_NS_24const_host_device_scalarIT1_EES1_PKS1_PKT2_SA_S7_PKT4_PKT5_S5_PT6_21rocsparse_index_base_b.num_vgpr, 106
	.set _ZN9rocsparseL18bsrxmvn_4x4_kernelILj128ELj8EfllfffEEvT3_20rocsparse_direction_NS_24const_host_device_scalarIT1_EES1_PKS1_PKT2_SA_S7_PKT4_PKT5_S5_PT6_21rocsparse_index_base_b.num_agpr, 0
	.set _ZN9rocsparseL18bsrxmvn_4x4_kernelILj128ELj8EfllfffEEvT3_20rocsparse_direction_NS_24const_host_device_scalarIT1_EES1_PKS1_PKT2_SA_S7_PKT4_PKT5_S5_PT6_21rocsparse_index_base_b.numbered_sgpr, 22
	.set _ZN9rocsparseL18bsrxmvn_4x4_kernelILj128ELj8EfllfffEEvT3_20rocsparse_direction_NS_24const_host_device_scalarIT1_EES1_PKS1_PKT2_SA_S7_PKT4_PKT5_S5_PT6_21rocsparse_index_base_b.num_named_barrier, 0
	.set _ZN9rocsparseL18bsrxmvn_4x4_kernelILj128ELj8EfllfffEEvT3_20rocsparse_direction_NS_24const_host_device_scalarIT1_EES1_PKS1_PKT2_SA_S7_PKT4_PKT5_S5_PT6_21rocsparse_index_base_b.private_seg_size, 0
	.set _ZN9rocsparseL18bsrxmvn_4x4_kernelILj128ELj8EfllfffEEvT3_20rocsparse_direction_NS_24const_host_device_scalarIT1_EES1_PKS1_PKT2_SA_S7_PKT4_PKT5_S5_PT6_21rocsparse_index_base_b.uses_vcc, 1
	.set _ZN9rocsparseL18bsrxmvn_4x4_kernelILj128ELj8EfllfffEEvT3_20rocsparse_direction_NS_24const_host_device_scalarIT1_EES1_PKS1_PKT2_SA_S7_PKT4_PKT5_S5_PT6_21rocsparse_index_base_b.uses_flat_scratch, 0
	.set _ZN9rocsparseL18bsrxmvn_4x4_kernelILj128ELj8EfllfffEEvT3_20rocsparse_direction_NS_24const_host_device_scalarIT1_EES1_PKS1_PKT2_SA_S7_PKT4_PKT5_S5_PT6_21rocsparse_index_base_b.has_dyn_sized_stack, 0
	.set _ZN9rocsparseL18bsrxmvn_4x4_kernelILj128ELj8EfllfffEEvT3_20rocsparse_direction_NS_24const_host_device_scalarIT1_EES1_PKS1_PKT2_SA_S7_PKT4_PKT5_S5_PT6_21rocsparse_index_base_b.has_recursion, 0
	.set _ZN9rocsparseL18bsrxmvn_4x4_kernelILj128ELj8EfllfffEEvT3_20rocsparse_direction_NS_24const_host_device_scalarIT1_EES1_PKS1_PKT2_SA_S7_PKT4_PKT5_S5_PT6_21rocsparse_index_base_b.has_indirect_call, 0
	.section	.AMDGPU.csdata,"",@progbits
; Kernel info:
; codeLenInByte = 3212
; TotalNumSgprs: 28
; NumVgprs: 106
; NumAgprs: 0
; TotalNumVgprs: 106
; ScratchSize: 0
; MemoryBound: 1
; FloatMode: 240
; IeeeMode: 1
; LDSByteSize: 0 bytes/workgroup (compile time only)
; SGPRBlocks: 3
; VGPRBlocks: 13
; NumSGPRsForWavesPerEU: 28
; NumVGPRsForWavesPerEU: 106
; AccumOffset: 108
; Occupancy: 4
; WaveLimiterHint : 1
; COMPUTE_PGM_RSRC2:SCRATCH_EN: 0
; COMPUTE_PGM_RSRC2:USER_SGPR: 2
; COMPUTE_PGM_RSRC2:TRAP_HANDLER: 0
; COMPUTE_PGM_RSRC2:TGID_X_EN: 1
; COMPUTE_PGM_RSRC2:TGID_Y_EN: 0
; COMPUTE_PGM_RSRC2:TGID_Z_EN: 0
; COMPUTE_PGM_RSRC2:TIDIG_COMP_CNT: 0
; COMPUTE_PGM_RSRC3_GFX90A:ACCUM_OFFSET: 26
; COMPUTE_PGM_RSRC3_GFX90A:TG_SPLIT: 0
	.section	.text._ZN9rocsparseL18bsrxmvn_4x4_kernelILj128ELj16EfllfffEEvT3_20rocsparse_direction_NS_24const_host_device_scalarIT1_EES1_PKS1_PKT2_SA_S7_PKT4_PKT5_S5_PT6_21rocsparse_index_base_b,"axG",@progbits,_ZN9rocsparseL18bsrxmvn_4x4_kernelILj128ELj16EfllfffEEvT3_20rocsparse_direction_NS_24const_host_device_scalarIT1_EES1_PKS1_PKT2_SA_S7_PKT4_PKT5_S5_PT6_21rocsparse_index_base_b,comdat
	.globl	_ZN9rocsparseL18bsrxmvn_4x4_kernelILj128ELj16EfllfffEEvT3_20rocsparse_direction_NS_24const_host_device_scalarIT1_EES1_PKS1_PKT2_SA_S7_PKT4_PKT5_S5_PT6_21rocsparse_index_base_b ; -- Begin function _ZN9rocsparseL18bsrxmvn_4x4_kernelILj128ELj16EfllfffEEvT3_20rocsparse_direction_NS_24const_host_device_scalarIT1_EES1_PKS1_PKT2_SA_S7_PKT4_PKT5_S5_PT6_21rocsparse_index_base_b
	.p2align	8
	.type	_ZN9rocsparseL18bsrxmvn_4x4_kernelILj128ELj16EfllfffEEvT3_20rocsparse_direction_NS_24const_host_device_scalarIT1_EES1_PKS1_PKT2_SA_S7_PKT4_PKT5_S5_PT6_21rocsparse_index_base_b,@function
_ZN9rocsparseL18bsrxmvn_4x4_kernelILj128ELj16EfllfffEEvT3_20rocsparse_direction_NS_24const_host_device_scalarIT1_EES1_PKS1_PKT2_SA_S7_PKT4_PKT5_S5_PT6_21rocsparse_index_base_b: ; @_ZN9rocsparseL18bsrxmvn_4x4_kernelILj128ELj16EfllfffEEvT3_20rocsparse_direction_NS_24const_host_device_scalarIT1_EES1_PKS1_PKT2_SA_S7_PKT4_PKT5_S5_PT6_21rocsparse_index_base_b
; %bb.0:
	s_load_dwordx2 s[4:5], s[0:1], 0x60
	s_load_dwordx4 s[16:19], s[0:1], 0x10
	s_load_dwordx2 s[20:21], s[0:1], 0x50
	s_waitcnt lgkmcnt(0)
	s_bitcmp1_b32 s5, 0
	s_cselect_b64 s[8:9], -1, 0
	s_xor_b64 s[6:7], s[8:9], -1
	s_and_b64 vcc, exec, s[8:9]
	s_cbranch_vccnz .LBB42_2
; %bb.1:
	s_load_dword s16, s[16:17], 0x0
.LBB42_2:
	s_andn2_b64 vcc, exec, s[6:7]
	s_cbranch_vccnz .LBB42_4
; %bb.3:
	s_load_dword s20, s[20:21], 0x0
.LBB42_4:
	s_waitcnt lgkmcnt(0)
	v_cmp_neq_f32_e64 s[6:7], s16, 0
	v_cmp_neq_f32_e64 s[8:9], s20, 1.0
	s_or_b64 s[6:7], s[6:7], s[8:9]
	s_andn2_b64 vcc, exec, s[6:7]
	s_cbranch_vccnz .LBB42_10
; %bb.5:
	s_load_dwordx2 s[6:7], s[0:1], 0x20
	v_lshrrev_b32_e32 v1, 4, v0
	v_lshl_or_b32 v6, s2, 3, v1
	v_mov_b32_e32 v7, 0
	s_mov_b64 s[2:3], 0
	s_waitcnt lgkmcnt(0)
	s_cmp_lg_u64 s[6:7], 0
	s_cbranch_scc0 .LBB42_11
; %bb.6:
	v_cmp_gt_i64_e32 vcc, s[18:19], v[6:7]
                                        ; implicit-def: $vgpr2_vgpr3
                                        ; implicit-def: $vgpr4_vgpr5
	s_and_saveexec_b64 s[8:9], vcc
	s_xor_b64 s[8:9], exec, s[8:9]
	s_cbranch_execz .LBB42_8
; %bb.7:
	v_lshl_add_u64 v[2:3], v[6:7], 3, s[6:7]
	global_load_dwordx2 v[2:3], v[2:3], off
	s_mov_b32 s5, 0
	s_mov_b64 s[2:3], exec
	v_mov_b64_e32 v[4:5], s[4:5]
	s_waitcnt vmcnt(0)
	v_subrev_co_u32_e32 v2, vcc, s4, v2
	s_nop 1
	v_subbrev_co_u32_e32 v3, vcc, 0, v3, vcc
.LBB42_8:
	s_or_b64 exec, exec, s[8:9]
.LBB42_9:
	s_and_saveexec_b64 s[4:5], s[2:3]
	s_cbranch_execnz .LBB42_15
.LBB42_10:
	s_endpgm
.LBB42_11:
                                        ; implicit-def: $vgpr2_vgpr3
                                        ; implicit-def: $vgpr4_vgpr5
	s_cbranch_execz .LBB42_9
; %bb.12:
	s_load_dwordx2 s[6:7], s[0:1], 0x0
	s_waitcnt lgkmcnt(0)
	v_cmp_gt_i64_e32 vcc, s[6:7], v[6:7]
	s_and_saveexec_b64 s[6:7], vcc
; %bb.13:
	s_mov_b32 s5, 0
	s_or_b64 s[2:3], s[2:3], exec
; %bb.14:
	s_or_b64 exec, exec, s[6:7]
	v_mov_b64_e32 v[4:5], s[4:5]
	v_mov_b64_e32 v[2:3], v[6:7]
	s_and_saveexec_b64 s[4:5], s[2:3]
	s_cbranch_execz .LBB42_10
.LBB42_15:
	s_load_dwordx8 s[8:15], s[0:1], 0x28
	v_lshlrev_b64 v[6:7], 3, v[2:3]
	v_and_b32_e32 v0, 15, v0
	v_mov_b32_e32 v1, 0
	s_waitcnt lgkmcnt(0)
	v_lshl_add_u64 v[8:9], s[8:9], 0, v[6:7]
	s_cmp_eq_u64 s[10:11], 0
	v_lshl_add_u64 v[6:7], s[10:11], 0, v[6:7]
	global_load_dwordx2 v[16:17], v[8:9], off
	v_lshl_add_u64 v[8:9], v[8:9], 0, 8
	s_cselect_b64 vcc, -1, 0
	v_cndmask_b32_e32 v7, v7, v9, vcc
	v_cndmask_b32_e32 v6, v6, v8, vcc
	global_load_dwordx2 v[8:9], v[6:7], off
	s_load_dword s2, s[0:1], 0x8
	s_load_dwordx2 s[10:11], s[0:1], 0x48
	s_waitcnt lgkmcnt(0)
	s_cmp_eq_u32 s2, 1
	s_waitcnt vmcnt(1)
	v_sub_co_u32_e32 v6, vcc, v16, v4
	s_nop 1
	v_subb_co_u32_e32 v7, vcc, v17, v5, vcc
	v_lshl_add_u64 v[6:7], v[6:7], 0, v[0:1]
	s_waitcnt vmcnt(0)
	v_sub_co_u32_e32 v8, vcc, v8, v4
	v_lshlrev_b64 v[10:11], 6, v[6:7]
	s_nop 0
	v_subb_co_u32_e32 v9, vcc, v9, v5, vcc
	v_lshl_add_u64 v[10:11], s[14:15], 0, v[10:11]
	v_cmp_lt_i64_e64 s[2:3], v[6:7], v[8:9]
	s_cbranch_scc1 .LBB42_27
; %bb.16:
	v_mov_b32_e32 v12, v1
	v_mov_b32_e32 v15, v1
	;; [unrolled: 1-line block ×3, first 2 shown]
	s_and_saveexec_b64 s[14:15], s[2:3]
	s_cbranch_execz .LBB42_26
; %bb.17:
	v_or_b32_e32 v1, 16, v0
	v_sub_co_u32_e32 v12, vcc, v1, v4
	v_not_b32_e32 v15, v17
	s_nop 0
	v_subb_co_u32_e32 v13, vcc, 0, v5, vcc
	v_lshl_add_u64 v[12:13], v[12:13], 0, v[16:17]
	v_cmp_gt_i64_e32 vcc, v[12:13], v[8:9]
	v_not_b32_e32 v14, v16
	v_mov_b64_e32 v[20:21], v[10:11]
	v_cndmask_b32_e32 v13, v9, v13, vcc
	v_cndmask_b32_e32 v12, v8, v12, vcc
	v_sub_co_u32_e32 v18, vcc, v4, v0
	s_nop 1
	v_subbrev_co_u32_e32 v19, vcc, 0, v5, vcc
	v_lshl_add_u64 v[14:15], v[18:19], 0, v[14:15]
	v_lshl_add_u64 v[22:23], v[14:15], 0, v[12:13]
	v_mov_b32_e32 v12, 0
	v_and_b32_e32 v14, 48, v22
	v_mov_b32_e32 v15, v12
	v_mov_b32_e32 v13, v12
	v_cmp_ne_u64_e32 vcc, 48, v[14:15]
	v_mov_b64_e32 v[14:15], v[12:13]
	v_mov_b64_e32 v[18:19], v[6:7]
	s_and_saveexec_b64 s[4:5], vcc
	s_cbranch_execz .LBB42_21
; %bb.18:
	v_lshrrev_b32_e32 v1, 4, v22
	v_add_u32_e32 v1, 1, v1
	v_and_b32_e32 v1, 3, v1
	v_sub_co_u32_e32 v26, vcc, 0, v1
	v_lshl_add_u64 v[24:25], v[6:7], 3, s[12:13]
	s_nop 0
	v_subb_co_u32_e64 v27, s[8:9], 0, 0, vcc
	s_mov_b64 s[6:7], 0
	s_mov_b64 s[8:9], 0x400
	;; [unrolled: 1-line block ×3, first 2 shown]
	v_mov_b64_e32 v[20:21], v[10:11]
	v_mov_b64_e32 v[18:19], v[6:7]
	v_mov_b32_e32 v13, v12
	v_mov_b32_e32 v14, v12
	;; [unrolled: 1-line block ×3, first 2 shown]
.LBB42_19:                              ; =>This Inner Loop Header: Depth=1
	global_load_dwordx2 v[36:37], v[24:25], off
	global_load_dwordx4 v[42:45], v[20:21], off
	global_load_dwordx4 v[28:31], v[20:21], off offset:16
	global_load_dwordx4 v[32:35], v[20:21], off offset:48
	;; [unrolled: 1-line block ×3, first 2 shown]
	v_lshl_add_u64 v[26:27], v[26:27], 0, 1
	v_lshl_add_u64 v[20:21], v[20:21], 0, s[8:9]
	;; [unrolled: 1-line block ×4, first 2 shown]
	s_waitcnt vmcnt(4)
	v_sub_co_u32_e32 v36, vcc, v36, v4
	s_nop 1
	v_subb_co_u32_e32 v37, vcc, v37, v5, vcc
	v_lshl_add_u64 v[36:37], v[36:37], 4, s[10:11]
	global_load_dwordx4 v[36:39], v[36:37], off
	s_waitcnt vmcnt(4)
	v_mov_b32_e32 v40, v42
	s_waitcnt vmcnt(3)
	v_mov_b32_e32 v41, v28
	v_mov_b32_e32 v28, v43
	;; [unrolled: 1-line block ×5, first 2 shown]
	s_waitcnt vmcnt(1)
	v_mov_b32_e32 v44, v46
	v_mov_b32_e32 v45, v32
	;; [unrolled: 1-line block ×5, first 2 shown]
	v_cmp_eq_u64_e32 vcc, 0, v[26:27]
	v_mov_b32_e32 v34, v49
	s_or_b64 s[6:7], vcc, s[6:7]
	s_waitcnt vmcnt(0)
	v_pk_fma_f32 v[14:15], v[40:41], v[36:37], v[14:15] op_sel_hi:[1,0,1]
	v_pk_fma_f32 v[12:13], v[44:45], v[36:37], v[12:13] op_sel_hi:[1,0,1]
	v_pk_fma_f32 v[14:15], v[28:29], v[36:37], v[14:15] op_sel:[0,1,0]
	v_pk_fma_f32 v[12:13], v[32:33], v[36:37], v[12:13] op_sel:[0,1,0]
	v_mov_b32_e32 v40, v39
	v_pk_fma_f32 v[14:15], v[42:43], v[38:39], v[14:15] op_sel_hi:[1,0,1]
	v_pk_fma_f32 v[12:13], v[46:47], v[38:39], v[12:13] op_sel_hi:[1,0,1]
	;; [unrolled: 1-line block ×4, first 2 shown]
	s_andn2_b64 exec, exec, s[6:7]
	s_cbranch_execnz .LBB42_19
; %bb.20:
	s_or_b64 exec, exec, s[6:7]
.LBB42_21:
	s_or_b64 exec, exec, s[4:5]
	v_cmp_lt_u64_e32 vcc, 47, v[22:23]
	s_and_saveexec_b64 s[18:19], vcc
	s_cbranch_execz .LBB42_25
; %bb.22:
	v_lshl_add_u64 v[22:23], v[18:19], 3, s[12:13]
	s_mov_b64 s[4:5], 0x100
	v_lshl_add_u64 v[22:23], v[22:23], 0, s[4:5]
	s_mov_b64 s[22:23], 0
	s_mov_b64 s[24:25], 0x1000
	;; [unrolled: 1-line block ×3, first 2 shown]
.LBB42_23:                              ; =>This Inner Loop Header: Depth=1
	global_load_dwordx2 v[24:25], v[22:23], off offset:-256
	global_load_dwordx4 v[82:85], v[20:21], off
	global_load_dwordx2 v[58:59], v[22:23], off offset:-128
	global_load_dwordx2 v[60:61], v[22:23], off
	global_load_dwordx2 v[62:63], v[22:23], off offset:128
	global_load_dwordx4 v[26:29], v[20:21], off offset:16
	global_load_dwordx4 v[30:33], v[20:21], off offset:48
	;; [unrolled: 1-line block ×15, first 2 shown]
	v_lshl_add_u64 v[18:19], v[18:19], 0, 64
	v_cmp_ge_i64_e32 vcc, v[18:19], v[8:9]
	s_or_b64 s[22:23], vcc, s[22:23]
	v_lshl_add_u64 v[20:21], v[20:21], 0, s[24:25]
	v_lshl_add_u64 v[22:23], v[22:23], 0, s[26:27]
	s_waitcnt vmcnt(19)
	v_sub_co_u32_e32 v24, vcc, v24, v4
	s_waitcnt vmcnt(17)
	v_sub_co_u32_e64 v58, s[4:5], v58, v4
	s_waitcnt vmcnt(16)
	v_sub_co_u32_e64 v60, s[6:7], v60, v4
	;; [unrolled: 2-line block ×3, first 2 shown]
	v_subb_co_u32_e32 v25, vcc, v25, v5, vcc
	v_subb_co_u32_e64 v59, vcc, v59, v5, s[4:5]
	v_subb_co_u32_e64 v61, vcc, v61, v5, s[6:7]
	;; [unrolled: 1-line block ×3, first 2 shown]
	v_lshl_add_u64 v[24:25], v[24:25], 4, s[10:11]
	v_lshl_add_u64 v[76:77], v[58:59], 4, s[10:11]
	;; [unrolled: 1-line block ×4, first 2 shown]
	global_load_dwordx4 v[58:61], v[24:25], off
	global_load_dwordx4 v[62:65], v[76:77], off
	;; [unrolled: 1-line block ×4, first 2 shown]
	v_mov_b32_e32 v74, v82
	s_waitcnt vmcnt(18)
	v_mov_b32_e32 v75, v26
	s_waitcnt vmcnt(16)
	v_mov_b32_e32 v24, v86
	v_mov_b32_e32 v25, v30
	;; [unrolled: 1-line block ×10, first 2 shown]
	s_waitcnt vmcnt(12)
	v_mov_b32_e32 v80, v94
	v_mov_b32_e32 v81, v38
	;; [unrolled: 1-line block ×12, first 2 shown]
	s_waitcnt vmcnt(8)
	v_mov_b32_e32 v84, v102
	v_mov_b32_e32 v85, v46
	;; [unrolled: 1-line block ×9, first 2 shown]
	s_waitcnt vmcnt(3)
	v_pk_fma_f32 v[14:15], v[74:75], v[58:59], v[14:15] op_sel_hi:[1,0,1]
	v_pk_fma_f32 v[12:13], v[24:25], v[58:59], v[12:13] op_sel_hi:[1,0,1]
	v_pk_fma_f32 v[14:15], v[26:27], v[58:59], v[14:15] op_sel:[0,1,0]
	v_pk_fma_f32 v[12:13], v[30:31], v[58:59], v[12:13] op_sel:[0,1,0]
	v_pk_fma_f32 v[14:15], v[76:77], v[60:61], v[14:15] op_sel_hi:[1,0,1]
	v_pk_fma_f32 v[12:13], v[78:79], v[60:61], v[12:13] op_sel_hi:[1,0,1]
	v_mov_b32_e32 v58, v61
	v_pk_fma_f32 v[14:15], v[28:29], v[58:59], v[14:15] op_sel_hi:[1,0,1]
	v_pk_fma_f32 v[12:13], v[32:33], v[58:59], v[12:13] op_sel_hi:[1,0,1]
	s_waitcnt vmcnt(2)
	v_pk_fma_f32 v[14:15], v[80:81], v[62:63], v[14:15] op_sel_hi:[1,0,1]
	v_pk_fma_f32 v[12:13], v[88:89], v[62:63], v[12:13] op_sel_hi:[1,0,1]
	v_pk_fma_f32 v[14:15], v[38:39], v[62:63], v[14:15] op_sel:[0,1,0]
	v_pk_fma_f32 v[12:13], v[34:35], v[62:63], v[12:13] op_sel:[0,1,0]
	v_mov_b32_e32 v28, v65
	v_pk_fma_f32 v[14:15], v[82:83], v[64:65], v[14:15] op_sel_hi:[1,0,1]
	v_pk_fma_f32 v[12:13], v[90:91], v[64:65], v[12:13] op_sel_hi:[1,0,1]
	;; [unrolled: 1-line block ×4, first 2 shown]
	s_waitcnt vmcnt(1)
	v_pk_fma_f32 v[14:15], v[84:85], v[66:67], v[14:15] op_sel_hi:[1,0,1]
	v_pk_fma_f32 v[12:13], v[92:93], v[66:67], v[12:13] op_sel_hi:[1,0,1]
	v_mov_b32_e32 v74, v100
	v_mov_b32_e32 v75, v44
	v_pk_fma_f32 v[14:15], v[46:47], v[66:67], v[14:15] op_sel:[0,1,0]
	v_pk_fma_f32 v[12:13], v[42:43], v[66:67], v[12:13] op_sel:[0,1,0]
	v_mov_b32_e32 v44, v101
	v_mov_b32_e32 v76, v69
	v_pk_fma_f32 v[14:15], v[86:87], v[68:69], v[14:15] op_sel_hi:[1,0,1]
	v_pk_fma_f32 v[12:13], v[74:75], v[68:69], v[12:13] op_sel_hi:[1,0,1]
	v_mov_b32_e32 v24, v110
	v_mov_b32_e32 v25, v54
	;; [unrolled: 1-line block ×4, first 2 shown]
	v_pk_fma_f32 v[14:15], v[48:49], v[76:77], v[14:15] op_sel_hi:[1,0,1]
	v_pk_fma_f32 v[12:13], v[44:45], v[76:77], v[12:13] op_sel_hi:[1,0,1]
	v_mov_b32_e32 v54, v111
	v_mov_b32_e32 v50, v107
	s_waitcnt vmcnt(0)
	v_pk_fma_f32 v[14:15], v[24:25], v[70:71], v[14:15] op_sel_hi:[1,0,1]
	v_pk_fma_f32 v[12:13], v[30:31], v[70:71], v[12:13] op_sel_hi:[1,0,1]
	v_mov_b32_e32 v26, v112
	v_mov_b32_e32 v27, v56
	;; [unrolled: 1-line block ×4, first 2 shown]
	v_pk_fma_f32 v[14:15], v[54:55], v[70:71], v[14:15] op_sel:[0,1,0]
	v_pk_fma_f32 v[12:13], v[50:51], v[70:71], v[12:13] op_sel:[0,1,0]
	v_mov_b32_e32 v56, v113
	v_mov_b32_e32 v52, v109
	;; [unrolled: 1-line block ×3, first 2 shown]
	v_pk_fma_f32 v[14:15], v[26:27], v[72:73], v[14:15] op_sel_hi:[1,0,1]
	v_pk_fma_f32 v[12:13], v[60:61], v[72:73], v[12:13] op_sel_hi:[1,0,1]
	v_pk_fma_f32 v[14:15], v[56:57], v[32:33], v[14:15] op_sel_hi:[1,0,1]
	v_pk_fma_f32 v[12:13], v[52:53], v[32:33], v[12:13] op_sel_hi:[1,0,1]
	s_andn2_b64 exec, exec, s[22:23]
	s_cbranch_execnz .LBB42_23
; %bb.24:
	s_or_b64 exec, exec, s[22:23]
.LBB42_25:
	s_or_b64 exec, exec, s[18:19]
	v_mov_b32_e32 v1, v13
.LBB42_26:
	s_or_b64 exec, exec, s[14:15]
	v_mov_b32_e32 v13, v1
	s_cbranch_execz .LBB42_28
	s_branch .LBB42_39
.LBB42_27:
                                        ; implicit-def: $vgpr13
                                        ; implicit-def: $vgpr15
.LBB42_28:
	v_mov_b32_e32 v13, 0
	v_mov_b32_e32 v12, 0
	;; [unrolled: 1-line block ×4, first 2 shown]
	s_and_saveexec_b64 s[4:5], s[2:3]
	s_cbranch_execz .LBB42_38
; %bb.29:
	v_or_b32_e32 v1, 16, v0
	v_sub_co_u32_e32 v12, vcc, v1, v4
	v_not_b32_e32 v14, v16
	s_nop 0
	v_subb_co_u32_e32 v13, vcc, 0, v5, vcc
	v_lshl_add_u64 v[12:13], v[12:13], 0, v[16:17]
	v_cmp_gt_i64_e32 vcc, v[12:13], v[8:9]
	v_not_b32_e32 v15, v17
	s_nop 0
	v_cndmask_b32_e32 v13, v9, v13, vcc
	v_cndmask_b32_e32 v12, v8, v12, vcc
	v_sub_co_u32_e32 v16, vcc, v4, v0
	s_nop 1
	v_subbrev_co_u32_e32 v17, vcc, 0, v5, vcc
	v_lshl_add_u64 v[14:15], v[16:17], 0, v[14:15]
	v_lshl_add_u64 v[16:17], v[14:15], 0, v[12:13]
	v_mov_b32_e32 v12, 0
	v_and_b32_e32 v14, 48, v16
	v_mov_b32_e32 v15, v12
	v_mov_b32_e32 v13, v12
	v_cmp_ne_u64_e32 vcc, 48, v[14:15]
	v_mov_b64_e32 v[14:15], v[12:13]
	s_and_saveexec_b64 s[2:3], vcc
	s_cbranch_execz .LBB42_33
; %bb.30:
	v_lshrrev_b32_e32 v1, 4, v16
	v_add_u32_e32 v1, 1, v1
	v_and_b32_e32 v1, 3, v1
	v_sub_co_u32_e32 v20, vcc, 0, v1
	v_lshl_add_u64 v[18:19], v[6:7], 3, s[12:13]
	s_nop 0
	v_subb_co_u32_e64 v21, s[8:9], 0, 0, vcc
	s_mov_b64 s[6:7], 0
	s_mov_b64 s[8:9], 0x400
	;; [unrolled: 1-line block ×3, first 2 shown]
	v_mov_b32_e32 v13, v12
	v_mov_b32_e32 v14, v12
	;; [unrolled: 1-line block ×3, first 2 shown]
.LBB42_31:                              ; =>This Inner Loop Header: Depth=1
	global_load_dwordx2 v[30:31], v[18:19], off
	global_load_dwordx4 v[22:25], v[10:11], off offset:16
	global_load_dwordx4 v[26:29], v[10:11], off
	v_lshl_add_u64 v[20:21], v[20:21], 0, 1
	v_lshl_add_u64 v[6:7], v[6:7], 0, 16
	;; [unrolled: 1-line block ×3, first 2 shown]
	s_waitcnt vmcnt(2)
	v_sub_co_u32_e32 v30, vcc, v30, v4
	s_nop 1
	v_subb_co_u32_e32 v31, vcc, v31, v5, vcc
	v_lshl_add_u64 v[42:43], v[30:31], 4, s[10:11]
	global_load_dwordx4 v[30:33], v[42:43], off
	global_load_dwordx4 v[34:37], v[10:11], off offset:32
	global_load_dwordx4 v[38:41], v[10:11], off offset:48
	v_cmp_eq_u64_e32 vcc, 0, v[20:21]
	v_lshl_add_u64 v[10:11], v[10:11], 0, s[8:9]
	s_or_b64 s[6:7], vcc, s[6:7]
	s_waitcnt vmcnt(2)
	v_pk_fma_f32 v[14:15], v[26:27], v[30:31], v[14:15] op_sel_hi:[1,0,1]
	v_pk_fma_f32 v[12:13], v[28:29], v[30:31], v[12:13] op_sel_hi:[1,0,1]
	v_pk_fma_f32 v[14:15], v[22:23], v[30:31], v[14:15] op_sel:[0,1,0]
	v_pk_fma_f32 v[12:13], v[24:25], v[30:31], v[12:13] op_sel:[0,1,0]
	v_mov_b32_e32 v26, v33
	s_waitcnt vmcnt(1)
	v_pk_fma_f32 v[14:15], v[34:35], v[32:33], v[14:15] op_sel_hi:[1,0,1]
	v_pk_fma_f32 v[12:13], v[36:37], v[32:33], v[12:13] op_sel_hi:[1,0,1]
	s_waitcnt vmcnt(0)
	v_pk_fma_f32 v[14:15], v[38:39], v[26:27], v[14:15] op_sel_hi:[1,0,1]
	v_pk_fma_f32 v[12:13], v[40:41], v[26:27], v[12:13] op_sel_hi:[1,0,1]
	s_andn2_b64 exec, exec, s[6:7]
	s_cbranch_execnz .LBB42_31
; %bb.32:
	s_or_b64 exec, exec, s[6:7]
.LBB42_33:
	s_or_b64 exec, exec, s[2:3]
	v_cmp_lt_u64_e32 vcc, 47, v[16:17]
	s_and_saveexec_b64 s[2:3], vcc
	s_cbranch_execz .LBB42_37
; %bb.34:
	v_lshl_add_u64 v[16:17], v[6:7], 3, s[12:13]
	s_mov_b64 s[6:7], 0x100
	v_lshl_add_u64 v[16:17], v[16:17], 0, s[6:7]
	s_mov_b64 s[6:7], 0
	s_mov_b64 s[8:9], 0x1000
	;; [unrolled: 1-line block ×3, first 2 shown]
.LBB42_35:                              ; =>This Inner Loop Header: Depth=1
	global_load_dwordx2 v[74:75], v[16:17], off offset:-256
	global_load_dwordx2 v[76:77], v[16:17], off offset:-128
	global_load_dwordx2 v[78:79], v[16:17], off
	global_load_dwordx2 v[80:81], v[16:17], off offset:128
	global_load_dwordx4 v[18:21], v[10:11], off offset:48
	global_load_dwordx4 v[22:25], v[10:11], off offset:32
	;; [unrolled: 1-line block ×3, first 2 shown]
	global_load_dwordx4 v[30:33], v[10:11], off
	global_load_dwordx4 v[34:37], v[10:11], off offset:1072
	global_load_dwordx4 v[38:41], v[10:11], off offset:1056
	;; [unrolled: 1-line block ×10, first 2 shown]
	v_lshl_add_u64 v[6:7], v[6:7], 0, 64
	v_lshl_add_u64 v[16:17], v[16:17], 0, s[12:13]
	s_waitcnt vmcnt(17)
	v_sub_co_u32_e32 v74, vcc, v74, v4
	s_nop 1
	v_subb_co_u32_e32 v75, vcc, v75, v5, vcc
	s_waitcnt vmcnt(16)
	v_sub_co_u32_e32 v76, vcc, v76, v4
	v_lshl_add_u64 v[98:99], v[74:75], 4, s[10:11]
	s_nop 0
	v_subb_co_u32_e32 v77, vcc, v77, v5, vcc
	s_waitcnt vmcnt(15)
	v_sub_co_u32_e32 v78, vcc, v78, v4
	v_lshl_add_u64 v[100:101], v[76:77], 4, s[10:11]
	;; [unrolled: 5-line block ×3, first 2 shown]
	s_nop 0
	v_subb_co_u32_e32 v81, vcc, v81, v5, vcc
	v_lshl_add_u64 v[104:105], v[80:81], 4, s[10:11]
	global_load_dwordx4 v[74:77], v[98:99], off
	global_load_dwordx4 v[78:81], v[100:101], off
	;; [unrolled: 1-line block ×4, first 2 shown]
	global_load_dwordx4 v[90:93], v[10:11], off offset:3104
	global_load_dwordx4 v[94:97], v[10:11], off offset:3120
	v_cmp_ge_i64_e32 vcc, v[6:7], v[8:9]
	v_lshl_add_u64 v[10:11], v[10:11], 0, s[8:9]
	s_or_b64 s[6:7], vcc, s[6:7]
	s_waitcnt vmcnt(5)
	v_pk_fma_f32 v[14:15], v[30:31], v[74:75], v[14:15] op_sel_hi:[1,0,1]
	v_pk_fma_f32 v[12:13], v[32:33], v[74:75], v[12:13] op_sel_hi:[1,0,1]
	v_pk_fma_f32 v[14:15], v[26:27], v[74:75], v[14:15] op_sel:[0,1,0]
	v_pk_fma_f32 v[12:13], v[28:29], v[74:75], v[12:13] op_sel:[0,1,0]
	v_mov_b32_e32 v30, v77
	v_pk_fma_f32 v[14:15], v[22:23], v[76:77], v[14:15] op_sel_hi:[1,0,1]
	v_pk_fma_f32 v[12:13], v[24:25], v[76:77], v[12:13] op_sel_hi:[1,0,1]
	v_pk_fma_f32 v[14:15], v[18:19], v[30:31], v[14:15] op_sel_hi:[1,0,1]
	v_pk_fma_f32 v[12:13], v[20:21], v[30:31], v[12:13] op_sel_hi:[1,0,1]
	s_waitcnt vmcnt(4)
	v_pk_fma_f32 v[14:15], v[46:47], v[78:79], v[14:15] op_sel_hi:[1,0,1]
	v_pk_fma_f32 v[12:13], v[48:49], v[78:79], v[12:13] op_sel_hi:[1,0,1]
	v_pk_fma_f32 v[14:15], v[42:43], v[78:79], v[14:15] op_sel:[0,1,0]
	v_pk_fma_f32 v[12:13], v[44:45], v[78:79], v[12:13] op_sel:[0,1,0]
	v_mov_b32_e32 v32, v81
	v_pk_fma_f32 v[14:15], v[38:39], v[80:81], v[14:15] op_sel_hi:[1,0,1]
	v_pk_fma_f32 v[12:13], v[40:41], v[80:81], v[12:13] op_sel_hi:[1,0,1]
	v_pk_fma_f32 v[14:15], v[34:35], v[32:33], v[14:15] op_sel_hi:[1,0,1]
	v_pk_fma_f32 v[12:13], v[36:37], v[32:33], v[12:13] op_sel_hi:[1,0,1]
	;; [unrolled: 10-line block ×3, first 2 shown]
	s_waitcnt vmcnt(2)
	v_pk_fma_f32 v[14:15], v[70:71], v[86:87], v[14:15] op_sel_hi:[1,0,1]
	v_pk_fma_f32 v[12:13], v[72:73], v[86:87], v[12:13] op_sel_hi:[1,0,1]
	v_pk_fma_f32 v[14:15], v[66:67], v[86:87], v[14:15] op_sel:[0,1,0]
	v_pk_fma_f32 v[12:13], v[68:69], v[86:87], v[12:13] op_sel:[0,1,0]
	v_mov_b32_e32 v100, v89
	s_waitcnt vmcnt(1)
	v_pk_fma_f32 v[14:15], v[90:91], v[88:89], v[14:15] op_sel_hi:[1,0,1]
	v_pk_fma_f32 v[12:13], v[92:93], v[88:89], v[12:13] op_sel_hi:[1,0,1]
	s_waitcnt vmcnt(0)
	v_pk_fma_f32 v[14:15], v[94:95], v[100:101], v[14:15] op_sel_hi:[1,0,1]
	v_pk_fma_f32 v[12:13], v[96:97], v[100:101], v[12:13] op_sel_hi:[1,0,1]
	s_andn2_b64 exec, exec, s[6:7]
	s_cbranch_execnz .LBB42_35
; %bb.36:
	s_or_b64 exec, exec, s[6:7]
.LBB42_37:
	s_or_b64 exec, exec, s[2:3]
.LBB42_38:
	s_or_b64 exec, exec, s[4:5]
.LBB42_39:
	v_mov_b32_dpp v4, v14 row_shr:1 row_mask:0xf bank_mask:0xf
	v_mov_b32_dpp v5, v15 row_shr:1 row_mask:0xf bank_mask:0xf
	;; [unrolled: 1-line block ×4, first 2 shown]
	v_pk_add_f32 v[4:5], v[14:15], v[4:5]
	v_pk_add_f32 v[8:9], v[12:13], v[8:9]
	v_cmp_eq_u32_e32 vcc, 15, v0
	v_mov_b32_dpp v6, v4 row_shr:2 row_mask:0xf bank_mask:0xf
	v_mov_b32_dpp v7, v5 row_shr:2 row_mask:0xf bank_mask:0xf
	;; [unrolled: 1-line block ×4, first 2 shown]
	v_pk_add_f32 v[4:5], v[4:5], v[6:7]
	v_pk_add_f32 v[8:9], v[8:9], v[10:11]
	s_nop 0
	v_mov_b32_dpp v6, v4 row_shr:4 row_mask:0xf bank_mask:0xe
	v_mov_b32_dpp v7, v5 row_shr:4 row_mask:0xf bank_mask:0xe
	;; [unrolled: 1-line block ×4, first 2 shown]
	v_pk_add_f32 v[4:5], v[4:5], v[6:7]
	v_pk_add_f32 v[8:9], v[8:9], v[10:11]
	s_nop 0
	v_mov_b32_dpp v6, v4 row_shr:8 row_mask:0xf bank_mask:0xc
	v_mov_b32_dpp v7, v5 row_shr:8 row_mask:0xf bank_mask:0xc
	;; [unrolled: 1-line block ×4, first 2 shown]
	s_and_b64 exec, exec, vcc
	s_cbranch_execz .LBB42_10
; %bb.40:
	s_load_dwordx2 s[0:1], s[0:1], 0x58
	v_cmp_eq_f32_e64 s[2:3], s20, 0
	v_pk_add_f32 v[6:7], v[4:5], v[6:7]
	v_pk_add_f32 v[4:5], v[8:9], v[10:11]
	s_and_b64 vcc, exec, s[2:3]
	s_waitcnt lgkmcnt(0)
	v_lshl_add_u64 v[0:1], v[2:3], 4, s[0:1]
	s_cbranch_vccz .LBB42_42
; %bb.41:
	v_pk_mul_f32 v[8:9], s[16:17], v[6:7] op_sel_hi:[0,1]
	v_pk_mul_f32 v[10:11], s[16:17], v[4:5] op_sel_hi:[0,1]
	global_store_dwordx4 v[0:1], v[8:11], off
	s_cbranch_execnz .LBB42_10
	s_branch .LBB42_43
.LBB42_42:
.LBB42_43:
	global_load_dwordx4 v[8:11], v[0:1], off
	v_pk_mul_f32 v[2:3], s[16:17], v[6:7] op_sel_hi:[0,1]
	v_pk_mul_f32 v[4:5], s[16:17], v[4:5] op_sel_hi:[0,1]
	s_waitcnt vmcnt(0)
	v_pk_fma_f32 v[2:3], s[20:21], v[8:9], v[2:3] op_sel_hi:[0,1,1]
	v_pk_fma_f32 v[4:5], s[20:21], v[10:11], v[4:5] op_sel_hi:[0,1,1]
	global_store_dwordx4 v[0:1], v[2:5], off
	s_endpgm
	.section	.rodata,"a",@progbits
	.p2align	6, 0x0
	.amdhsa_kernel _ZN9rocsparseL18bsrxmvn_4x4_kernelILj128ELj16EfllfffEEvT3_20rocsparse_direction_NS_24const_host_device_scalarIT1_EES1_PKS1_PKT2_SA_S7_PKT4_PKT5_S5_PT6_21rocsparse_index_base_b
		.amdhsa_group_segment_fixed_size 0
		.amdhsa_private_segment_fixed_size 0
		.amdhsa_kernarg_size 104
		.amdhsa_user_sgpr_count 2
		.amdhsa_user_sgpr_dispatch_ptr 0
		.amdhsa_user_sgpr_queue_ptr 0
		.amdhsa_user_sgpr_kernarg_segment_ptr 1
		.amdhsa_user_sgpr_dispatch_id 0
		.amdhsa_user_sgpr_kernarg_preload_length 0
		.amdhsa_user_sgpr_kernarg_preload_offset 0
		.amdhsa_user_sgpr_private_segment_size 0
		.amdhsa_uses_dynamic_stack 0
		.amdhsa_enable_private_segment 0
		.amdhsa_system_sgpr_workgroup_id_x 1
		.amdhsa_system_sgpr_workgroup_id_y 0
		.amdhsa_system_sgpr_workgroup_id_z 0
		.amdhsa_system_sgpr_workgroup_info 0
		.amdhsa_system_vgpr_workitem_id 0
		.amdhsa_next_free_vgpr 114
		.amdhsa_next_free_sgpr 28
		.amdhsa_accum_offset 116
		.amdhsa_reserve_vcc 1
		.amdhsa_float_round_mode_32 0
		.amdhsa_float_round_mode_16_64 0
		.amdhsa_float_denorm_mode_32 3
		.amdhsa_float_denorm_mode_16_64 3
		.amdhsa_dx10_clamp 1
		.amdhsa_ieee_mode 1
		.amdhsa_fp16_overflow 0
		.amdhsa_tg_split 0
		.amdhsa_exception_fp_ieee_invalid_op 0
		.amdhsa_exception_fp_denorm_src 0
		.amdhsa_exception_fp_ieee_div_zero 0
		.amdhsa_exception_fp_ieee_overflow 0
		.amdhsa_exception_fp_ieee_underflow 0
		.amdhsa_exception_fp_ieee_inexact 0
		.amdhsa_exception_int_div_zero 0
	.end_amdhsa_kernel
	.section	.text._ZN9rocsparseL18bsrxmvn_4x4_kernelILj128ELj16EfllfffEEvT3_20rocsparse_direction_NS_24const_host_device_scalarIT1_EES1_PKS1_PKT2_SA_S7_PKT4_PKT5_S5_PT6_21rocsparse_index_base_b,"axG",@progbits,_ZN9rocsparseL18bsrxmvn_4x4_kernelILj128ELj16EfllfffEEvT3_20rocsparse_direction_NS_24const_host_device_scalarIT1_EES1_PKS1_PKT2_SA_S7_PKT4_PKT5_S5_PT6_21rocsparse_index_base_b,comdat
.Lfunc_end42:
	.size	_ZN9rocsparseL18bsrxmvn_4x4_kernelILj128ELj16EfllfffEEvT3_20rocsparse_direction_NS_24const_host_device_scalarIT1_EES1_PKS1_PKT2_SA_S7_PKT4_PKT5_S5_PT6_21rocsparse_index_base_b, .Lfunc_end42-_ZN9rocsparseL18bsrxmvn_4x4_kernelILj128ELj16EfllfffEEvT3_20rocsparse_direction_NS_24const_host_device_scalarIT1_EES1_PKS1_PKT2_SA_S7_PKT4_PKT5_S5_PT6_21rocsparse_index_base_b
                                        ; -- End function
	.set _ZN9rocsparseL18bsrxmvn_4x4_kernelILj128ELj16EfllfffEEvT3_20rocsparse_direction_NS_24const_host_device_scalarIT1_EES1_PKS1_PKT2_SA_S7_PKT4_PKT5_S5_PT6_21rocsparse_index_base_b.num_vgpr, 114
	.set _ZN9rocsparseL18bsrxmvn_4x4_kernelILj128ELj16EfllfffEEvT3_20rocsparse_direction_NS_24const_host_device_scalarIT1_EES1_PKS1_PKT2_SA_S7_PKT4_PKT5_S5_PT6_21rocsparse_index_base_b.num_agpr, 0
	.set _ZN9rocsparseL18bsrxmvn_4x4_kernelILj128ELj16EfllfffEEvT3_20rocsparse_direction_NS_24const_host_device_scalarIT1_EES1_PKS1_PKT2_SA_S7_PKT4_PKT5_S5_PT6_21rocsparse_index_base_b.numbered_sgpr, 28
	.set _ZN9rocsparseL18bsrxmvn_4x4_kernelILj128ELj16EfllfffEEvT3_20rocsparse_direction_NS_24const_host_device_scalarIT1_EES1_PKS1_PKT2_SA_S7_PKT4_PKT5_S5_PT6_21rocsparse_index_base_b.num_named_barrier, 0
	.set _ZN9rocsparseL18bsrxmvn_4x4_kernelILj128ELj16EfllfffEEvT3_20rocsparse_direction_NS_24const_host_device_scalarIT1_EES1_PKS1_PKT2_SA_S7_PKT4_PKT5_S5_PT6_21rocsparse_index_base_b.private_seg_size, 0
	.set _ZN9rocsparseL18bsrxmvn_4x4_kernelILj128ELj16EfllfffEEvT3_20rocsparse_direction_NS_24const_host_device_scalarIT1_EES1_PKS1_PKT2_SA_S7_PKT4_PKT5_S5_PT6_21rocsparse_index_base_b.uses_vcc, 1
	.set _ZN9rocsparseL18bsrxmvn_4x4_kernelILj128ELj16EfllfffEEvT3_20rocsparse_direction_NS_24const_host_device_scalarIT1_EES1_PKS1_PKT2_SA_S7_PKT4_PKT5_S5_PT6_21rocsparse_index_base_b.uses_flat_scratch, 0
	.set _ZN9rocsparseL18bsrxmvn_4x4_kernelILj128ELj16EfllfffEEvT3_20rocsparse_direction_NS_24const_host_device_scalarIT1_EES1_PKS1_PKT2_SA_S7_PKT4_PKT5_S5_PT6_21rocsparse_index_base_b.has_dyn_sized_stack, 0
	.set _ZN9rocsparseL18bsrxmvn_4x4_kernelILj128ELj16EfllfffEEvT3_20rocsparse_direction_NS_24const_host_device_scalarIT1_EES1_PKS1_PKT2_SA_S7_PKT4_PKT5_S5_PT6_21rocsparse_index_base_b.has_recursion, 0
	.set _ZN9rocsparseL18bsrxmvn_4x4_kernelILj128ELj16EfllfffEEvT3_20rocsparse_direction_NS_24const_host_device_scalarIT1_EES1_PKS1_PKT2_SA_S7_PKT4_PKT5_S5_PT6_21rocsparse_index_base_b.has_indirect_call, 0
	.section	.AMDGPU.csdata,"",@progbits
; Kernel info:
; codeLenInByte = 3268
; TotalNumSgprs: 34
; NumVgprs: 114
; NumAgprs: 0
; TotalNumVgprs: 114
; ScratchSize: 0
; MemoryBound: 1
; FloatMode: 240
; IeeeMode: 1
; LDSByteSize: 0 bytes/workgroup (compile time only)
; SGPRBlocks: 4
; VGPRBlocks: 14
; NumSGPRsForWavesPerEU: 34
; NumVGPRsForWavesPerEU: 114
; AccumOffset: 116
; Occupancy: 4
; WaveLimiterHint : 1
; COMPUTE_PGM_RSRC2:SCRATCH_EN: 0
; COMPUTE_PGM_RSRC2:USER_SGPR: 2
; COMPUTE_PGM_RSRC2:TRAP_HANDLER: 0
; COMPUTE_PGM_RSRC2:TGID_X_EN: 1
; COMPUTE_PGM_RSRC2:TGID_Y_EN: 0
; COMPUTE_PGM_RSRC2:TGID_Z_EN: 0
; COMPUTE_PGM_RSRC2:TIDIG_COMP_CNT: 0
; COMPUTE_PGM_RSRC3_GFX90A:ACCUM_OFFSET: 28
; COMPUTE_PGM_RSRC3_GFX90A:TG_SPLIT: 0
	.section	.text._ZN9rocsparseL18bsrxmvn_4x4_kernelILj128ELj32EfllfffEEvT3_20rocsparse_direction_NS_24const_host_device_scalarIT1_EES1_PKS1_PKT2_SA_S7_PKT4_PKT5_S5_PT6_21rocsparse_index_base_b,"axG",@progbits,_ZN9rocsparseL18bsrxmvn_4x4_kernelILj128ELj32EfllfffEEvT3_20rocsparse_direction_NS_24const_host_device_scalarIT1_EES1_PKS1_PKT2_SA_S7_PKT4_PKT5_S5_PT6_21rocsparse_index_base_b,comdat
	.globl	_ZN9rocsparseL18bsrxmvn_4x4_kernelILj128ELj32EfllfffEEvT3_20rocsparse_direction_NS_24const_host_device_scalarIT1_EES1_PKS1_PKT2_SA_S7_PKT4_PKT5_S5_PT6_21rocsparse_index_base_b ; -- Begin function _ZN9rocsparseL18bsrxmvn_4x4_kernelILj128ELj32EfllfffEEvT3_20rocsparse_direction_NS_24const_host_device_scalarIT1_EES1_PKS1_PKT2_SA_S7_PKT4_PKT5_S5_PT6_21rocsparse_index_base_b
	.p2align	8
	.type	_ZN9rocsparseL18bsrxmvn_4x4_kernelILj128ELj32EfllfffEEvT3_20rocsparse_direction_NS_24const_host_device_scalarIT1_EES1_PKS1_PKT2_SA_S7_PKT4_PKT5_S5_PT6_21rocsparse_index_base_b,@function
_ZN9rocsparseL18bsrxmvn_4x4_kernelILj128ELj32EfllfffEEvT3_20rocsparse_direction_NS_24const_host_device_scalarIT1_EES1_PKS1_PKT2_SA_S7_PKT4_PKT5_S5_PT6_21rocsparse_index_base_b: ; @_ZN9rocsparseL18bsrxmvn_4x4_kernelILj128ELj32EfllfffEEvT3_20rocsparse_direction_NS_24const_host_device_scalarIT1_EES1_PKS1_PKT2_SA_S7_PKT4_PKT5_S5_PT6_21rocsparse_index_base_b
; %bb.0:
	s_load_dwordx2 s[4:5], s[0:1], 0x60
	s_load_dwordx4 s[16:19], s[0:1], 0x10
	s_load_dwordx2 s[20:21], s[0:1], 0x50
	s_waitcnt lgkmcnt(0)
	s_bitcmp1_b32 s5, 0
	s_cselect_b64 s[8:9], -1, 0
	s_xor_b64 s[6:7], s[8:9], -1
	s_and_b64 vcc, exec, s[8:9]
	s_cbranch_vccnz .LBB43_2
; %bb.1:
	s_load_dword s16, s[16:17], 0x0
.LBB43_2:
	s_andn2_b64 vcc, exec, s[6:7]
	s_cbranch_vccnz .LBB43_4
; %bb.3:
	s_load_dword s20, s[20:21], 0x0
.LBB43_4:
	s_waitcnt lgkmcnt(0)
	v_cmp_neq_f32_e64 s[6:7], s16, 0
	v_cmp_neq_f32_e64 s[8:9], s20, 1.0
	s_or_b64 s[6:7], s[6:7], s[8:9]
	s_andn2_b64 vcc, exec, s[6:7]
	s_cbranch_vccnz .LBB43_10
; %bb.5:
	s_load_dwordx2 s[6:7], s[0:1], 0x20
	v_lshrrev_b32_e32 v1, 5, v0
	v_lshl_or_b32 v2, s2, 2, v1
	v_mov_b32_e32 v3, 0
	s_mov_b64 s[2:3], 0
	s_waitcnt lgkmcnt(0)
	s_cmp_lg_u64 s[6:7], 0
	s_cbranch_scc0 .LBB43_11
; %bb.6:
	v_cmp_gt_i64_e32 vcc, s[18:19], v[2:3]
                                        ; implicit-def: $vgpr16_vgpr17
                                        ; implicit-def: $vgpr20_vgpr21
	s_and_saveexec_b64 s[8:9], vcc
	s_xor_b64 s[8:9], exec, s[8:9]
	s_cbranch_execz .LBB43_8
; %bb.7:
	v_lshl_add_u64 v[4:5], v[2:3], 3, s[6:7]
	global_load_dwordx2 v[4:5], v[4:5], off
	s_mov_b32 s5, 0
	s_mov_b64 s[2:3], exec
	v_mov_b64_e32 v[20:21], s[4:5]
	s_waitcnt vmcnt(0)
	v_subrev_co_u32_e32 v16, vcc, s4, v4
	s_nop 1
	v_subbrev_co_u32_e32 v17, vcc, 0, v5, vcc
.LBB43_8:
	s_or_b64 exec, exec, s[8:9]
.LBB43_9:
	s_and_saveexec_b64 s[4:5], s[2:3]
	s_cbranch_execnz .LBB43_15
.LBB43_10:
	s_endpgm
.LBB43_11:
                                        ; implicit-def: $vgpr16_vgpr17
                                        ; implicit-def: $vgpr20_vgpr21
	s_cbranch_execz .LBB43_9
; %bb.12:
	s_load_dwordx2 s[6:7], s[0:1], 0x0
	s_waitcnt lgkmcnt(0)
	v_cmp_gt_i64_e32 vcc, s[6:7], v[2:3]
	s_and_saveexec_b64 s[6:7], vcc
; %bb.13:
	s_mov_b32 s5, 0
	s_or_b64 s[2:3], s[2:3], exec
; %bb.14:
	s_or_b64 exec, exec, s[6:7]
	v_mov_b64_e32 v[20:21], s[4:5]
	v_mov_b64_e32 v[16:17], v[2:3]
	s_and_saveexec_b64 s[4:5], s[2:3]
	s_cbranch_execz .LBB43_10
.LBB43_15:
	s_load_dwordx8 s[8:15], s[0:1], 0x28
	v_lshlrev_b64 v[2:3], 3, v[16:17]
	v_and_b32_e32 v18, 31, v0
	v_mov_b32_e32 v19, 0
	s_waitcnt lgkmcnt(0)
	v_lshl_add_u64 v[4:5], s[8:9], 0, v[2:3]
	s_cmp_eq_u64 s[10:11], 0
	v_lshl_add_u64 v[2:3], s[10:11], 0, v[2:3]
	global_load_dwordx2 v[32:33], v[4:5], off
	v_lshl_add_u64 v[4:5], v[4:5], 0, 8
	s_cselect_b64 vcc, -1, 0
	v_cndmask_b32_e32 v3, v3, v5, vcc
	v_cndmask_b32_e32 v2, v2, v4, vcc
	global_load_dwordx2 v[2:3], v[2:3], off
	s_load_dword s2, s[0:1], 0x8
	s_load_dwordx2 s[10:11], s[0:1], 0x48
	s_waitcnt lgkmcnt(0)
	s_cmp_eq_u32 s2, 1
	s_waitcnt vmcnt(1)
	v_sub_co_u32_e32 v0, vcc, v32, v20
	s_nop 1
	v_subb_co_u32_e32 v1, vcc, v33, v21, vcc
	v_lshl_add_u64 v[22:23], v[0:1], 0, v[18:19]
	s_waitcnt vmcnt(0)
	v_sub_co_u32_e32 v24, vcc, v2, v20
	v_lshlrev_b64 v[0:1], 6, v[22:23]
	s_nop 0
	v_subb_co_u32_e32 v25, vcc, v3, v21, vcc
	v_lshl_add_u64 v[26:27], s[14:15], 0, v[0:1]
	v_cmp_lt_i64_e64 s[2:3], v[22:23], v[24:25]
	s_cbranch_scc1 .LBB43_27
; %bb.16:
	v_mov_b32_e32 v28, v19
	v_mov_b32_e32 v31, v19
	;; [unrolled: 1-line block ×3, first 2 shown]
	s_and_saveexec_b64 s[14:15], s[2:3]
	s_cbranch_execz .LBB43_26
; %bb.17:
	v_or_b32_e32 v0, 32, v18
	v_sub_co_u32_e32 v0, vcc, v0, v20
	v_not_b32_e32 v3, v33
	s_nop 0
	v_subb_co_u32_e32 v1, vcc, 0, v21, vcc
	v_lshl_add_u64 v[0:1], v[0:1], 0, v[32:33]
	v_cmp_gt_i64_e32 vcc, v[0:1], v[24:25]
	v_not_b32_e32 v2, v32
	v_mov_b32_e32 v28, 0
	v_cndmask_b32_e32 v1, v25, v1, vcc
	v_cndmask_b32_e32 v0, v24, v0, vcc
	v_sub_co_u32_e32 v4, vcc, v20, v18
	s_mov_b64 s[4:5], 0x60
	s_nop 0
	v_subbrev_co_u32_e32 v5, vcc, 0, v21, vcc
	v_lshl_add_u64 v[2:3], v[4:5], 0, v[2:3]
	v_lshl_add_u64 v[0:1], v[2:3], 0, v[0:1]
	v_and_b32_e32 v2, 0x60, v0
	v_mov_b32_e32 v3, v28
	v_mov_b32_e32 v29, v28
	v_cmp_ne_u64_e32 vcc, s[4:5], v[2:3]
	v_mov_b64_e32 v[30:31], v[28:29]
	v_mov_b64_e32 v[34:35], v[22:23]
	;; [unrolled: 1-line block ×3, first 2 shown]
	s_and_saveexec_b64 s[4:5], vcc
	s_cbranch_execz .LBB43_21
; %bb.18:
	v_lshrrev_b32_e32 v2, 5, v0
	v_add_u32_e32 v2, 1, v2
	v_and_b32_e32 v4, 3, v2
	v_sub_co_u32_e32 v4, vcc, 0, v4
	v_lshl_add_u64 v[2:3], v[22:23], 3, s[12:13]
	s_nop 0
	v_subb_co_u32_e64 v5, s[8:9], 0, 0, vcc
	s_mov_b64 s[6:7], 0
	s_mov_b64 s[8:9], 0x800
	;; [unrolled: 1-line block ×3, first 2 shown]
	v_mov_b64_e32 v[36:37], v[26:27]
	v_mov_b64_e32 v[34:35], v[22:23]
	v_mov_b32_e32 v29, v28
	v_mov_b32_e32 v30, v28
	;; [unrolled: 1-line block ×3, first 2 shown]
.LBB43_19:                              ; =>This Inner Loop Header: Depth=1
	global_load_dwordx2 v[14:15], v[2:3], off
	global_load_dwordx4 v[42:45], v[36:37], off
	global_load_dwordx4 v[6:9], v[36:37], off offset:16
	global_load_dwordx4 v[10:13], v[36:37], off offset:48
	;; [unrolled: 1-line block ×3, first 2 shown]
	v_lshl_add_u64 v[4:5], v[4:5], 0, 1
	v_lshl_add_u64 v[36:37], v[36:37], 0, s[8:9]
	;; [unrolled: 1-line block ×4, first 2 shown]
	s_waitcnt vmcnt(4)
	v_sub_co_u32_e32 v14, vcc, v14, v20
	s_nop 1
	v_subb_co_u32_e32 v15, vcc, v15, v21, vcc
	v_lshl_add_u64 v[14:15], v[14:15], 4, s[10:11]
	global_load_dwordx4 v[38:41], v[14:15], off
	s_waitcnt vmcnt(4)
	v_mov_b32_e32 v14, v42
	s_waitcnt vmcnt(3)
	v_mov_b32_e32 v15, v6
	v_mov_b32_e32 v6, v43
	;; [unrolled: 1-line block ×5, first 2 shown]
	s_waitcnt vmcnt(1)
	v_mov_b32_e32 v44, v46
	v_mov_b32_e32 v45, v10
	;; [unrolled: 1-line block ×5, first 2 shown]
	v_cmp_eq_u64_e32 vcc, 0, v[4:5]
	v_mov_b32_e32 v12, v49
	s_or_b64 s[6:7], vcc, s[6:7]
	s_waitcnt vmcnt(0)
	v_pk_fma_f32 v[14:15], v[14:15], v[38:39], v[30:31] op_sel_hi:[1,0,1]
	v_pk_fma_f32 v[28:29], v[44:45], v[38:39], v[28:29] op_sel_hi:[1,0,1]
	v_pk_fma_f32 v[6:7], v[6:7], v[38:39], v[14:15] op_sel:[0,1,0]
	v_pk_fma_f32 v[10:11], v[10:11], v[38:39], v[28:29] op_sel:[0,1,0]
	v_mov_b32_e32 v48, v41
	v_pk_fma_f32 v[6:7], v[42:43], v[40:41], v[6:7] op_sel_hi:[1,0,1]
	v_pk_fma_f32 v[10:11], v[46:47], v[40:41], v[10:11] op_sel_hi:[1,0,1]
	;; [unrolled: 1-line block ×4, first 2 shown]
	s_andn2_b64 exec, exec, s[6:7]
	s_cbranch_execnz .LBB43_19
; %bb.20:
	s_or_b64 exec, exec, s[6:7]
.LBB43_21:
	s_or_b64 exec, exec, s[4:5]
	s_mov_b64 s[4:5], 0x5f
	v_cmp_lt_u64_e32 vcc, s[4:5], v[0:1]
	s_and_saveexec_b64 s[18:19], vcc
	s_cbranch_execz .LBB43_25
; %bb.22:
	v_lshl_add_u64 v[0:1], v[34:35], 3, s[12:13]
	s_mov_b64 s[4:5], 0x200
	v_lshl_add_u64 v[38:39], v[0:1], 0, s[4:5]
	s_mov_b64 s[22:23], 0
	s_mov_b64 s[24:25], 0x1800
	s_movk_i32 s17, 0x1000
	s_mov_b64 s[26:27], 0x80
	s_mov_b64 s[28:29], 0x400
	;; [unrolled: 1-line block ×3, first 2 shown]
.LBB43_23:                              ; =>This Inner Loop Header: Depth=1
	global_load_dwordx2 v[56:57], v[38:39], off offset:-512
	global_load_dwordx4 v[82:85], v[36:37], off
	global_load_dwordx2 v[58:59], v[38:39], off offset:-256
	global_load_dwordx2 v[60:61], v[38:39], off
	global_load_dwordx2 v[62:63], v[38:39], off offset:256
	global_load_dwordx4 v[4:7], v[36:37], off offset:16
	global_load_dwordx4 v[0:3], v[36:37], off offset:48
	;; [unrolled: 1-line block ×3, first 2 shown]
	v_add_co_u32_e32 v66, vcc, s17, v36
	v_lshl_add_u64 v[34:35], v[34:35], 0, s[26:27]
	s_nop 0
	v_addc_co_u32_e32 v67, vcc, 0, v37, vcc
	v_cmp_ge_i64_e32 vcc, v[34:35], v[24:25]
	s_or_b64 s[22:23], vcc, s[22:23]
	v_lshl_add_u64 v[64:65], v[36:37], 0, s[24:25]
	global_load_dwordx4 v[8:11], v[36:37], off offset:2096
	global_load_dwordx4 v[90:93], v[36:37], off offset:2080
	;; [unrolled: 1-line block ×7, first 2 shown]
	global_load_dwordx4 v[48:51], v[64:65], off offset:-2000
	global_load_dwordx4 v[102:105], v[64:65], off offset:-2016
	;; [unrolled: 1-line block ×4, first 2 shown]
	global_load_dwordx4 v[110:113], v[66:67], off offset:2048
	v_lshl_add_u64 v[38:39], v[38:39], 0, s[28:29]
	v_lshl_add_u64 v[36:37], v[36:37], 0, s[30:31]
	s_waitcnt vmcnt(19)
	v_sub_co_u32_e32 v56, vcc, v56, v20
	s_waitcnt vmcnt(17)
	v_sub_co_u32_e64 v58, s[4:5], v58, v20
	s_waitcnt vmcnt(16)
	v_sub_co_u32_e64 v60, s[6:7], v60, v20
	;; [unrolled: 2-line block ×3, first 2 shown]
	v_subb_co_u32_e32 v57, vcc, v57, v21, vcc
	v_subb_co_u32_e64 v59, vcc, v59, v21, s[4:5]
	v_subb_co_u32_e64 v61, vcc, v61, v21, s[6:7]
	;; [unrolled: 1-line block ×3, first 2 shown]
	v_lshl_add_u64 v[74:75], v[56:57], 4, s[10:11]
	v_lshl_add_u64 v[76:77], v[58:59], 4, s[10:11]
	;; [unrolled: 1-line block ×4, first 2 shown]
	global_load_dwordx4 v[56:59], v[74:75], off
	global_load_dwordx4 v[60:63], v[76:77], off
	;; [unrolled: 1-line block ×4, first 2 shown]
	v_mov_b32_e32 v72, v82
	s_waitcnt vmcnt(18)
	v_mov_b32_e32 v73, v4
	s_waitcnt vmcnt(16)
	v_mov_b32_e32 v74, v86
	v_mov_b32_e32 v75, v0
	;; [unrolled: 1-line block ×10, first 2 shown]
	s_waitcnt vmcnt(12)
	v_mov_b32_e32 v78, v94
	v_mov_b32_e32 v79, v12
	;; [unrolled: 1-line block ×12, first 2 shown]
	s_waitcnt vmcnt(5)
	v_mov_b32_e32 v88, v106
	v_mov_b32_e32 v89, v52
	;; [unrolled: 1-line block ×7, first 2 shown]
	s_waitcnt vmcnt(4)
	v_mov_b32_e32 v92, v110
	v_mov_b32_e32 v44, v111
	s_waitcnt vmcnt(3)
	v_pk_fma_f32 v[30:31], v[72:73], v[56:57], v[30:31] op_sel_hi:[1,0,1]
	v_pk_fma_f32 v[28:29], v[74:75], v[56:57], v[28:29] op_sel_hi:[1,0,1]
	v_pk_fma_f32 v[4:5], v[4:5], v[56:57], v[30:31] op_sel:[0,1,0]
	v_pk_fma_f32 v[0:1], v[0:1], v[56:57], v[28:29] op_sel:[0,1,0]
	v_pk_fma_f32 v[4:5], v[76:77], v[58:59], v[4:5] op_sel_hi:[1,0,1]
	v_pk_fma_f32 v[0:1], v[82:83], v[58:59], v[0:1] op_sel_hi:[1,0,1]
	v_mov_b32_e32 v56, v59
	v_pk_fma_f32 v[4:5], v[6:7], v[56:57], v[4:5] op_sel_hi:[1,0,1]
	v_pk_fma_f32 v[0:1], v[2:3], v[56:57], v[0:1] op_sel_hi:[1,0,1]
	s_waitcnt vmcnt(2)
	v_pk_fma_f32 v[4:5], v[78:79], v[60:61], v[4:5] op_sel_hi:[1,0,1]
	v_pk_fma_f32 v[0:1], v[84:85], v[60:61], v[0:1] op_sel_hi:[1,0,1]
	v_pk_fma_f32 v[4:5], v[12:13], v[60:61], v[4:5] op_sel:[0,1,0]
	v_pk_fma_f32 v[0:1], v[8:9], v[60:61], v[0:1] op_sel:[0,1,0]
	v_mov_b32_e32 v6, v63
	v_pk_fma_f32 v[4:5], v[80:81], v[62:63], v[4:5] op_sel_hi:[1,0,1]
	v_pk_fma_f32 v[0:1], v[86:87], v[62:63], v[0:1] op_sel_hi:[1,0,1]
	v_mov_b32_e32 v74, v102
	v_mov_b32_e32 v75, v48
	v_pk_fma_f32 v[4:5], v[14:15], v[6:7], v[4:5] op_sel_hi:[1,0,1]
	v_pk_fma_f32 v[0:1], v[10:11], v[6:7], v[0:1] op_sel_hi:[1,0,1]
	v_mov_b32_e32 v48, v103
	s_waitcnt vmcnt(1)
	v_pk_fma_f32 v[4:5], v[88:89], v[64:65], v[4:5] op_sel_hi:[1,0,1]
	v_pk_fma_f32 v[0:1], v[74:75], v[64:65], v[0:1] op_sel_hi:[1,0,1]
	v_mov_b32_e32 v30, v104
	v_mov_b32_e32 v31, v50
	v_pk_fma_f32 v[4:5], v[52:53], v[64:65], v[4:5] op_sel:[0,1,0]
	v_pk_fma_f32 v[0:1], v[48:49], v[64:65], v[0:1] op_sel:[0,1,0]
	v_mov_b32_e32 v50, v105
	v_mov_b32_e32 v76, v67
	v_pk_fma_f32 v[4:5], v[90:91], v[66:67], v[4:5] op_sel_hi:[1,0,1]
	v_pk_fma_f32 v[0:1], v[30:31], v[66:67], v[0:1] op_sel_hi:[1,0,1]
	v_mov_b32_e32 v28, v98
	v_mov_b32_e32 v29, v40
	v_pk_fma_f32 v[4:5], v[54:55], v[76:77], v[4:5] op_sel_hi:[1,0,1]
	v_pk_fma_f32 v[0:1], v[50:51], v[76:77], v[0:1] op_sel_hi:[1,0,1]
	v_mov_b32_e32 v40, v99
	s_waitcnt vmcnt(0)
	v_pk_fma_f32 v[4:5], v[92:93], v[68:69], v[4:5] op_sel_hi:[1,0,1]
	v_pk_fma_f32 v[0:1], v[28:29], v[68:69], v[0:1] op_sel_hi:[1,0,1]
	v_mov_b32_e32 v73, v46
	v_mov_b32_e32 v58, v100
	;; [unrolled: 1-line block ×4, first 2 shown]
	v_pk_fma_f32 v[4:5], v[44:45], v[68:69], v[4:5] op_sel:[0,1,0]
	v_pk_fma_f32 v[0:1], v[40:41], v[68:69], v[0:1] op_sel:[0,1,0]
	v_mov_b32_e32 v42, v101
	v_mov_b32_e32 v46, v113
	;; [unrolled: 1-line block ×3, first 2 shown]
	v_pk_fma_f32 v[4:5], v[72:73], v[70:71], v[4:5] op_sel_hi:[1,0,1]
	v_pk_fma_f32 v[0:1], v[58:59], v[70:71], v[0:1] op_sel_hi:[1,0,1]
	v_pk_fma_f32 v[30:31], v[46:47], v[2:3], v[4:5] op_sel_hi:[1,0,1]
	v_pk_fma_f32 v[28:29], v[42:43], v[2:3], v[0:1] op_sel_hi:[1,0,1]
	s_andn2_b64 exec, exec, s[22:23]
	s_cbranch_execnz .LBB43_23
; %bb.24:
	s_or_b64 exec, exec, s[22:23]
.LBB43_25:
	s_or_b64 exec, exec, s[18:19]
	v_mov_b32_e32 v19, v29
.LBB43_26:
	s_or_b64 exec, exec, s[14:15]
	v_mov_b32_e32 v29, v19
	s_cbranch_execz .LBB43_28
	s_branch .LBB43_39
.LBB43_27:
                                        ; implicit-def: $vgpr29
                                        ; implicit-def: $vgpr31
.LBB43_28:
	v_mov_b32_e32 v29, 0
	v_mov_b32_e32 v28, 0
	;; [unrolled: 1-line block ×4, first 2 shown]
	s_and_saveexec_b64 s[4:5], s[2:3]
	s_cbranch_execz .LBB43_38
; %bb.29:
	v_or_b32_e32 v0, 32, v18
	v_sub_co_u32_e32 v0, vcc, v0, v20
	v_not_b32_e32 v3, v33
	s_nop 0
	v_subb_co_u32_e32 v1, vcc, 0, v21, vcc
	v_lshl_add_u64 v[0:1], v[0:1], 0, v[32:33]
	v_cmp_gt_i64_e32 vcc, v[0:1], v[24:25]
	v_not_b32_e32 v2, v32
	v_mov_b32_e32 v28, 0
	v_cndmask_b32_e32 v1, v25, v1, vcc
	v_cndmask_b32_e32 v0, v24, v0, vcc
	v_sub_co_u32_e32 v4, vcc, v20, v18
	s_mov_b64 s[2:3], 0x60
	s_nop 0
	v_subbrev_co_u32_e32 v5, vcc, 0, v21, vcc
	v_lshl_add_u64 v[2:3], v[4:5], 0, v[2:3]
	v_lshl_add_u64 v[0:1], v[2:3], 0, v[0:1]
	v_and_b32_e32 v2, 0x60, v0
	v_mov_b32_e32 v3, v28
	v_mov_b32_e32 v29, v28
	v_cmp_ne_u64_e32 vcc, s[2:3], v[2:3]
	v_mov_b64_e32 v[30:31], v[28:29]
	s_and_saveexec_b64 s[2:3], vcc
	s_cbranch_execz .LBB43_33
; %bb.30:
	v_lshrrev_b32_e32 v2, 5, v0
	v_add_u32_e32 v2, 1, v2
	v_and_b32_e32 v4, 3, v2
	v_sub_co_u32_e32 v4, vcc, 0, v4
	v_lshl_add_u64 v[2:3], v[22:23], 3, s[12:13]
	s_nop 0
	v_subb_co_u32_e64 v5, s[8:9], 0, 0, vcc
	s_mov_b64 s[6:7], 0
	s_mov_b64 s[8:9], 0x800
	;; [unrolled: 1-line block ×3, first 2 shown]
	v_mov_b32_e32 v29, v28
	v_mov_b32_e32 v30, v28
	;; [unrolled: 1-line block ×3, first 2 shown]
.LBB43_31:                              ; =>This Inner Loop Header: Depth=1
	global_load_dwordx2 v[14:15], v[2:3], off
	global_load_dwordx4 v[6:9], v[26:27], off offset:16
	global_load_dwordx4 v[10:13], v[26:27], off
	v_lshl_add_u64 v[4:5], v[4:5], 0, 1
	v_lshl_add_u64 v[22:23], v[22:23], 0, 32
	;; [unrolled: 1-line block ×3, first 2 shown]
	s_waitcnt vmcnt(2)
	v_sub_co_u32_e32 v14, vcc, v14, v20
	s_nop 1
	v_subb_co_u32_e32 v15, vcc, v15, v21, vcc
	v_lshl_add_u64 v[14:15], v[14:15], 4, s[10:11]
	global_load_dwordx4 v[32:35], v[14:15], off
	global_load_dwordx4 v[36:39], v[26:27], off offset:32
	global_load_dwordx4 v[40:43], v[26:27], off offset:48
	v_cmp_eq_u64_e32 vcc, 0, v[4:5]
	v_lshl_add_u64 v[26:27], v[26:27], 0, s[8:9]
	s_or_b64 s[6:7], vcc, s[6:7]
	s_waitcnt vmcnt(2)
	v_pk_fma_f32 v[10:11], v[10:11], v[32:33], v[30:31] op_sel_hi:[1,0,1]
	v_pk_fma_f32 v[12:13], v[12:13], v[32:33], v[28:29] op_sel_hi:[1,0,1]
	v_pk_fma_f32 v[6:7], v[6:7], v[32:33], v[10:11] op_sel:[0,1,0]
	v_pk_fma_f32 v[8:9], v[8:9], v[32:33], v[12:13] op_sel:[0,1,0]
	v_mov_b32_e32 v14, v35
	s_waitcnt vmcnt(1)
	v_pk_fma_f32 v[6:7], v[36:37], v[34:35], v[6:7] op_sel_hi:[1,0,1]
	v_pk_fma_f32 v[8:9], v[38:39], v[34:35], v[8:9] op_sel_hi:[1,0,1]
	s_waitcnt vmcnt(0)
	v_pk_fma_f32 v[30:31], v[40:41], v[14:15], v[6:7] op_sel_hi:[1,0,1]
	v_pk_fma_f32 v[28:29], v[42:43], v[14:15], v[8:9] op_sel_hi:[1,0,1]
	s_andn2_b64 exec, exec, s[6:7]
	s_cbranch_execnz .LBB43_31
; %bb.32:
	s_or_b64 exec, exec, s[6:7]
.LBB43_33:
	s_or_b64 exec, exec, s[2:3]
	s_mov_b64 s[2:3], 0x5f
	v_cmp_lt_u64_e32 vcc, s[2:3], v[0:1]
	s_and_saveexec_b64 s[2:3], vcc
	s_cbranch_execz .LBB43_37
; %bb.34:
	v_lshl_add_u64 v[0:1], v[22:23], 3, s[12:13]
	s_mov_b64 s[6:7], 0x200
	v_lshl_add_u64 v[0:1], v[0:1], 0, s[6:7]
	s_mov_b64 s[6:7], 0
	s_mov_b64 s[8:9], 0x1000
	s_movk_i32 s17, 0x1000
	s_mov_b64 s[12:13], 0x80
	s_mov_b64 s[14:15], 0x400
	;; [unrolled: 1-line block ×3, first 2 shown]
.LBB43_35:                              ; =>This Inner Loop Header: Depth=1
	global_load_dwordx2 v[14:15], v[0:1], off offset:-512
	global_load_dwordx2 v[76:77], v[0:1], off offset:-256
	global_load_dwordx2 v[78:79], v[0:1], off
	global_load_dwordx2 v[80:81], v[0:1], off offset:256
	global_load_dwordx4 v[2:5], v[26:27], off offset:48
	global_load_dwordx4 v[6:9], v[26:27], off offset:32
	global_load_dwordx4 v[10:13], v[26:27], off offset:16
	global_load_dwordx4 v[32:35], v[26:27], off
	global_load_dwordx4 v[36:39], v[26:27], off offset:2096
	global_load_dwordx4 v[40:43], v[26:27], off offset:2080
	;; [unrolled: 1-line block ×4, first 2 shown]
	v_add_co_u32_e32 v82, vcc, s17, v26
	v_lshl_add_u64 v[100:101], v[26:27], 0, s[8:9]
	s_nop 0
	v_addc_co_u32_e32 v83, vcc, 0, v27, vcc
	global_load_dwordx4 v[52:55], v[82:83], off
	global_load_dwordx4 v[56:59], v[100:101], off offset:32
	global_load_dwordx4 v[60:63], v[100:101], off offset:16
	;; [unrolled: 1-line block ×5, first 2 shown]
	v_lshl_add_u64 v[22:23], v[22:23], 0, s[12:13]
	v_lshl_add_u64 v[0:1], v[0:1], 0, s[14:15]
	;; [unrolled: 1-line block ×3, first 2 shown]
	s_waitcnt vmcnt(17)
	v_sub_co_u32_e32 v14, vcc, v14, v20
	s_nop 1
	v_subb_co_u32_e32 v15, vcc, v15, v21, vcc
	s_waitcnt vmcnt(16)
	v_sub_co_u32_e32 v76, vcc, v76, v20
	v_lshl_add_u64 v[14:15], v[14:15], 4, s[10:11]
	s_nop 0
	v_subb_co_u32_e32 v77, vcc, v77, v21, vcc
	s_waitcnt vmcnt(15)
	v_sub_co_u32_e32 v78, vcc, v78, v20
	v_lshl_add_u64 v[102:103], v[76:77], 4, s[10:11]
	;; [unrolled: 5-line block ×3, first 2 shown]
	s_nop 0
	v_subb_co_u32_e32 v81, vcc, v81, v21, vcc
	v_lshl_add_u64 v[106:107], v[80:81], 4, s[10:11]
	global_load_dwordx4 v[76:79], v[14:15], off
	global_load_dwordx4 v[80:83], v[102:103], off
	;; [unrolled: 1-line block ×4, first 2 shown]
	global_load_dwordx4 v[92:95], v[100:101], off offset:2080
	global_load_dwordx4 v[96:99], v[100:101], off offset:2096
	v_cmp_ge_i64_e32 vcc, v[22:23], v[24:25]
	s_or_b64 s[6:7], vcc, s[6:7]
	s_waitcnt vmcnt(5)
	v_pk_fma_f32 v[14:15], v[32:33], v[76:77], v[30:31] op_sel_hi:[1,0,1]
	v_pk_fma_f32 v[28:29], v[34:35], v[76:77], v[28:29] op_sel_hi:[1,0,1]
	v_pk_fma_f32 v[10:11], v[10:11], v[76:77], v[14:15] op_sel:[0,1,0]
	v_pk_fma_f32 v[12:13], v[12:13], v[76:77], v[28:29] op_sel:[0,1,0]
	v_mov_b32_e32 v30, v79
	v_pk_fma_f32 v[6:7], v[6:7], v[78:79], v[10:11] op_sel_hi:[1,0,1]
	v_pk_fma_f32 v[8:9], v[8:9], v[78:79], v[12:13] op_sel_hi:[1,0,1]
	v_pk_fma_f32 v[2:3], v[2:3], v[30:31], v[6:7] op_sel_hi:[1,0,1]
	v_pk_fma_f32 v[4:5], v[4:5], v[30:31], v[8:9] op_sel_hi:[1,0,1]
	s_waitcnt vmcnt(4)
	v_pk_fma_f32 v[2:3], v[48:49], v[80:81], v[2:3] op_sel_hi:[1,0,1]
	v_pk_fma_f32 v[4:5], v[50:51], v[80:81], v[4:5] op_sel_hi:[1,0,1]
	v_pk_fma_f32 v[2:3], v[44:45], v[80:81], v[2:3] op_sel:[0,1,0]
	v_pk_fma_f32 v[4:5], v[46:47], v[80:81], v[4:5] op_sel:[0,1,0]
	v_mov_b32_e32 v32, v83
	v_pk_fma_f32 v[2:3], v[40:41], v[82:83], v[2:3] op_sel_hi:[1,0,1]
	v_pk_fma_f32 v[4:5], v[42:43], v[82:83], v[4:5] op_sel_hi:[1,0,1]
	v_pk_fma_f32 v[2:3], v[36:37], v[32:33], v[2:3] op_sel_hi:[1,0,1]
	v_pk_fma_f32 v[4:5], v[38:39], v[32:33], v[4:5] op_sel_hi:[1,0,1]
	;; [unrolled: 10-line block ×3, first 2 shown]
	s_waitcnt vmcnt(2)
	v_pk_fma_f32 v[2:3], v[72:73], v[88:89], v[2:3] op_sel_hi:[1,0,1]
	v_pk_fma_f32 v[4:5], v[74:75], v[88:89], v[4:5] op_sel_hi:[1,0,1]
	v_pk_fma_f32 v[2:3], v[64:65], v[88:89], v[2:3] op_sel:[0,1,0]
	v_pk_fma_f32 v[4:5], v[66:67], v[88:89], v[4:5] op_sel:[0,1,0]
	v_mov_b32_e32 v100, v91
	s_waitcnt vmcnt(1)
	v_pk_fma_f32 v[2:3], v[92:93], v[90:91], v[2:3] op_sel_hi:[1,0,1]
	v_pk_fma_f32 v[4:5], v[94:95], v[90:91], v[4:5] op_sel_hi:[1,0,1]
	s_waitcnt vmcnt(0)
	v_pk_fma_f32 v[30:31], v[96:97], v[100:101], v[2:3] op_sel_hi:[1,0,1]
	v_pk_fma_f32 v[28:29], v[98:99], v[100:101], v[4:5] op_sel_hi:[1,0,1]
	s_andn2_b64 exec, exec, s[6:7]
	s_cbranch_execnz .LBB43_35
; %bb.36:
	s_or_b64 exec, exec, s[6:7]
.LBB43_37:
	s_or_b64 exec, exec, s[2:3]
.LBB43_38:
	s_or_b64 exec, exec, s[4:5]
.LBB43_39:
	v_mov_b32_dpp v0, v30 row_shr:1 row_mask:0xf bank_mask:0xf
	v_mov_b32_dpp v1, v31 row_shr:1 row_mask:0xf bank_mask:0xf
	;; [unrolled: 1-line block ×4, first 2 shown]
	v_pk_add_f32 v[0:1], v[30:31], v[0:1]
	v_pk_add_f32 v[4:5], v[28:29], v[4:5]
	v_cmp_eq_u32_e32 vcc, 31, v18
	v_mov_b32_dpp v2, v0 row_shr:2 row_mask:0xf bank_mask:0xf
	v_mov_b32_dpp v3, v1 row_shr:2 row_mask:0xf bank_mask:0xf
	v_mov_b32_dpp v6, v4 row_shr:2 row_mask:0xf bank_mask:0xf
	v_mov_b32_dpp v7, v5 row_shr:2 row_mask:0xf bank_mask:0xf
	v_pk_add_f32 v[0:1], v[0:1], v[2:3]
	v_pk_add_f32 v[4:5], v[4:5], v[6:7]
	s_nop 0
	v_mov_b32_dpp v2, v0 row_shr:4 row_mask:0xf bank_mask:0xe
	v_mov_b32_dpp v3, v1 row_shr:4 row_mask:0xf bank_mask:0xe
	v_mov_b32_dpp v6, v4 row_shr:4 row_mask:0xf bank_mask:0xe
	v_mov_b32_dpp v7, v5 row_shr:4 row_mask:0xf bank_mask:0xe
	v_pk_add_f32 v[0:1], v[0:1], v[2:3]
	v_pk_add_f32 v[4:5], v[4:5], v[6:7]
	s_nop 0
	;; [unrolled: 7-line block ×3, first 2 shown]
	v_mov_b32_dpp v2, v0 row_bcast:15 row_mask:0xa bank_mask:0xf
	v_mov_b32_dpp v3, v1 row_bcast:15 row_mask:0xa bank_mask:0xf
	;; [unrolled: 1-line block ×4, first 2 shown]
	s_and_b64 exec, exec, vcc
	s_cbranch_execz .LBB43_10
; %bb.40:
	s_load_dwordx2 s[0:1], s[0:1], 0x58
	v_cmp_eq_f32_e64 s[2:3], s20, 0
	v_pk_add_f32 v[4:5], v[0:1], v[2:3]
	v_pk_add_f32 v[2:3], v[6:7], v[8:9]
	s_and_b64 vcc, exec, s[2:3]
	s_waitcnt lgkmcnt(0)
	v_lshl_add_u64 v[0:1], v[16:17], 4, s[0:1]
	s_cbranch_vccz .LBB43_42
; %bb.41:
	v_pk_mul_f32 v[6:7], s[16:17], v[4:5] op_sel_hi:[0,1]
	v_pk_mul_f32 v[8:9], s[16:17], v[2:3] op_sel_hi:[0,1]
	global_store_dwordx4 v[0:1], v[6:9], off
	s_cbranch_execnz .LBB43_10
	s_branch .LBB43_43
.LBB43_42:
.LBB43_43:
	global_load_dwordx4 v[6:9], v[0:1], off
	v_pk_mul_f32 v[4:5], s[16:17], v[4:5] op_sel_hi:[0,1]
	v_pk_mul_f32 v[10:11], s[16:17], v[2:3] op_sel_hi:[0,1]
	s_waitcnt vmcnt(0)
	v_pk_fma_f32 v[2:3], s[20:21], v[6:7], v[4:5] op_sel_hi:[0,1,1]
	v_pk_fma_f32 v[4:5], s[20:21], v[8:9], v[10:11] op_sel_hi:[0,1,1]
	global_store_dwordx4 v[0:1], v[2:5], off
	s_endpgm
	.section	.rodata,"a",@progbits
	.p2align	6, 0x0
	.amdhsa_kernel _ZN9rocsparseL18bsrxmvn_4x4_kernelILj128ELj32EfllfffEEvT3_20rocsparse_direction_NS_24const_host_device_scalarIT1_EES1_PKS1_PKT2_SA_S7_PKT4_PKT5_S5_PT6_21rocsparse_index_base_b
		.amdhsa_group_segment_fixed_size 0
		.amdhsa_private_segment_fixed_size 0
		.amdhsa_kernarg_size 104
		.amdhsa_user_sgpr_count 2
		.amdhsa_user_sgpr_dispatch_ptr 0
		.amdhsa_user_sgpr_queue_ptr 0
		.amdhsa_user_sgpr_kernarg_segment_ptr 1
		.amdhsa_user_sgpr_dispatch_id 0
		.amdhsa_user_sgpr_kernarg_preload_length 0
		.amdhsa_user_sgpr_kernarg_preload_offset 0
		.amdhsa_user_sgpr_private_segment_size 0
		.amdhsa_uses_dynamic_stack 0
		.amdhsa_enable_private_segment 0
		.amdhsa_system_sgpr_workgroup_id_x 1
		.amdhsa_system_sgpr_workgroup_id_y 0
		.amdhsa_system_sgpr_workgroup_id_z 0
		.amdhsa_system_sgpr_workgroup_info 0
		.amdhsa_system_vgpr_workitem_id 0
		.amdhsa_next_free_vgpr 114
		.amdhsa_next_free_sgpr 32
		.amdhsa_accum_offset 116
		.amdhsa_reserve_vcc 1
		.amdhsa_float_round_mode_32 0
		.amdhsa_float_round_mode_16_64 0
		.amdhsa_float_denorm_mode_32 3
		.amdhsa_float_denorm_mode_16_64 3
		.amdhsa_dx10_clamp 1
		.amdhsa_ieee_mode 1
		.amdhsa_fp16_overflow 0
		.amdhsa_tg_split 0
		.amdhsa_exception_fp_ieee_invalid_op 0
		.amdhsa_exception_fp_denorm_src 0
		.amdhsa_exception_fp_ieee_div_zero 0
		.amdhsa_exception_fp_ieee_overflow 0
		.amdhsa_exception_fp_ieee_underflow 0
		.amdhsa_exception_fp_ieee_inexact 0
		.amdhsa_exception_int_div_zero 0
	.end_amdhsa_kernel
	.section	.text._ZN9rocsparseL18bsrxmvn_4x4_kernelILj128ELj32EfllfffEEvT3_20rocsparse_direction_NS_24const_host_device_scalarIT1_EES1_PKS1_PKT2_SA_S7_PKT4_PKT5_S5_PT6_21rocsparse_index_base_b,"axG",@progbits,_ZN9rocsparseL18bsrxmvn_4x4_kernelILj128ELj32EfllfffEEvT3_20rocsparse_direction_NS_24const_host_device_scalarIT1_EES1_PKS1_PKT2_SA_S7_PKT4_PKT5_S5_PT6_21rocsparse_index_base_b,comdat
.Lfunc_end43:
	.size	_ZN9rocsparseL18bsrxmvn_4x4_kernelILj128ELj32EfllfffEEvT3_20rocsparse_direction_NS_24const_host_device_scalarIT1_EES1_PKS1_PKT2_SA_S7_PKT4_PKT5_S5_PT6_21rocsparse_index_base_b, .Lfunc_end43-_ZN9rocsparseL18bsrxmvn_4x4_kernelILj128ELj32EfllfffEEvT3_20rocsparse_direction_NS_24const_host_device_scalarIT1_EES1_PKS1_PKT2_SA_S7_PKT4_PKT5_S5_PT6_21rocsparse_index_base_b
                                        ; -- End function
	.set _ZN9rocsparseL18bsrxmvn_4x4_kernelILj128ELj32EfllfffEEvT3_20rocsparse_direction_NS_24const_host_device_scalarIT1_EES1_PKS1_PKT2_SA_S7_PKT4_PKT5_S5_PT6_21rocsparse_index_base_b.num_vgpr, 114
	.set _ZN9rocsparseL18bsrxmvn_4x4_kernelILj128ELj32EfllfffEEvT3_20rocsparse_direction_NS_24const_host_device_scalarIT1_EES1_PKS1_PKT2_SA_S7_PKT4_PKT5_S5_PT6_21rocsparse_index_base_b.num_agpr, 0
	.set _ZN9rocsparseL18bsrxmvn_4x4_kernelILj128ELj32EfllfffEEvT3_20rocsparse_direction_NS_24const_host_device_scalarIT1_EES1_PKS1_PKT2_SA_S7_PKT4_PKT5_S5_PT6_21rocsparse_index_base_b.numbered_sgpr, 32
	.set _ZN9rocsparseL18bsrxmvn_4x4_kernelILj128ELj32EfllfffEEvT3_20rocsparse_direction_NS_24const_host_device_scalarIT1_EES1_PKS1_PKT2_SA_S7_PKT4_PKT5_S5_PT6_21rocsparse_index_base_b.num_named_barrier, 0
	.set _ZN9rocsparseL18bsrxmvn_4x4_kernelILj128ELj32EfllfffEEvT3_20rocsparse_direction_NS_24const_host_device_scalarIT1_EES1_PKS1_PKT2_SA_S7_PKT4_PKT5_S5_PT6_21rocsparse_index_base_b.private_seg_size, 0
	.set _ZN9rocsparseL18bsrxmvn_4x4_kernelILj128ELj32EfllfffEEvT3_20rocsparse_direction_NS_24const_host_device_scalarIT1_EES1_PKS1_PKT2_SA_S7_PKT4_PKT5_S5_PT6_21rocsparse_index_base_b.uses_vcc, 1
	.set _ZN9rocsparseL18bsrxmvn_4x4_kernelILj128ELj32EfllfffEEvT3_20rocsparse_direction_NS_24const_host_device_scalarIT1_EES1_PKS1_PKT2_SA_S7_PKT4_PKT5_S5_PT6_21rocsparse_index_base_b.uses_flat_scratch, 0
	.set _ZN9rocsparseL18bsrxmvn_4x4_kernelILj128ELj32EfllfffEEvT3_20rocsparse_direction_NS_24const_host_device_scalarIT1_EES1_PKS1_PKT2_SA_S7_PKT4_PKT5_S5_PT6_21rocsparse_index_base_b.has_dyn_sized_stack, 0
	.set _ZN9rocsparseL18bsrxmvn_4x4_kernelILj128ELj32EfllfffEEvT3_20rocsparse_direction_NS_24const_host_device_scalarIT1_EES1_PKS1_PKT2_SA_S7_PKT4_PKT5_S5_PT6_21rocsparse_index_base_b.has_recursion, 0
	.set _ZN9rocsparseL18bsrxmvn_4x4_kernelILj128ELj32EfllfffEEvT3_20rocsparse_direction_NS_24const_host_device_scalarIT1_EES1_PKS1_PKT2_SA_S7_PKT4_PKT5_S5_PT6_21rocsparse_index_base_b.has_indirect_call, 0
	.section	.AMDGPU.csdata,"",@progbits
; Kernel info:
; codeLenInByte = 3440
; TotalNumSgprs: 38
; NumVgprs: 114
; NumAgprs: 0
; TotalNumVgprs: 114
; ScratchSize: 0
; MemoryBound: 1
; FloatMode: 240
; IeeeMode: 1
; LDSByteSize: 0 bytes/workgroup (compile time only)
; SGPRBlocks: 4
; VGPRBlocks: 14
; NumSGPRsForWavesPerEU: 38
; NumVGPRsForWavesPerEU: 114
; AccumOffset: 116
; Occupancy: 4
; WaveLimiterHint : 1
; COMPUTE_PGM_RSRC2:SCRATCH_EN: 0
; COMPUTE_PGM_RSRC2:USER_SGPR: 2
; COMPUTE_PGM_RSRC2:TRAP_HANDLER: 0
; COMPUTE_PGM_RSRC2:TGID_X_EN: 1
; COMPUTE_PGM_RSRC2:TGID_Y_EN: 0
; COMPUTE_PGM_RSRC2:TGID_Z_EN: 0
; COMPUTE_PGM_RSRC2:TIDIG_COMP_CNT: 0
; COMPUTE_PGM_RSRC3_GFX90A:ACCUM_OFFSET: 28
; COMPUTE_PGM_RSRC3_GFX90A:TG_SPLIT: 0
	.section	.text._ZN9rocsparseL18bsrxmvn_4x4_kernelILj128ELj64EfllfffEEvT3_20rocsparse_direction_NS_24const_host_device_scalarIT1_EES1_PKS1_PKT2_SA_S7_PKT4_PKT5_S5_PT6_21rocsparse_index_base_b,"axG",@progbits,_ZN9rocsparseL18bsrxmvn_4x4_kernelILj128ELj64EfllfffEEvT3_20rocsparse_direction_NS_24const_host_device_scalarIT1_EES1_PKS1_PKT2_SA_S7_PKT4_PKT5_S5_PT6_21rocsparse_index_base_b,comdat
	.globl	_ZN9rocsparseL18bsrxmvn_4x4_kernelILj128ELj64EfllfffEEvT3_20rocsparse_direction_NS_24const_host_device_scalarIT1_EES1_PKS1_PKT2_SA_S7_PKT4_PKT5_S5_PT6_21rocsparse_index_base_b ; -- Begin function _ZN9rocsparseL18bsrxmvn_4x4_kernelILj128ELj64EfllfffEEvT3_20rocsparse_direction_NS_24const_host_device_scalarIT1_EES1_PKS1_PKT2_SA_S7_PKT4_PKT5_S5_PT6_21rocsparse_index_base_b
	.p2align	8
	.type	_ZN9rocsparseL18bsrxmvn_4x4_kernelILj128ELj64EfllfffEEvT3_20rocsparse_direction_NS_24const_host_device_scalarIT1_EES1_PKS1_PKT2_SA_S7_PKT4_PKT5_S5_PT6_21rocsparse_index_base_b,@function
_ZN9rocsparseL18bsrxmvn_4x4_kernelILj128ELj64EfllfffEEvT3_20rocsparse_direction_NS_24const_host_device_scalarIT1_EES1_PKS1_PKT2_SA_S7_PKT4_PKT5_S5_PT6_21rocsparse_index_base_b: ; @_ZN9rocsparseL18bsrxmvn_4x4_kernelILj128ELj64EfllfffEEvT3_20rocsparse_direction_NS_24const_host_device_scalarIT1_EES1_PKS1_PKT2_SA_S7_PKT4_PKT5_S5_PT6_21rocsparse_index_base_b
; %bb.0:
	s_load_dwordx2 s[4:5], s[0:1], 0x60
	s_load_dwordx4 s[16:19], s[0:1], 0x10
	s_load_dwordx2 s[20:21], s[0:1], 0x50
	s_waitcnt lgkmcnt(0)
	s_bitcmp1_b32 s5, 0
	s_cselect_b64 s[8:9], -1, 0
	s_xor_b64 s[6:7], s[8:9], -1
	s_and_b64 vcc, exec, s[8:9]
	s_cbranch_vccnz .LBB44_2
; %bb.1:
	s_load_dword s16, s[16:17], 0x0
.LBB44_2:
	s_andn2_b64 vcc, exec, s[6:7]
	s_cbranch_vccnz .LBB44_4
; %bb.3:
	s_load_dword s20, s[20:21], 0x0
.LBB44_4:
	s_waitcnt lgkmcnt(0)
	v_cmp_neq_f32_e64 s[6:7], s16, 0
	v_cmp_neq_f32_e64 s[8:9], s20, 1.0
	s_or_b64 s[6:7], s[6:7], s[8:9]
	s_andn2_b64 vcc, exec, s[6:7]
	s_cbranch_vccnz .LBB44_10
; %bb.5:
	s_load_dwordx2 s[6:7], s[0:1], 0x20
	v_lshrrev_b32_e32 v1, 6, v0
	v_lshl_or_b32 v2, s2, 1, v1
	v_mov_b32_e32 v3, 0
	s_mov_b64 s[2:3], 0
	s_waitcnt lgkmcnt(0)
	s_cmp_lg_u64 s[6:7], 0
	s_cbranch_scc0 .LBB44_11
; %bb.6:
	v_cmp_gt_i64_e32 vcc, s[18:19], v[2:3]
                                        ; implicit-def: $vgpr8_vgpr9
                                        ; implicit-def: $vgpr12_vgpr13
	s_and_saveexec_b64 s[8:9], vcc
	s_xor_b64 s[8:9], exec, s[8:9]
	s_cbranch_execz .LBB44_8
; %bb.7:
	v_lshl_add_u64 v[4:5], v[2:3], 3, s[6:7]
	global_load_dwordx2 v[4:5], v[4:5], off
	s_mov_b32 s5, 0
	s_mov_b64 s[2:3], exec
	v_mov_b64_e32 v[12:13], s[4:5]
	s_waitcnt vmcnt(0)
	v_subrev_co_u32_e32 v8, vcc, s4, v4
	s_nop 1
	v_subbrev_co_u32_e32 v9, vcc, 0, v5, vcc
.LBB44_8:
	s_or_b64 exec, exec, s[8:9]
.LBB44_9:
	s_and_saveexec_b64 s[4:5], s[2:3]
	s_cbranch_execnz .LBB44_15
.LBB44_10:
	s_endpgm
.LBB44_11:
                                        ; implicit-def: $vgpr8_vgpr9
                                        ; implicit-def: $vgpr12_vgpr13
	s_cbranch_execz .LBB44_9
; %bb.12:
	s_load_dwordx2 s[6:7], s[0:1], 0x0
	s_waitcnt lgkmcnt(0)
	v_cmp_gt_i64_e32 vcc, s[6:7], v[2:3]
	s_and_saveexec_b64 s[6:7], vcc
; %bb.13:
	s_mov_b32 s5, 0
	s_or_b64 s[2:3], s[2:3], exec
; %bb.14:
	s_or_b64 exec, exec, s[6:7]
	v_mov_b64_e32 v[12:13], s[4:5]
	v_mov_b64_e32 v[8:9], v[2:3]
	s_and_saveexec_b64 s[4:5], s[2:3]
	s_cbranch_execz .LBB44_10
.LBB44_15:
	s_load_dwordx8 s[8:15], s[0:1], 0x28
	v_lshlrev_b64 v[2:3], 3, v[8:9]
	v_and_b32_e32 v10, 63, v0
	v_mov_b32_e32 v11, 0
	s_waitcnt lgkmcnt(0)
	v_lshl_add_u64 v[4:5], s[8:9], 0, v[2:3]
	s_cmp_eq_u64 s[10:11], 0
	v_lshl_add_u64 v[2:3], s[10:11], 0, v[2:3]
	global_load_dwordx2 v[24:25], v[4:5], off
	v_lshl_add_u64 v[4:5], v[4:5], 0, 8
	s_cselect_b64 vcc, -1, 0
	v_cndmask_b32_e32 v3, v3, v5, vcc
	v_cndmask_b32_e32 v2, v2, v4, vcc
	global_load_dwordx2 v[2:3], v[2:3], off
	s_load_dword s2, s[0:1], 0x8
	s_load_dwordx2 s[10:11], s[0:1], 0x48
	s_waitcnt lgkmcnt(0)
	s_cmp_eq_u32 s2, 1
	s_waitcnt vmcnt(1)
	v_sub_co_u32_e32 v0, vcc, v24, v12
	s_nop 1
	v_subb_co_u32_e32 v1, vcc, v25, v13, vcc
	v_lshl_add_u64 v[14:15], v[0:1], 0, v[10:11]
	s_waitcnt vmcnt(0)
	v_sub_co_u32_e32 v16, vcc, v2, v12
	v_lshlrev_b64 v[0:1], 6, v[14:15]
	s_nop 0
	v_subb_co_u32_e32 v17, vcc, v3, v13, vcc
	v_lshl_add_u64 v[18:19], s[14:15], 0, v[0:1]
	v_cmp_lt_i64_e64 s[2:3], v[14:15], v[16:17]
	s_cbranch_scc1 .LBB44_27
; %bb.16:
	v_mov_b32_e32 v20, v11
	v_mov_b32_e32 v23, v11
	;; [unrolled: 1-line block ×3, first 2 shown]
	s_and_saveexec_b64 s[14:15], s[2:3]
	s_cbranch_execz .LBB44_26
; %bb.17:
	v_or_b32_e32 v0, 64, v10
	v_sub_co_u32_e32 v0, vcc, v0, v12
	v_not_b32_e32 v3, v25
	s_nop 0
	v_subb_co_u32_e32 v1, vcc, 0, v13, vcc
	v_lshl_add_u64 v[0:1], v[0:1], 0, v[24:25]
	v_cmp_gt_i64_e32 vcc, v[0:1], v[16:17]
	v_not_b32_e32 v2, v24
	v_mov_b32_e32 v20, 0
	v_cndmask_b32_e32 v1, v17, v1, vcc
	v_cndmask_b32_e32 v0, v16, v0, vcc
	v_sub_co_u32_e32 v4, vcc, v12, v10
	s_mov_b64 s[4:5], 0xc0
	s_nop 0
	v_subbrev_co_u32_e32 v5, vcc, 0, v13, vcc
	v_lshl_add_u64 v[2:3], v[4:5], 0, v[2:3]
	v_lshl_add_u64 v[0:1], v[2:3], 0, v[0:1]
	v_and_b32_e32 v2, 0xc0, v0
	v_mov_b32_e32 v3, v20
	v_mov_b32_e32 v21, v20
	v_cmp_ne_u64_e32 vcc, s[4:5], v[2:3]
	v_mov_b64_e32 v[22:23], v[20:21]
	v_mov_b64_e32 v[26:27], v[14:15]
	;; [unrolled: 1-line block ×3, first 2 shown]
	s_and_saveexec_b64 s[4:5], vcc
	s_cbranch_execz .LBB44_21
; %bb.18:
	v_lshrrev_b32_e32 v2, 6, v0
	v_add_u32_e32 v2, 1, v2
	v_and_b32_e32 v2, 3, v2
	v_sub_co_u32_e32 v2, vcc, 0, v2
	s_mov_b64 s[6:7], 0
	s_nop 0
	v_subb_co_u32_e64 v3, s[8:9], 0, 0, vcc
	v_lshl_add_u64 v[4:5], v[14:15], 3, s[12:13]
	s_mov_b64 s[8:9], 0x1000
	s_mov_b64 s[18:19], 0x200
	v_mov_b64_e32 v[28:29], v[18:19]
	v_mov_b64_e32 v[26:27], v[14:15]
	v_mov_b32_e32 v21, v20
	v_mov_b32_e32 v22, v20
	;; [unrolled: 1-line block ×3, first 2 shown]
.LBB44_19:                              ; =>This Inner Loop Header: Depth=1
	global_load_dwordx2 v[6:7], v[4:5], off
	global_load_dwordx4 v[42:45], v[28:29], off
	global_load_dwordx4 v[30:33], v[28:29], off offset:16
	global_load_dwordx4 v[34:37], v[28:29], off offset:48
	;; [unrolled: 1-line block ×3, first 2 shown]
	v_lshl_add_u64 v[2:3], v[2:3], 0, 1
	v_lshl_add_u64 v[28:29], v[28:29], 0, s[8:9]
	;; [unrolled: 1-line block ×4, first 2 shown]
	s_waitcnt vmcnt(4)
	v_sub_co_u32_e32 v6, vcc, v6, v12
	s_nop 1
	v_subb_co_u32_e32 v7, vcc, v7, v13, vcc
	v_lshl_add_u64 v[6:7], v[6:7], 4, s[10:11]
	global_load_dwordx4 v[38:41], v[6:7], off
	s_waitcnt vmcnt(4)
	v_mov_b32_e32 v6, v42
	s_waitcnt vmcnt(3)
	v_mov_b32_e32 v7, v30
	v_mov_b32_e32 v30, v43
	;; [unrolled: 1-line block ×5, first 2 shown]
	s_waitcnt vmcnt(1)
	v_mov_b32_e32 v44, v46
	v_mov_b32_e32 v45, v34
	;; [unrolled: 1-line block ×5, first 2 shown]
	v_cmp_eq_u64_e32 vcc, 0, v[2:3]
	v_mov_b32_e32 v36, v49
	s_or_b64 s[6:7], vcc, s[6:7]
	s_waitcnt vmcnt(0)
	v_pk_fma_f32 v[6:7], v[6:7], v[38:39], v[22:23] op_sel_hi:[1,0,1]
	v_pk_fma_f32 v[20:21], v[44:45], v[38:39], v[20:21] op_sel_hi:[1,0,1]
	v_pk_fma_f32 v[6:7], v[30:31], v[38:39], v[6:7] op_sel:[0,1,0]
	v_pk_fma_f32 v[20:21], v[34:35], v[38:39], v[20:21] op_sel:[0,1,0]
	v_mov_b32_e32 v48, v41
	v_pk_fma_f32 v[6:7], v[42:43], v[40:41], v[6:7] op_sel_hi:[1,0,1]
	v_pk_fma_f32 v[20:21], v[46:47], v[40:41], v[20:21] op_sel_hi:[1,0,1]
	;; [unrolled: 1-line block ×4, first 2 shown]
	s_andn2_b64 exec, exec, s[6:7]
	s_cbranch_execnz .LBB44_19
; %bb.20:
	s_or_b64 exec, exec, s[6:7]
.LBB44_21:
	s_or_b64 exec, exec, s[4:5]
	s_mov_b64 s[4:5], 0xbf
	v_cmp_lt_u64_e32 vcc, s[4:5], v[0:1]
	s_and_saveexec_b64 s[18:19], vcc
	s_cbranch_execz .LBB44_25
; %bb.22:
	v_lshl_add_u64 v[0:1], v[26:27], 3, s[12:13]
	s_mov_b64 s[4:5], 0x400
	v_lshl_add_u64 v[30:31], v[0:1], 0, s[4:5]
	s_mov_b64 s[22:23], 0
	s_mov_b64 s[24:25], 0x1000
	;; [unrolled: 1-line block ×4, first 2 shown]
	s_movk_i32 s17, 0x2000
	s_movk_i32 s21, 0x3000
	s_mov_b64 s[30:31], 0x4000
	s_mov_b64 s[34:35], 0x100
	;; [unrolled: 1-line block ×3, first 2 shown]
.LBB44_23:                              ; =>This Inner Loop Header: Depth=1
	global_load_dwordx2 v[32:33], v[30:31], off offset:-1024
	global_load_dwordx4 v[82:85], v[28:29], off
	global_load_dwordx2 v[58:59], v[30:31], off offset:-512
	global_load_dwordx2 v[60:61], v[30:31], off
	global_load_dwordx2 v[62:63], v[30:31], off offset:512
	global_load_dwordx4 v[0:3], v[28:29], off offset:48
	global_load_dwordx4 v[86:89], v[28:29], off offset:32
	;; [unrolled: 1-line block ×3, first 2 shown]
	v_add_co_u32_e32 v72, vcc, s21, v28
	v_lshl_add_u64 v[26:27], v[26:27], 0, s[34:35]
	s_nop 0
	v_addc_co_u32_e32 v73, vcc, 0, v29, vcc
	v_add_co_u32_e64 v70, s[4:5], s17, v28
	v_cmp_ge_i64_e32 vcc, v[26:27], v[16:17]
	s_nop 0
	v_addc_co_u32_e64 v71, s[4:5], 0, v29, s[4:5]
	s_or_b64 s[22:23], vcc, s[22:23]
	v_lshl_add_u64 v[64:65], v[28:29], 0, s[24:25]
	v_lshl_add_u64 v[66:67], v[28:29], 0, s[26:27]
	;; [unrolled: 1-line block ×3, first 2 shown]
	global_load_dwordx4 v[34:37], v[64:65], off offset:48
	global_load_dwordx4 v[94:97], v[64:65], off offset:32
	;; [unrolled: 1-line block ×9, first 2 shown]
	global_load_dwordx4 v[106:109], v[70:71], off
	global_load_dwordx4 v[110:113], v[70:71], off offset:-4096
	global_load_dwordx4 v[114:117], v[72:73], off
	v_lshl_add_u64 v[30:31], v[30:31], 0, s[36:37]
	v_lshl_add_u64 v[28:29], v[28:29], 0, s[30:31]
	s_waitcnt vmcnt(19)
	v_sub_co_u32_e32 v32, vcc, v32, v12
	s_waitcnt vmcnt(17)
	v_sub_co_u32_e64 v58, s[4:5], v58, v12
	s_waitcnt vmcnt(16)
	v_sub_co_u32_e64 v60, s[6:7], v60, v12
	;; [unrolled: 2-line block ×3, first 2 shown]
	v_subb_co_u32_e32 v33, vcc, v33, v13, vcc
	v_subb_co_u32_e64 v59, vcc, v59, v13, s[4:5]
	v_subb_co_u32_e64 v61, vcc, v61, v13, s[6:7]
	;; [unrolled: 1-line block ×3, first 2 shown]
	v_lshl_add_u64 v[32:33], v[32:33], 4, s[10:11]
	v_lshl_add_u64 v[76:77], v[58:59], 4, s[10:11]
	;; [unrolled: 1-line block ×4, first 2 shown]
	global_load_dwordx4 v[58:61], v[32:33], off
	global_load_dwordx4 v[62:65], v[76:77], off
	;; [unrolled: 1-line block ×4, first 2 shown]
	v_mov_b32_e32 v74, v82
	s_waitcnt vmcnt(16)
	v_mov_b32_e32 v75, v4
	v_mov_b32_e32 v76, v86
	;; [unrolled: 1-line block ×11, first 2 shown]
	s_waitcnt vmcnt(13)
	v_mov_b32_e32 v81, v38
	v_mov_b32_e32 v92, v94
	;; [unrolled: 1-line block ×3, first 2 shown]
	s_waitcnt vmcnt(5)
	v_mov_b32_e32 v80, v110
	v_mov_b32_e32 v34, v95
	v_mov_b32_e32 v38, v111
	v_mov_b32_e32 v83, v40
	v_mov_b32_e32 v82, v112
	v_mov_b32_e32 v40, v113
	v_mov_b32_e32 v85, v46
	v_mov_b32_e32 v84, v106
	v_mov_b32_e32 v46, v107
	v_mov_b32_e32 v87, v48
	v_mov_b32_e32 v86, v108
	v_mov_b32_e32 v48, v109
	v_mov_b32_e32 v89, v54
	s_waitcnt vmcnt(4)
	v_mov_b32_e32 v88, v114
	v_mov_b32_e32 v54, v115
	;; [unrolled: 1-line block ×5, first 2 shown]
	s_waitcnt vmcnt(3)
	v_pk_fma_f32 v[22:23], v[74:75], v[58:59], v[22:23] op_sel_hi:[1,0,1]
	v_pk_fma_f32 v[20:21], v[76:77], v[58:59], v[20:21] op_sel_hi:[1,0,1]
	v_pk_fma_f32 v[4:5], v[4:5], v[58:59], v[22:23] op_sel:[0,1,0]
	v_pk_fma_f32 v[0:1], v[0:1], v[58:59], v[20:21] op_sel:[0,1,0]
	v_pk_fma_f32 v[4:5], v[32:33], v[60:61], v[4:5] op_sel_hi:[1,0,1]
	v_pk_fma_f32 v[0:1], v[78:79], v[60:61], v[0:1] op_sel_hi:[1,0,1]
	v_mov_b32_e32 v32, v61
	v_pk_fma_f32 v[4:5], v[6:7], v[32:33], v[4:5] op_sel_hi:[1,0,1]
	v_pk_fma_f32 v[0:1], v[2:3], v[32:33], v[0:1] op_sel_hi:[1,0,1]
	s_waitcnt vmcnt(2)
	v_pk_fma_f32 v[4:5], v[80:81], v[62:63], v[4:5] op_sel_hi:[1,0,1]
	v_pk_fma_f32 v[0:1], v[92:93], v[62:63], v[0:1] op_sel_hi:[1,0,1]
	v_mov_b32_e32 v74, v96
	v_mov_b32_e32 v75, v36
	v_pk_fma_f32 v[4:5], v[38:39], v[62:63], v[4:5] op_sel:[0,1,0]
	v_pk_fma_f32 v[0:1], v[34:35], v[62:63], v[0:1] op_sel:[0,1,0]
	v_mov_b32_e32 v36, v97
	v_mov_b32_e32 v6, v65
	v_pk_fma_f32 v[4:5], v[82:83], v[64:65], v[4:5] op_sel_hi:[1,0,1]
	v_pk_fma_f32 v[0:1], v[74:75], v[64:65], v[0:1] op_sel_hi:[1,0,1]
	v_mov_b32_e32 v76, v98
	v_mov_b32_e32 v77, v42
	v_pk_fma_f32 v[4:5], v[40:41], v[6:7], v[4:5] op_sel_hi:[1,0,1]
	v_pk_fma_f32 v[0:1], v[36:37], v[6:7], v[0:1] op_sel_hi:[1,0,1]
	v_mov_b32_e32 v42, v99
	s_waitcnt vmcnt(1)
	v_pk_fma_f32 v[4:5], v[84:85], v[66:67], v[4:5] op_sel_hi:[1,0,1]
	v_pk_fma_f32 v[0:1], v[76:77], v[66:67], v[0:1] op_sel_hi:[1,0,1]
	v_mov_b32_e32 v22, v100
	v_mov_b32_e32 v23, v44
	v_pk_fma_f32 v[4:5], v[46:47], v[66:67], v[4:5] op_sel:[0,1,0]
	v_pk_fma_f32 v[0:1], v[42:43], v[66:67], v[0:1] op_sel:[0,1,0]
	v_mov_b32_e32 v44, v101
	v_mov_b32_e32 v60, v69
	v_pk_fma_f32 v[4:5], v[86:87], v[68:69], v[4:5] op_sel_hi:[1,0,1]
	v_pk_fma_f32 v[0:1], v[22:23], v[68:69], v[0:1] op_sel_hi:[1,0,1]
	v_mov_b32_e32 v20, v102
	v_mov_b32_e32 v21, v50
	v_pk_fma_f32 v[4:5], v[48:49], v[60:61], v[4:5] op_sel_hi:[1,0,1]
	v_pk_fma_f32 v[0:1], v[44:45], v[60:61], v[0:1] op_sel_hi:[1,0,1]
	v_mov_b32_e32 v50, v103
	s_waitcnt vmcnt(0)
	v_pk_fma_f32 v[4:5], v[88:89], v[70:71], v[4:5] op_sel_hi:[1,0,1]
	v_pk_fma_f32 v[0:1], v[20:21], v[70:71], v[0:1] op_sel_hi:[1,0,1]
	v_mov_b32_e32 v58, v104
	v_mov_b32_e32 v59, v52
	v_pk_fma_f32 v[4:5], v[54:55], v[70:71], v[4:5] op_sel:[0,1,0]
	v_pk_fma_f32 v[0:1], v[50:51], v[70:71], v[0:1] op_sel:[0,1,0]
	v_mov_b32_e32 v52, v105
	v_mov_b32_e32 v2, v73
	v_pk_fma_f32 v[4:5], v[90:91], v[72:73], v[4:5] op_sel_hi:[1,0,1]
	v_pk_fma_f32 v[0:1], v[58:59], v[72:73], v[0:1] op_sel_hi:[1,0,1]
	;; [unrolled: 1-line block ×4, first 2 shown]
	s_andn2_b64 exec, exec, s[22:23]
	s_cbranch_execnz .LBB44_23
; %bb.24:
	s_or_b64 exec, exec, s[22:23]
.LBB44_25:
	s_or_b64 exec, exec, s[18:19]
	v_mov_b32_e32 v11, v21
.LBB44_26:
	s_or_b64 exec, exec, s[14:15]
	v_mov_b32_e32 v21, v11
	s_cbranch_execz .LBB44_28
	s_branch .LBB44_39
.LBB44_27:
                                        ; implicit-def: $vgpr21
                                        ; implicit-def: $vgpr23
.LBB44_28:
	v_mov_b32_e32 v21, 0
	v_mov_b32_e32 v20, 0
	;; [unrolled: 1-line block ×4, first 2 shown]
	s_and_saveexec_b64 s[4:5], s[2:3]
	s_cbranch_execz .LBB44_38
; %bb.29:
	v_or_b32_e32 v0, 64, v10
	v_sub_co_u32_e32 v0, vcc, v0, v12
	v_not_b32_e32 v3, v25
	s_nop 0
	v_subb_co_u32_e32 v1, vcc, 0, v13, vcc
	v_lshl_add_u64 v[0:1], v[0:1], 0, v[24:25]
	v_cmp_gt_i64_e32 vcc, v[0:1], v[16:17]
	v_not_b32_e32 v2, v24
	v_mov_b32_e32 v20, 0
	v_cndmask_b32_e32 v1, v17, v1, vcc
	v_cndmask_b32_e32 v0, v16, v0, vcc
	v_sub_co_u32_e32 v4, vcc, v12, v10
	s_mov_b64 s[2:3], 0xc0
	s_nop 0
	v_subbrev_co_u32_e32 v5, vcc, 0, v13, vcc
	v_lshl_add_u64 v[2:3], v[4:5], 0, v[2:3]
	v_lshl_add_u64 v[0:1], v[2:3], 0, v[0:1]
	v_and_b32_e32 v2, 0xc0, v0
	v_mov_b32_e32 v3, v20
	v_mov_b32_e32 v21, v20
	v_cmp_ne_u64_e32 vcc, s[2:3], v[2:3]
	v_mov_b64_e32 v[22:23], v[20:21]
	s_and_saveexec_b64 s[2:3], vcc
	s_cbranch_execz .LBB44_33
; %bb.30:
	v_lshrrev_b32_e32 v2, 6, v0
	v_add_u32_e32 v2, 1, v2
	v_and_b32_e32 v4, 3, v2
	v_sub_co_u32_e32 v4, vcc, 0, v4
	v_lshl_add_u64 v[2:3], v[14:15], 3, s[12:13]
	s_nop 0
	v_subb_co_u32_e64 v5, s[8:9], 0, 0, vcc
	s_mov_b64 s[6:7], 0
	s_mov_b64 s[8:9], 0x1000
	;; [unrolled: 1-line block ×3, first 2 shown]
	v_mov_b32_e32 v21, v20
	v_mov_b32_e32 v22, v20
	;; [unrolled: 1-line block ×3, first 2 shown]
.LBB44_31:                              ; =>This Inner Loop Header: Depth=1
	global_load_dwordx2 v[6:7], v[2:3], off
	global_load_dwordx4 v[24:27], v[18:19], off offset:16
	global_load_dwordx4 v[28:31], v[18:19], off
	v_lshl_add_u64 v[4:5], v[4:5], 0, 1
	v_lshl_add_u64 v[14:15], v[14:15], 0, 64
	;; [unrolled: 1-line block ×3, first 2 shown]
	s_waitcnt vmcnt(2)
	v_sub_co_u32_e32 v6, vcc, v6, v12
	s_nop 1
	v_subb_co_u32_e32 v7, vcc, v7, v13, vcc
	v_lshl_add_u64 v[6:7], v[6:7], 4, s[10:11]
	global_load_dwordx4 v[32:35], v[6:7], off
	global_load_dwordx4 v[36:39], v[18:19], off offset:32
	global_load_dwordx4 v[40:43], v[18:19], off offset:48
	v_cmp_eq_u64_e32 vcc, 0, v[4:5]
	v_lshl_add_u64 v[18:19], v[18:19], 0, s[8:9]
	s_or_b64 s[6:7], vcc, s[6:7]
	s_waitcnt vmcnt(2)
	v_pk_fma_f32 v[6:7], v[28:29], v[32:33], v[22:23] op_sel_hi:[1,0,1]
	v_pk_fma_f32 v[20:21], v[30:31], v[32:33], v[20:21] op_sel_hi:[1,0,1]
	v_pk_fma_f32 v[6:7], v[24:25], v[32:33], v[6:7] op_sel:[0,1,0]
	v_pk_fma_f32 v[20:21], v[26:27], v[32:33], v[20:21] op_sel:[0,1,0]
	v_mov_b32_e32 v28, v35
	s_waitcnt vmcnt(1)
	v_pk_fma_f32 v[6:7], v[36:37], v[34:35], v[6:7] op_sel_hi:[1,0,1]
	v_pk_fma_f32 v[20:21], v[38:39], v[34:35], v[20:21] op_sel_hi:[1,0,1]
	s_waitcnt vmcnt(0)
	v_pk_fma_f32 v[22:23], v[40:41], v[28:29], v[6:7] op_sel_hi:[1,0,1]
	v_pk_fma_f32 v[20:21], v[42:43], v[28:29], v[20:21] op_sel_hi:[1,0,1]
	s_andn2_b64 exec, exec, s[6:7]
	s_cbranch_execnz .LBB44_31
; %bb.32:
	s_or_b64 exec, exec, s[6:7]
.LBB44_33:
	s_or_b64 exec, exec, s[2:3]
	s_mov_b64 s[2:3], 0xbf
	v_cmp_lt_u64_e32 vcc, s[2:3], v[0:1]
	s_and_saveexec_b64 s[2:3], vcc
	s_cbranch_execz .LBB44_37
; %bb.34:
	v_lshl_add_u64 v[0:1], v[14:15], 3, s[12:13]
	s_mov_b64 s[6:7], 0x400
	v_lshl_add_u64 v[0:1], v[0:1], 0, s[6:7]
	s_mov_b64 s[6:7], 0
	s_mov_b64 s[8:9], 0x1000
	;; [unrolled: 1-line block ×3, first 2 shown]
	s_movk_i32 s17, 0x2000
	s_mov_b64 s[14:15], 0x3000
	s_movk_i32 s21, 0x3000
	s_mov_b64 s[18:19], 0x100
	s_mov_b64 s[22:23], 0x800
	;; [unrolled: 1-line block ×3, first 2 shown]
.LBB44_35:                              ; =>This Inner Loop Header: Depth=1
	global_load_dwordx2 v[6:7], v[0:1], off offset:-1024
	global_load_dwordx2 v[76:77], v[0:1], off offset:-512
	global_load_dwordx2 v[78:79], v[0:1], off
	global_load_dwordx2 v[80:81], v[0:1], off offset:512
	global_load_dwordx4 v[2:5], v[18:19], off offset:48
	global_load_dwordx4 v[24:27], v[18:19], off offset:32
	;; [unrolled: 1-line block ×3, first 2 shown]
	global_load_dwordx4 v[32:35], v[18:19], off
	v_add_co_u32_e32 v84, vcc, s17, v18
	v_lshl_add_u64 v[82:83], v[18:19], 0, s[8:9]
	s_nop 0
	v_addc_co_u32_e32 v85, vcc, 0, v19, vcc
	v_add_co_u32_e32 v88, vcc, s21, v18
	v_lshl_add_u64 v[86:87], v[18:19], 0, s[12:13]
	s_nop 0
	v_addc_co_u32_e32 v89, vcc, 0, v19, vcc
	v_lshl_add_u64 v[100:101], v[18:19], 0, s[14:15]
	global_load_dwordx4 v[36:39], v[82:83], off offset:16
	global_load_dwordx4 v[40:43], v[82:83], off offset:32
	global_load_dwordx4 v[44:47], v[84:85], off offset:-4096
	global_load_dwordx4 v[48:51], v[84:85], off
	global_load_dwordx4 v[52:55], v[86:87], off offset:48
	global_load_dwordx4 v[56:59], v[86:87], off offset:32
	;; [unrolled: 1-line block ×4, first 2 shown]
	global_load_dwordx4 v[68:71], v[88:89], off
	global_load_dwordx4 v[72:75], v[100:101], off offset:16
	v_lshl_add_u64 v[14:15], v[14:15], 0, s[18:19]
	v_lshl_add_u64 v[0:1], v[0:1], 0, s[22:23]
	;; [unrolled: 1-line block ×3, first 2 shown]
	s_waitcnt vmcnt(17)
	v_sub_co_u32_e32 v6, vcc, v6, v12
	s_nop 1
	v_subb_co_u32_e32 v7, vcc, v7, v13, vcc
	s_waitcnt vmcnt(16)
	v_sub_co_u32_e32 v76, vcc, v76, v12
	v_lshl_add_u64 v[6:7], v[6:7], 4, s[10:11]
	s_nop 0
	v_subb_co_u32_e32 v77, vcc, v77, v13, vcc
	s_waitcnt vmcnt(15)
	v_sub_co_u32_e32 v78, vcc, v78, v12
	v_lshl_add_u64 v[102:103], v[76:77], 4, s[10:11]
	;; [unrolled: 5-line block ×3, first 2 shown]
	s_nop 0
	v_subb_co_u32_e32 v81, vcc, v81, v13, vcc
	v_lshl_add_u64 v[106:107], v[80:81], 4, s[10:11]
	global_load_dwordx4 v[76:79], v[6:7], off
	global_load_dwordx4 v[80:83], v[102:103], off
	;; [unrolled: 1-line block ×4, first 2 shown]
	global_load_dwordx4 v[92:95], v[100:101], off offset:32
	global_load_dwordx4 v[96:99], v[100:101], off offset:48
	v_cmp_ge_i64_e32 vcc, v[14:15], v[16:17]
	s_or_b64 s[6:7], vcc, s[6:7]
	s_waitcnt vmcnt(5)
	v_pk_fma_f32 v[6:7], v[32:33], v[76:77], v[22:23] op_sel_hi:[1,0,1]
	v_pk_fma_f32 v[20:21], v[34:35], v[76:77], v[20:21] op_sel_hi:[1,0,1]
	v_pk_fma_f32 v[6:7], v[28:29], v[76:77], v[6:7] op_sel:[0,1,0]
	v_pk_fma_f32 v[20:21], v[30:31], v[76:77], v[20:21] op_sel:[0,1,0]
	v_mov_b32_e32 v22, v79
	v_pk_fma_f32 v[6:7], v[24:25], v[78:79], v[6:7] op_sel_hi:[1,0,1]
	v_pk_fma_f32 v[20:21], v[26:27], v[78:79], v[20:21] op_sel_hi:[1,0,1]
	v_pk_fma_f32 v[2:3], v[2:3], v[22:23], v[6:7] op_sel_hi:[1,0,1]
	v_pk_fma_f32 v[4:5], v[4:5], v[22:23], v[20:21] op_sel_hi:[1,0,1]
	s_waitcnt vmcnt(4)
	v_pk_fma_f32 v[2:3], v[44:45], v[80:81], v[2:3] op_sel_hi:[1,0,1]
	v_pk_fma_f32 v[4:5], v[46:47], v[80:81], v[4:5] op_sel_hi:[1,0,1]
	v_pk_fma_f32 v[2:3], v[36:37], v[80:81], v[2:3] op_sel:[0,1,0]
	v_pk_fma_f32 v[4:5], v[38:39], v[80:81], v[4:5] op_sel:[0,1,0]
	v_mov_b32_e32 v32, v83
	v_pk_fma_f32 v[2:3], v[40:41], v[82:83], v[2:3] op_sel_hi:[1,0,1]
	v_pk_fma_f32 v[4:5], v[42:43], v[82:83], v[4:5] op_sel_hi:[1,0,1]
	v_pk_fma_f32 v[2:3], v[60:61], v[32:33], v[2:3] op_sel_hi:[1,0,1]
	v_pk_fma_f32 v[4:5], v[62:63], v[32:33], v[4:5] op_sel_hi:[1,0,1]
	;; [unrolled: 10-line block ×3, first 2 shown]
	s_waitcnt vmcnt(2)
	v_pk_fma_f32 v[2:3], v[68:69], v[88:89], v[2:3] op_sel_hi:[1,0,1]
	v_pk_fma_f32 v[4:5], v[70:71], v[88:89], v[4:5] op_sel_hi:[1,0,1]
	v_pk_fma_f32 v[2:3], v[72:73], v[88:89], v[2:3] op_sel:[0,1,0]
	v_pk_fma_f32 v[4:5], v[74:75], v[88:89], v[4:5] op_sel:[0,1,0]
	v_mov_b32_e32 v100, v91
	s_waitcnt vmcnt(1)
	v_pk_fma_f32 v[2:3], v[92:93], v[90:91], v[2:3] op_sel_hi:[1,0,1]
	v_pk_fma_f32 v[4:5], v[94:95], v[90:91], v[4:5] op_sel_hi:[1,0,1]
	s_waitcnt vmcnt(0)
	v_pk_fma_f32 v[22:23], v[96:97], v[100:101], v[2:3] op_sel_hi:[1,0,1]
	v_pk_fma_f32 v[20:21], v[98:99], v[100:101], v[4:5] op_sel_hi:[1,0,1]
	s_andn2_b64 exec, exec, s[6:7]
	s_cbranch_execnz .LBB44_35
; %bb.36:
	s_or_b64 exec, exec, s[6:7]
.LBB44_37:
	s_or_b64 exec, exec, s[2:3]
.LBB44_38:
	s_or_b64 exec, exec, s[4:5]
.LBB44_39:
	v_mov_b32_dpp v0, v22 row_shr:1 row_mask:0xf bank_mask:0xf
	v_mov_b32_dpp v1, v23 row_shr:1 row_mask:0xf bank_mask:0xf
	v_mov_b32_dpp v4, v20 row_shr:1 row_mask:0xf bank_mask:0xf
	v_mov_b32_dpp v5, v21 row_shr:1 row_mask:0xf bank_mask:0xf
	v_pk_add_f32 v[0:1], v[22:23], v[0:1]
	v_pk_add_f32 v[4:5], v[20:21], v[4:5]
	v_cmp_eq_u32_e32 vcc, 63, v10
	v_mov_b32_dpp v2, v0 row_shr:2 row_mask:0xf bank_mask:0xf
	v_mov_b32_dpp v3, v1 row_shr:2 row_mask:0xf bank_mask:0xf
	v_mov_b32_dpp v6, v4 row_shr:2 row_mask:0xf bank_mask:0xf
	v_mov_b32_dpp v7, v5 row_shr:2 row_mask:0xf bank_mask:0xf
	v_pk_add_f32 v[0:1], v[0:1], v[2:3]
	v_pk_add_f32 v[4:5], v[4:5], v[6:7]
	s_nop 0
	v_mov_b32_dpp v2, v0 row_shr:4 row_mask:0xf bank_mask:0xe
	v_mov_b32_dpp v3, v1 row_shr:4 row_mask:0xf bank_mask:0xe
	v_mov_b32_dpp v6, v4 row_shr:4 row_mask:0xf bank_mask:0xe
	v_mov_b32_dpp v7, v5 row_shr:4 row_mask:0xf bank_mask:0xe
	v_pk_add_f32 v[0:1], v[0:1], v[2:3]
	v_pk_add_f32 v[4:5], v[4:5], v[6:7]
	s_nop 0
	;; [unrolled: 7-line block ×3, first 2 shown]
	v_mov_b32_dpp v2, v0 row_bcast:15 row_mask:0xa bank_mask:0xf
	v_mov_b32_dpp v3, v1 row_bcast:15 row_mask:0xa bank_mask:0xf
	;; [unrolled: 1-line block ×4, first 2 shown]
	v_pk_add_f32 v[0:1], v[0:1], v[2:3]
	v_pk_add_f32 v[6:7], v[4:5], v[6:7]
	s_nop 0
	v_mov_b32_dpp v2, v0 row_bcast:31 row_mask:0xc bank_mask:0xf
	v_mov_b32_dpp v3, v1 row_bcast:31 row_mask:0xc bank_mask:0xf
	;; [unrolled: 1-line block ×4, first 2 shown]
	s_and_b64 exec, exec, vcc
	s_cbranch_execz .LBB44_10
; %bb.40:
	s_load_dwordx2 s[0:1], s[0:1], 0x58
	v_cmp_eq_f32_e64 s[2:3], s20, 0
	v_pk_add_f32 v[4:5], v[0:1], v[2:3]
	v_pk_add_f32 v[2:3], v[6:7], v[12:13]
	s_and_b64 vcc, exec, s[2:3]
	s_waitcnt lgkmcnt(0)
	v_lshl_add_u64 v[0:1], v[8:9], 4, s[0:1]
	s_cbranch_vccz .LBB44_42
; %bb.41:
	v_pk_mul_f32 v[6:7], s[16:17], v[4:5] op_sel_hi:[0,1]
	v_pk_mul_f32 v[8:9], s[16:17], v[2:3] op_sel_hi:[0,1]
	global_store_dwordx4 v[0:1], v[6:9], off
	s_cbranch_execnz .LBB44_10
	s_branch .LBB44_43
.LBB44_42:
.LBB44_43:
	global_load_dwordx4 v[6:9], v[0:1], off
	v_pk_mul_f32 v[4:5], s[16:17], v[4:5] op_sel_hi:[0,1]
	v_pk_mul_f32 v[10:11], s[16:17], v[2:3] op_sel_hi:[0,1]
	s_waitcnt vmcnt(0)
	v_pk_fma_f32 v[2:3], s[20:21], v[6:7], v[4:5] op_sel_hi:[0,1,1]
	v_pk_fma_f32 v[4:5], s[20:21], v[8:9], v[10:11] op_sel_hi:[0,1,1]
	global_store_dwordx4 v[0:1], v[2:5], off
	s_endpgm
	.section	.rodata,"a",@progbits
	.p2align	6, 0x0
	.amdhsa_kernel _ZN9rocsparseL18bsrxmvn_4x4_kernelILj128ELj64EfllfffEEvT3_20rocsparse_direction_NS_24const_host_device_scalarIT1_EES1_PKS1_PKT2_SA_S7_PKT4_PKT5_S5_PT6_21rocsparse_index_base_b
		.amdhsa_group_segment_fixed_size 0
		.amdhsa_private_segment_fixed_size 0
		.amdhsa_kernarg_size 104
		.amdhsa_user_sgpr_count 2
		.amdhsa_user_sgpr_dispatch_ptr 0
		.amdhsa_user_sgpr_queue_ptr 0
		.amdhsa_user_sgpr_kernarg_segment_ptr 1
		.amdhsa_user_sgpr_dispatch_id 0
		.amdhsa_user_sgpr_kernarg_preload_length 0
		.amdhsa_user_sgpr_kernarg_preload_offset 0
		.amdhsa_user_sgpr_private_segment_size 0
		.amdhsa_uses_dynamic_stack 0
		.amdhsa_enable_private_segment 0
		.amdhsa_system_sgpr_workgroup_id_x 1
		.amdhsa_system_sgpr_workgroup_id_y 0
		.amdhsa_system_sgpr_workgroup_id_z 0
		.amdhsa_system_sgpr_workgroup_info 0
		.amdhsa_system_vgpr_workitem_id 0
		.amdhsa_next_free_vgpr 118
		.amdhsa_next_free_sgpr 38
		.amdhsa_accum_offset 120
		.amdhsa_reserve_vcc 1
		.amdhsa_float_round_mode_32 0
		.amdhsa_float_round_mode_16_64 0
		.amdhsa_float_denorm_mode_32 3
		.amdhsa_float_denorm_mode_16_64 3
		.amdhsa_dx10_clamp 1
		.amdhsa_ieee_mode 1
		.amdhsa_fp16_overflow 0
		.amdhsa_tg_split 0
		.amdhsa_exception_fp_ieee_invalid_op 0
		.amdhsa_exception_fp_denorm_src 0
		.amdhsa_exception_fp_ieee_div_zero 0
		.amdhsa_exception_fp_ieee_overflow 0
		.amdhsa_exception_fp_ieee_underflow 0
		.amdhsa_exception_fp_ieee_inexact 0
		.amdhsa_exception_int_div_zero 0
	.end_amdhsa_kernel
	.section	.text._ZN9rocsparseL18bsrxmvn_4x4_kernelILj128ELj64EfllfffEEvT3_20rocsparse_direction_NS_24const_host_device_scalarIT1_EES1_PKS1_PKT2_SA_S7_PKT4_PKT5_S5_PT6_21rocsparse_index_base_b,"axG",@progbits,_ZN9rocsparseL18bsrxmvn_4x4_kernelILj128ELj64EfllfffEEvT3_20rocsparse_direction_NS_24const_host_device_scalarIT1_EES1_PKS1_PKT2_SA_S7_PKT4_PKT5_S5_PT6_21rocsparse_index_base_b,comdat
.Lfunc_end44:
	.size	_ZN9rocsparseL18bsrxmvn_4x4_kernelILj128ELj64EfllfffEEvT3_20rocsparse_direction_NS_24const_host_device_scalarIT1_EES1_PKS1_PKT2_SA_S7_PKT4_PKT5_S5_PT6_21rocsparse_index_base_b, .Lfunc_end44-_ZN9rocsparseL18bsrxmvn_4x4_kernelILj128ELj64EfllfffEEvT3_20rocsparse_direction_NS_24const_host_device_scalarIT1_EES1_PKS1_PKT2_SA_S7_PKT4_PKT5_S5_PT6_21rocsparse_index_base_b
                                        ; -- End function
	.set _ZN9rocsparseL18bsrxmvn_4x4_kernelILj128ELj64EfllfffEEvT3_20rocsparse_direction_NS_24const_host_device_scalarIT1_EES1_PKS1_PKT2_SA_S7_PKT4_PKT5_S5_PT6_21rocsparse_index_base_b.num_vgpr, 118
	.set _ZN9rocsparseL18bsrxmvn_4x4_kernelILj128ELj64EfllfffEEvT3_20rocsparse_direction_NS_24const_host_device_scalarIT1_EES1_PKS1_PKT2_SA_S7_PKT4_PKT5_S5_PT6_21rocsparse_index_base_b.num_agpr, 0
	.set _ZN9rocsparseL18bsrxmvn_4x4_kernelILj128ELj64EfllfffEEvT3_20rocsparse_direction_NS_24const_host_device_scalarIT1_EES1_PKS1_PKT2_SA_S7_PKT4_PKT5_S5_PT6_21rocsparse_index_base_b.numbered_sgpr, 38
	.set _ZN9rocsparseL18bsrxmvn_4x4_kernelILj128ELj64EfllfffEEvT3_20rocsparse_direction_NS_24const_host_device_scalarIT1_EES1_PKS1_PKT2_SA_S7_PKT4_PKT5_S5_PT6_21rocsparse_index_base_b.num_named_barrier, 0
	.set _ZN9rocsparseL18bsrxmvn_4x4_kernelILj128ELj64EfllfffEEvT3_20rocsparse_direction_NS_24const_host_device_scalarIT1_EES1_PKS1_PKT2_SA_S7_PKT4_PKT5_S5_PT6_21rocsparse_index_base_b.private_seg_size, 0
	.set _ZN9rocsparseL18bsrxmvn_4x4_kernelILj128ELj64EfllfffEEvT3_20rocsparse_direction_NS_24const_host_device_scalarIT1_EES1_PKS1_PKT2_SA_S7_PKT4_PKT5_S5_PT6_21rocsparse_index_base_b.uses_vcc, 1
	.set _ZN9rocsparseL18bsrxmvn_4x4_kernelILj128ELj64EfllfffEEvT3_20rocsparse_direction_NS_24const_host_device_scalarIT1_EES1_PKS1_PKT2_SA_S7_PKT4_PKT5_S5_PT6_21rocsparse_index_base_b.uses_flat_scratch, 0
	.set _ZN9rocsparseL18bsrxmvn_4x4_kernelILj128ELj64EfllfffEEvT3_20rocsparse_direction_NS_24const_host_device_scalarIT1_EES1_PKS1_PKT2_SA_S7_PKT4_PKT5_S5_PT6_21rocsparse_index_base_b.has_dyn_sized_stack, 0
	.set _ZN9rocsparseL18bsrxmvn_4x4_kernelILj128ELj64EfllfffEEvT3_20rocsparse_direction_NS_24const_host_device_scalarIT1_EES1_PKS1_PKT2_SA_S7_PKT4_PKT5_S5_PT6_21rocsparse_index_base_b.has_recursion, 0
	.set _ZN9rocsparseL18bsrxmvn_4x4_kernelILj128ELj64EfllfffEEvT3_20rocsparse_direction_NS_24const_host_device_scalarIT1_EES1_PKS1_PKT2_SA_S7_PKT4_PKT5_S5_PT6_21rocsparse_index_base_b.has_indirect_call, 0
	.section	.AMDGPU.csdata,"",@progbits
; Kernel info:
; codeLenInByte = 3592
; TotalNumSgprs: 44
; NumVgprs: 118
; NumAgprs: 0
; TotalNumVgprs: 118
; ScratchSize: 0
; MemoryBound: 1
; FloatMode: 240
; IeeeMode: 1
; LDSByteSize: 0 bytes/workgroup (compile time only)
; SGPRBlocks: 5
; VGPRBlocks: 14
; NumSGPRsForWavesPerEU: 44
; NumVGPRsForWavesPerEU: 118
; AccumOffset: 120
; Occupancy: 4
; WaveLimiterHint : 1
; COMPUTE_PGM_RSRC2:SCRATCH_EN: 0
; COMPUTE_PGM_RSRC2:USER_SGPR: 2
; COMPUTE_PGM_RSRC2:TRAP_HANDLER: 0
; COMPUTE_PGM_RSRC2:TGID_X_EN: 1
; COMPUTE_PGM_RSRC2:TGID_Y_EN: 0
; COMPUTE_PGM_RSRC2:TGID_Z_EN: 0
; COMPUTE_PGM_RSRC2:TIDIG_COMP_CNT: 0
; COMPUTE_PGM_RSRC3_GFX90A:ACCUM_OFFSET: 29
; COMPUTE_PGM_RSRC3_GFX90A:TG_SPLIT: 0
	.section	.text._ZN9rocsparseL18bsrxmvn_4x4_kernelILj128ELj4EdlldddEEvT3_20rocsparse_direction_NS_24const_host_device_scalarIT1_EES1_PKS1_PKT2_SA_S7_PKT4_PKT5_S5_PT6_21rocsparse_index_base_b,"axG",@progbits,_ZN9rocsparseL18bsrxmvn_4x4_kernelILj128ELj4EdlldddEEvT3_20rocsparse_direction_NS_24const_host_device_scalarIT1_EES1_PKS1_PKT2_SA_S7_PKT4_PKT5_S5_PT6_21rocsparse_index_base_b,comdat
	.globl	_ZN9rocsparseL18bsrxmvn_4x4_kernelILj128ELj4EdlldddEEvT3_20rocsparse_direction_NS_24const_host_device_scalarIT1_EES1_PKS1_PKT2_SA_S7_PKT4_PKT5_S5_PT6_21rocsparse_index_base_b ; -- Begin function _ZN9rocsparseL18bsrxmvn_4x4_kernelILj128ELj4EdlldddEEvT3_20rocsparse_direction_NS_24const_host_device_scalarIT1_EES1_PKS1_PKT2_SA_S7_PKT4_PKT5_S5_PT6_21rocsparse_index_base_b
	.p2align	8
	.type	_ZN9rocsparseL18bsrxmvn_4x4_kernelILj128ELj4EdlldddEEvT3_20rocsparse_direction_NS_24const_host_device_scalarIT1_EES1_PKS1_PKT2_SA_S7_PKT4_PKT5_S5_PT6_21rocsparse_index_base_b,@function
_ZN9rocsparseL18bsrxmvn_4x4_kernelILj128ELj4EdlldddEEvT3_20rocsparse_direction_NS_24const_host_device_scalarIT1_EES1_PKS1_PKT2_SA_S7_PKT4_PKT5_S5_PT6_21rocsparse_index_base_b: ; @_ZN9rocsparseL18bsrxmvn_4x4_kernelILj128ELj4EdlldddEEvT3_20rocsparse_direction_NS_24const_host_device_scalarIT1_EES1_PKS1_PKT2_SA_S7_PKT4_PKT5_S5_PT6_21rocsparse_index_base_b
; %bb.0:
	s_load_dwordx2 s[8:9], s[0:1], 0x60
	s_load_dwordx4 s[4:7], s[0:1], 0x10
	s_load_dwordx2 s[10:11], s[0:1], 0x50
	s_waitcnt lgkmcnt(0)
	s_bitcmp1_b32 s9, 0
	s_cselect_b64 s[14:15], -1, 0
	s_xor_b64 s[12:13], s[14:15], -1
	s_and_b64 vcc, exec, s[14:15]
	v_mov_b64_e32 v[42:43], s[4:5]
	s_cbranch_vccnz .LBB45_2
; %bb.1:
	v_mov_b64_e32 v[2:3], s[4:5]
	flat_load_dwordx2 v[42:43], v[2:3]
.LBB45_2:
	s_andn2_b64 vcc, exec, s[12:13]
	v_mov_b64_e32 v[40:41], s[10:11]
	s_cbranch_vccnz .LBB45_4
; %bb.3:
	v_mov_b64_e32 v[2:3], s[10:11]
	flat_load_dwordx2 v[40:41], v[2:3]
.LBB45_4:
	s_waitcnt vmcnt(0) lgkmcnt(0)
	v_cmp_neq_f64_e32 vcc, 0, v[42:43]
	v_cmp_neq_f64_e64 s[4:5], 1.0, v[40:41]
	s_mov_b64 s[10:11], 0
	s_or_b64 s[4:5], vcc, s[4:5]
	s_and_saveexec_b64 s[12:13], s[4:5]
	s_cbranch_execz .LBB45_10
; %bb.5:
	s_load_dwordx2 s[4:5], s[0:1], 0x20
	v_lshrrev_b32_e32 v1, 2, v0
	v_lshl_or_b32 v2, s2, 5, v1
	v_mov_b32_e32 v3, 0
	s_mov_b64 s[2:3], 0
	s_waitcnt lgkmcnt(0)
	s_cmp_lg_u64 s[4:5], 0
	s_cbranch_scc0 .LBB45_11
; %bb.6:
	v_cmp_gt_i64_e32 vcc, s[6:7], v[2:3]
                                        ; implicit-def: $vgpr44_vgpr45
                                        ; implicit-def: $vgpr46_vgpr47
	s_and_saveexec_b64 s[6:7], vcc
	s_xor_b64 s[6:7], exec, s[6:7]
	s_cbranch_execz .LBB45_8
; %bb.7:
	v_lshl_add_u64 v[4:5], v[2:3], 3, s[4:5]
	global_load_dwordx2 v[4:5], v[4:5], off
	s_mov_b32 s9, 0
	s_mov_b64 s[2:3], exec
	v_mov_b64_e32 v[46:47], s[8:9]
	s_waitcnt vmcnt(0)
	v_subrev_co_u32_e32 v44, vcc, s8, v4
	s_nop 1
	v_subbrev_co_u32_e32 v45, vcc, 0, v5, vcc
.LBB45_8:
	s_or_b64 exec, exec, s[6:7]
	s_mov_b64 s[10:11], s[2:3]
.LBB45_9:
	s_and_b64 exec, exec, s[10:11]
	s_cbranch_execnz .LBB45_15
.LBB45_10:
	s_endpgm
.LBB45_11:
                                        ; implicit-def: $vgpr44_vgpr45
                                        ; implicit-def: $vgpr46_vgpr47
	s_cbranch_execz .LBB45_9
; %bb.12:
	s_load_dwordx2 s[2:3], s[0:1], 0x0
	s_waitcnt lgkmcnt(0)
	v_cmp_gt_i64_e32 vcc, s[2:3], v[2:3]
	s_and_saveexec_b64 s[2:3], vcc
; %bb.13:
	s_mov_b32 s9, 0
	s_or_b64 s[10:11], s[10:11], exec
; %bb.14:
	s_or_b64 exec, exec, s[2:3]
	v_mov_b64_e32 v[46:47], s[8:9]
	v_mov_b64_e32 v[44:45], v[2:3]
	s_and_b64 exec, exec, s[10:11]
	s_cbranch_execz .LBB45_10
.LBB45_15:
	s_load_dwordx8 s[4:11], s[0:1], 0x28
	v_lshlrev_b64 v[2:3], 3, v[44:45]
	v_and_b32_e32 v48, 3, v0
	v_mov_b32_e32 v49, 0
	s_waitcnt lgkmcnt(0)
	v_lshl_add_u64 v[4:5], s[4:5], 0, v[2:3]
	s_cmp_eq_u64 s[6:7], 0
	v_lshl_add_u64 v[2:3], s[6:7], 0, v[2:3]
	global_load_dwordx2 v[64:65], v[4:5], off
	v_lshl_add_u64 v[4:5], v[4:5], 0, 8
	s_cselect_b64 vcc, -1, 0
	v_cndmask_b32_e32 v3, v3, v5, vcc
	v_cndmask_b32_e32 v2, v2, v4, vcc
	global_load_dwordx2 v[2:3], v[2:3], off
	s_load_dword s2, s[0:1], 0x8
	s_load_dwordx2 s[4:5], s[0:1], 0x48
	s_waitcnt lgkmcnt(0)
	s_cmp_eq_u32 s2, 1
	s_waitcnt vmcnt(1)
	v_sub_co_u32_e32 v0, vcc, v64, v46
	s_nop 1
	v_subb_co_u32_e32 v1, vcc, v65, v47, vcc
	v_lshl_add_u64 v[50:51], v[0:1], 0, v[48:49]
	s_waitcnt vmcnt(0)
	v_sub_co_u32_e32 v52, vcc, v2, v46
	v_lshlrev_b64 v[0:1], 7, v[50:51]
	s_nop 0
	v_subb_co_u32_e32 v53, vcc, v3, v47, vcc
	v_lshl_add_u64 v[54:55], s[10:11], 0, v[0:1]
	v_cmp_lt_i64_e64 s[2:3], v[50:51], v[52:53]
	s_cbranch_scc1 .LBB45_27
; %bb.16:
	v_mov_b64_e32 v[56:57], 0
	v_mov_b64_e32 v[58:59], 0
	;; [unrolled: 1-line block ×4, first 2 shown]
	s_and_saveexec_b64 s[6:7], s[2:3]
	s_cbranch_execz .LBB45_26
; %bb.17:
	v_or_b32_e32 v0, 4, v48
	v_sub_co_u32_e32 v0, vcc, v0, v46
	v_not_b32_e32 v3, v65
	s_nop 0
	v_subb_co_u32_e32 v1, vcc, 0, v47, vcc
	v_lshl_add_u64 v[0:1], v[0:1], 0, v[64:65]
	v_cmp_gt_i64_e32 vcc, v[0:1], v[52:53]
	v_not_b32_e32 v2, v64
	v_mov_b64_e32 v[62:63], 0
	v_cndmask_b32_e32 v1, v53, v1, vcc
	v_cndmask_b32_e32 v0, v52, v0, vcc
	v_sub_co_u32_e32 v4, vcc, v46, v48
	v_mov_b64_e32 v[60:61], 0
	s_nop 0
	v_subbrev_co_u32_e32 v5, vcc, 0, v47, vcc
	v_lshl_add_u64 v[2:3], v[4:5], 0, v[2:3]
	v_lshl_add_u64 v[0:1], v[2:3], 0, v[0:1]
	v_and_b32_e32 v2, 12, v0
	v_mov_b32_e32 v3, 0
	v_cmp_ne_u64_e32 vcc, 12, v[2:3]
	v_mov_b64_e32 v[58:59], 0
	v_mov_b64_e32 v[56:57], 0
	;; [unrolled: 1-line block ×4, first 2 shown]
	s_and_saveexec_b64 s[10:11], vcc
	s_cbranch_execz .LBB45_21
; %bb.18:
	v_lshrrev_b32_e32 v2, 2, v0
	v_add_u32_e32 v2, 1, v2
	v_and_b32_e32 v4, 3, v2
	v_sub_co_u32_e32 v4, vcc, 0, v4
	v_lshl_add_u64 v[2:3], v[50:51], 3, s[8:9]
	s_nop 0
	v_subb_co_u32_e64 v5, s[14:15], 0, 0, vcc
	s_mov_b64 s[12:13], 0
	v_mov_b64_e32 v[56:57], 0
	s_mov_b64 s[14:15], 0x200
	v_mov_b64_e32 v[68:69], v[54:55]
	v_mov_b64_e32 v[66:67], v[50:51]
	;; [unrolled: 1-line block ×5, first 2 shown]
.LBB45_19:                              ; =>This Inner Loop Header: Depth=1
	global_load_dwordx2 v[38:39], v[2:3], off
	global_load_dwordx4 v[6:9], v[68:69], off offset:48
	global_load_dwordx4 v[10:13], v[68:69], off offset:32
	;; [unrolled: 1-line block ×3, first 2 shown]
	global_load_dwordx4 v[18:21], v[68:69], off
	global_load_dwordx4 v[22:25], v[68:69], off offset:112
	global_load_dwordx4 v[26:29], v[68:69], off offset:96
	;; [unrolled: 1-line block ×4, first 2 shown]
	v_lshl_add_u64 v[4:5], v[4:5], 0, 1
	v_lshl_add_u64 v[68:69], v[68:69], 0, s[14:15]
	v_lshl_add_u64 v[66:67], v[66:67], 0, 4
	v_lshl_add_u64 v[2:3], v[2:3], 0, 32
	s_waitcnt vmcnt(8)
	v_sub_co_u32_e32 v38, vcc, v38, v46
	s_nop 1
	v_subb_co_u32_e32 v39, vcc, v39, v47, vcc
	v_lshlrev_b64 v[38:39], 5, v[38:39]
	v_lshl_add_u64 v[38:39], s[4:5], 0, v[38:39]
	global_load_dwordx4 v[70:73], v[38:39], off
	global_load_dwordx4 v[74:77], v[38:39], off offset:16
	v_cmp_eq_u64_e32 vcc, 0, v[4:5]
	s_or_b64 s[12:13], vcc, s[12:13]
	s_waitcnt vmcnt(1)
	v_fmac_f64_e32 v[62:63], v[18:19], v[70:71]
	v_fmac_f64_e32 v[60:61], v[10:11], v[70:71]
	;; [unrolled: 1-line block ×8, first 2 shown]
	s_waitcnt vmcnt(0)
	v_fmac_f64_e32 v[62:63], v[14:15], v[74:75]
	v_fmac_f64_e32 v[60:61], v[6:7], v[74:75]
	;; [unrolled: 1-line block ×8, first 2 shown]
	s_andn2_b64 exec, exec, s[12:13]
	s_cbranch_execnz .LBB45_19
; %bb.20:
	s_or_b64 exec, exec, s[12:13]
.LBB45_21:
	s_or_b64 exec, exec, s[10:11]
	v_cmp_lt_u64_e32 vcc, 11, v[0:1]
	s_and_saveexec_b64 s[10:11], vcc
	s_cbranch_execz .LBB45_25
; %bb.22:
	v_lshl_add_u64 v[0:1], v[66:67], 3, s[8:9]
	v_lshl_add_u64 v[70:71], v[0:1], 0, 64
	s_mov_b64 s[12:13], 0
	s_mov_b64 s[14:15], 0x800
	;; [unrolled: 1-line block ×3, first 2 shown]
.LBB45_23:                              ; =>This Inner Loop Header: Depth=1
	global_load_dwordx2 v[92:93], v[70:71], off offset:-64
	global_load_dwordx4 v[4:7], v[68:69], off offset:48
	global_load_dwordx4 v[24:27], v[68:69], off offset:32
	;; [unrolled: 1-line block ×3, first 2 shown]
	global_load_dwordx4 v[72:75], v[68:69], off
	global_load_dwordx4 v[28:31], v[68:69], off offset:112
	global_load_dwordx4 v[76:79], v[68:69], off offset:96
	;; [unrolled: 1-line block ×11, first 2 shown]
	v_lshl_add_u64 v[66:67], v[66:67], 0, 16
	s_waitcnt vmcnt(15)
	v_sub_co_u32_e32 v92, vcc, v92, v46
	s_nop 1
	v_subb_co_u32_e32 v93, vcc, v93, v47, vcc
	v_lshlrev_b64 v[92:93], 5, v[92:93]
	v_lshl_add_u64 v[96:97], s[4:5], 0, v[92:93]
	global_load_dwordx4 v[92:95], v[96:97], off
	global_load_dwordx2 v[98:99], v[70:71], off offset:-32
	global_load_dwordx2 v[100:101], v[70:71], off
	global_load_dwordx2 v[102:103], v[70:71], off offset:32
	v_lshl_add_u64 v[70:71], v[70:71], 0, s[16:17]
	s_waitcnt vmcnt(3)
	v_fmac_f64_e32 v[62:63], v[72:73], v[92:93]
	v_fmac_f64_e32 v[60:61], v[24:25], v[92:93]
	;; [unrolled: 1-line block ×7, first 2 shown]
	global_load_dwordx4 v[72:75], v[68:69], off offset:576
	v_fmac_f64_e32 v[56:57], v[78:79], v[94:95]
	global_load_dwordx4 v[24:27], v[68:69], off offset:1072
	global_load_dwordx4 v[76:79], v[68:69], off offset:1056
	;; [unrolled: 1-line block ×4, first 2 shown]
	s_waitcnt vmcnt(1)
	v_fmac_f64_e32 v[58:59], v[32:33], v[80:81]
	v_sub_co_u32_e32 v32, vcc, v98, v46
	v_fmac_f64_e32 v[58:59], v[34:35], v[82:83]
	s_nop 0
	v_subb_co_u32_e32 v33, vcc, v99, v47, vcc
	v_lshlrev_b64 v[32:33], 5, v[32:33]
	v_lshl_add_u64 v[96:97], s[4:5], 0, v[32:33]
	global_load_dwordx4 v[32:35], v[96:97], off
	v_fmac_f64_e32 v[62:63], v[12:13], v[80:81]
	v_fmac_f64_e32 v[60:61], v[4:5], v[80:81]
	;; [unrolled: 1-line block ×6, first 2 shown]
	global_load_dwordx4 v[12:15], v[68:69], off offset:1040
	global_load_dwordx4 v[4:7], v[68:69], off offset:1136
	;; [unrolled: 1-line block ×4, first 2 shown]
	s_waitcnt vmcnt(4)
	v_fmac_f64_e32 v[62:63], v[84:85], v[32:33]
	v_fmac_f64_e32 v[60:61], v[36:37], v[32:33]
	;; [unrolled: 1-line block ×6, first 2 shown]
	global_load_dwordx4 v[36:39], v[68:69], off offset:1088
	v_fmac_f64_e32 v[58:59], v[74:75], v[34:35]
	global_load_dwordx4 v[72:75], v[68:69], off offset:1584
	v_fmac_f64_e32 v[56:57], v[90:91], v[34:35]
	global_load_dwordx4 v[32:35], v[68:69], off offset:1568
	global_load_dwordx4 v[84:87], v[96:97], off offset:16
	;; [unrolled: 1-line block ×3, first 2 shown]
	s_waitcnt vmcnt(1)
	v_fmac_f64_e32 v[62:63], v[20:21], v[84:85]
	v_fmac_f64_e32 v[60:61], v[16:17], v[84:85]
	;; [unrolled: 1-line block ×4, first 2 shown]
	v_sub_co_u32_e32 v84, vcc, v100, v46
	v_fmac_f64_e32 v[62:63], v[22:23], v[86:87]
	s_nop 0
	v_subb_co_u32_e32 v85, vcc, v101, v47, vcc
	v_lshlrev_b64 v[84:85], 5, v[84:85]
	v_lshl_add_u64 v[96:97], s[4:5], 0, v[84:85]
	v_fmac_f64_e32 v[60:61], v[18:19], v[86:87]
	v_fmac_f64_e32 v[58:59], v[10:11], v[86:87]
	;; [unrolled: 1-line block ×3, first 2 shown]
	global_load_dwordx4 v[84:87], v[96:97], off
	global_load_dwordx4 v[20:23], v[68:69], off offset:1552
	global_load_dwordx4 v[16:19], v[68:69], off offset:1536
	global_load_dwordx4 v[8:11], v[68:69], off offset:1648
	global_load_dwordx4 v[0:3], v[68:69], off offset:1632
	s_waitcnt vmcnt(4)
	v_fmac_f64_e32 v[62:63], v[92:93], v[84:85]
	v_sub_co_u32_e32 v92, vcc, v102, v46
	v_fmac_f64_e32 v[62:63], v[94:95], v[86:87]
	s_nop 0
	v_subb_co_u32_e32 v93, vcc, v103, v47, vcc
	v_lshlrev_b64 v[92:93], 5, v[92:93]
	v_lshl_add_u64 v[98:99], s[4:5], 0, v[92:93]
	global_load_dwordx4 v[92:95], v[96:97], off offset:16
	v_fmac_f64_e32 v[60:61], v[76:77], v[84:85]
	v_fmac_f64_e32 v[58:59], v[36:37], v[84:85]
	;; [unrolled: 1-line block ×3, first 2 shown]
	global_load_dwordx4 v[76:79], v[68:69], off offset:1600
	v_fmac_f64_e32 v[58:59], v[38:39], v[86:87]
	global_load_dwordx4 v[36:39], v[98:99], off
	v_fmac_f64_e32 v[56:57], v[28:29], v[84:85]
	v_fmac_f64_e32 v[56:57], v[30:31], v[86:87]
	global_load_dwordx4 v[28:31], v[98:99], off offset:16
	v_cmp_ge_i64_e32 vcc, v[66:67], v[52:53]
	v_lshl_add_u64 v[68:69], v[68:69], 0, s[14:15]
	s_or_b64 s[12:13], vcc, s[12:13]
	s_waitcnt vmcnt(3)
	v_fmac_f64_e32 v[62:63], v[12:13], v[92:93]
	v_fmac_f64_e32 v[60:61], v[24:25], v[92:93]
	v_fmac_f64_e32 v[58:59], v[80:81], v[92:93]
	v_fmac_f64_e32 v[56:57], v[4:5], v[92:93]
	v_fmac_f64_e32 v[62:63], v[14:15], v[94:95]
	v_fmac_f64_e32 v[60:61], v[26:27], v[94:95]
	v_fmac_f64_e32 v[58:59], v[82:83], v[94:95]
	v_fmac_f64_e32 v[56:57], v[6:7], v[94:95]
	s_waitcnt vmcnt(1)
	v_fmac_f64_e32 v[62:63], v[16:17], v[36:37]
	v_fmac_f64_e32 v[60:61], v[32:33], v[36:37]
	v_fmac_f64_e32 v[58:59], v[76:77], v[36:37]
	v_fmac_f64_e32 v[56:57], v[0:1], v[36:37]
	v_fmac_f64_e32 v[62:63], v[18:19], v[38:39]
	v_fmac_f64_e32 v[60:61], v[34:35], v[38:39]
	v_fmac_f64_e32 v[58:59], v[78:79], v[38:39]
	v_fmac_f64_e32 v[56:57], v[2:3], v[38:39]
	s_waitcnt vmcnt(0)
	v_fmac_f64_e32 v[62:63], v[20:21], v[28:29]
	v_fmac_f64_e32 v[60:61], v[72:73], v[28:29]
	v_fmac_f64_e32 v[58:59], v[88:89], v[28:29]
	v_fmac_f64_e32 v[56:57], v[8:9], v[28:29]
	v_fmac_f64_e32 v[62:63], v[22:23], v[30:31]
	v_fmac_f64_e32 v[60:61], v[74:75], v[30:31]
	v_fmac_f64_e32 v[58:59], v[90:91], v[30:31]
	v_fmac_f64_e32 v[56:57], v[10:11], v[30:31]
	s_andn2_b64 exec, exec, s[12:13]
	s_cbranch_execnz .LBB45_23
; %bb.24:
	s_or_b64 exec, exec, s[12:13]
.LBB45_25:
	s_or_b64 exec, exec, s[10:11]
.LBB45_26:
	s_or_b64 exec, exec, s[6:7]
	s_cbranch_execz .LBB45_28
	s_branch .LBB45_39
.LBB45_27:
                                        ; implicit-def: $vgpr56_vgpr57
                                        ; implicit-def: $vgpr58_vgpr59
                                        ; implicit-def: $vgpr60_vgpr61
                                        ; implicit-def: $vgpr62_vgpr63
.LBB45_28:
	v_mov_b64_e32 v[56:57], 0
	v_mov_b64_e32 v[58:59], 0
	;; [unrolled: 1-line block ×4, first 2 shown]
	s_and_saveexec_b64 s[6:7], s[2:3]
	s_cbranch_execz .LBB45_38
; %bb.29:
	v_or_b32_e32 v0, 4, v48
	v_sub_co_u32_e32 v0, vcc, v0, v46
	v_not_b32_e32 v3, v65
	s_nop 0
	v_subb_co_u32_e32 v1, vcc, 0, v47, vcc
	v_lshl_add_u64 v[0:1], v[0:1], 0, v[64:65]
	v_cmp_gt_i64_e32 vcc, v[0:1], v[52:53]
	v_not_b32_e32 v2, v64
	v_mov_b64_e32 v[62:63], 0
	v_cndmask_b32_e32 v1, v53, v1, vcc
	v_cndmask_b32_e32 v0, v52, v0, vcc
	v_sub_co_u32_e32 v4, vcc, v46, v48
	v_mov_b64_e32 v[60:61], 0
	s_nop 0
	v_subbrev_co_u32_e32 v5, vcc, 0, v47, vcc
	v_lshl_add_u64 v[2:3], v[4:5], 0, v[2:3]
	v_lshl_add_u64 v[0:1], v[2:3], 0, v[0:1]
	v_and_b32_e32 v2, 12, v0
	v_mov_b32_e32 v3, 0
	v_cmp_ne_u64_e32 vcc, 12, v[2:3]
	v_mov_b64_e32 v[58:59], 0
	v_mov_b64_e32 v[56:57], 0
	s_and_saveexec_b64 s[2:3], vcc
	s_cbranch_execz .LBB45_33
; %bb.30:
	v_lshrrev_b32_e32 v2, 2, v0
	v_add_u32_e32 v2, 1, v2
	v_and_b32_e32 v4, 3, v2
	v_sub_co_u32_e32 v4, vcc, 0, v4
	v_lshl_add_u64 v[2:3], v[50:51], 3, s[8:9]
	s_nop 0
	v_subb_co_u32_e64 v5, s[12:13], 0, 0, vcc
	s_mov_b64 s[10:11], 0
	v_mov_b64_e32 v[56:57], 0
	s_mov_b64 s[12:13], 0x200
	v_mov_b64_e32 v[58:59], 0
	v_mov_b64_e32 v[60:61], 0
	;; [unrolled: 1-line block ×3, first 2 shown]
.LBB45_31:                              ; =>This Inner Loop Header: Depth=1
	global_load_dwordx2 v[30:31], v[2:3], off
	global_load_dwordx4 v[6:9], v[54:55], off offset:48
	global_load_dwordx4 v[10:13], v[54:55], off offset:32
	;; [unrolled: 1-line block ×3, first 2 shown]
	global_load_dwordx4 v[18:21], v[54:55], off
	global_load_dwordx4 v[22:25], v[54:55], off offset:80
	global_load_dwordx4 v[26:29], v[54:55], off offset:64
	v_lshl_add_u64 v[4:5], v[4:5], 0, 1
	v_lshl_add_u64 v[50:51], v[50:51], 0, 4
	;; [unrolled: 1-line block ×3, first 2 shown]
	s_waitcnt vmcnt(6)
	v_sub_co_u32_e32 v30, vcc, v30, v46
	s_nop 1
	v_subb_co_u32_e32 v31, vcc, v31, v47, vcc
	v_lshlrev_b64 v[30:31], 5, v[30:31]
	v_lshl_add_u64 v[38:39], s[4:5], 0, v[30:31]
	global_load_dwordx4 v[30:33], v[38:39], off
	global_load_dwordx4 v[34:37], v[38:39], off offset:16
	global_load_dwordx4 v[64:67], v[54:55], off offset:96
	;; [unrolled: 1-line block ×3, first 2 shown]
	v_cmp_eq_u64_e32 vcc, 0, v[4:5]
	v_lshl_add_u64 v[54:55], v[54:55], 0, s[12:13]
	s_or_b64 s[10:11], vcc, s[10:11]
	s_waitcnt vmcnt(3)
	v_fmac_f64_e32 v[62:63], v[18:19], v[30:31]
	v_fmac_f64_e32 v[60:61], v[20:21], v[30:31]
	;; [unrolled: 1-line block ×8, first 2 shown]
	s_waitcnt vmcnt(2)
	v_fmac_f64_e32 v[62:63], v[26:27], v[34:35]
	v_fmac_f64_e32 v[60:61], v[28:29], v[34:35]
	;; [unrolled: 1-line block ×4, first 2 shown]
	s_waitcnt vmcnt(1)
	v_fmac_f64_e32 v[62:63], v[64:65], v[36:37]
	v_fmac_f64_e32 v[60:61], v[66:67], v[36:37]
	s_waitcnt vmcnt(0)
	v_fmac_f64_e32 v[58:59], v[68:69], v[36:37]
	v_fmac_f64_e32 v[56:57], v[70:71], v[36:37]
	s_andn2_b64 exec, exec, s[10:11]
	s_cbranch_execnz .LBB45_31
; %bb.32:
	s_or_b64 exec, exec, s[10:11]
.LBB45_33:
	s_or_b64 exec, exec, s[2:3]
	v_cmp_lt_u64_e32 vcc, 11, v[0:1]
	s_and_saveexec_b64 s[2:3], vcc
	s_cbranch_execz .LBB45_37
; %bb.34:
	v_lshl_add_u64 v[0:1], v[50:51], 3, s[8:9]
	v_lshl_add_u64 v[32:33], v[0:1], 0, 64
	s_mov_b64 s[8:9], 0
	s_mov_b64 s[10:11], 0x800
	;; [unrolled: 1-line block ×3, first 2 shown]
.LBB45_35:                              ; =>This Inner Loop Header: Depth=1
	global_load_dwordx2 v[34:35], v[32:33], off offset:-64
	global_load_dwordx4 v[0:3], v[54:55], off offset:48
	global_load_dwordx4 v[4:7], v[54:55], off offset:32
	;; [unrolled: 1-line block ×3, first 2 shown]
	global_load_dwordx4 v[12:15], v[54:55], off
	global_load_dwordx4 v[16:19], v[54:55], off offset:112
	global_load_dwordx4 v[20:23], v[54:55], off offset:96
	global_load_dwordx4 v[28:31], v[54:55], off offset:80
	global_load_dwordx4 v[36:39], v[54:55], off offset:64
	global_load_dwordx4 v[24:27], v[54:55], off offset:560
	global_load_dwordx4 v[64:67], v[54:55], off offset:544
	global_load_dwordx4 v[68:71], v[54:55], off offset:528
	global_load_dwordx2 v[80:81], v[32:33], off offset:-32
	global_load_dwordx2 v[82:83], v[32:33], off
	global_load_dwordx2 v[84:85], v[32:33], off offset:32
	v_lshl_add_u64 v[50:51], v[50:51], 0, 16
	v_lshl_add_u64 v[32:33], v[32:33], 0, s[12:13]
	s_waitcnt vmcnt(14)
	v_sub_co_u32_e32 v34, vcc, v34, v46
	s_nop 1
	v_subb_co_u32_e32 v35, vcc, v35, v47, vcc
	v_lshlrev_b64 v[34:35], 5, v[34:35]
	v_lshl_add_u64 v[34:35], s[4:5], 0, v[34:35]
	global_load_dwordx4 v[72:75], v[34:35], off
	s_waitcnt vmcnt(0)
	v_fmac_f64_e32 v[62:63], v[12:13], v[72:73]
	v_fmac_f64_e32 v[60:61], v[14:15], v[72:73]
	v_fmac_f64_e32 v[58:59], v[8:9], v[72:73]
	v_fmac_f64_e32 v[56:57], v[10:11], v[72:73]
	global_load_dwordx4 v[12:15], v[54:55], off offset:512
	global_load_dwordx4 v[8:11], v[54:55], off offset:624
	v_fmac_f64_e32 v[62:63], v[4:5], v[74:75]
	v_fmac_f64_e32 v[60:61], v[6:7], v[74:75]
	global_load_dwordx4 v[4:7], v[54:55], off offset:608
	v_fmac_f64_e32 v[58:59], v[0:1], v[74:75]
	v_fmac_f64_e32 v[56:57], v[2:3], v[74:75]
	global_load_dwordx4 v[0:3], v[54:55], off offset:592
	global_load_dwordx4 v[72:75], v[54:55], off offset:576
	;; [unrolled: 1-line block ×3, first 2 shown]
	s_waitcnt vmcnt(0)
	v_fmac_f64_e32 v[60:61], v[38:39], v[76:77]
	v_sub_co_u32_e32 v38, vcc, v80, v46
	v_fmac_f64_e32 v[62:63], v[36:37], v[76:77]
	s_nop 0
	v_subb_co_u32_e32 v39, vcc, v81, v47, vcc
	v_lshlrev_b64 v[38:39], 5, v[38:39]
	v_fmac_f64_e32 v[58:59], v[28:29], v[76:77]
	v_fmac_f64_e32 v[56:57], v[30:31], v[76:77]
	v_lshl_add_u64 v[38:39], s[4:5], 0, v[38:39]
	v_fmac_f64_e32 v[62:63], v[20:21], v[78:79]
	v_fmac_f64_e32 v[60:61], v[22:23], v[78:79]
	;; [unrolled: 1-line block ×4, first 2 shown]
	global_load_dwordx4 v[76:79], v[38:39], off
	global_load_dwordx4 v[34:37], v[54:55], off offset:1072
	global_load_dwordx4 v[28:31], v[54:55], off offset:1056
	;; [unrolled: 1-line block ×4, first 2 shown]
	s_waitcnt vmcnt(4)
	v_fmac_f64_e32 v[62:63], v[12:13], v[76:77]
	v_fmac_f64_e32 v[60:61], v[14:15], v[76:77]
	;; [unrolled: 1-line block ×4, first 2 shown]
	global_load_dwordx4 v[12:15], v[54:55], off offset:1136
	global_load_dwordx4 v[68:71], v[54:55], off offset:1120
	v_fmac_f64_e32 v[62:63], v[64:65], v[78:79]
	v_fmac_f64_e32 v[60:61], v[66:67], v[78:79]
	global_load_dwordx4 v[64:67], v[54:55], off offset:1104
	v_fmac_f64_e32 v[58:59], v[24:25], v[78:79]
	v_fmac_f64_e32 v[56:57], v[26:27], v[78:79]
	global_load_dwordx4 v[24:27], v[54:55], off offset:1088
	global_load_dwordx4 v[76:79], v[38:39], off offset:16
	v_sub_co_u32_e32 v38, vcc, v82, v46
	s_waitcnt vmcnt(0)
	v_fmac_f64_e32 v[62:63], v[72:73], v[76:77]
	v_subb_co_u32_e32 v39, vcc, v83, v47, vcc
	v_lshlrev_b64 v[38:39], 5, v[38:39]
	v_fmac_f64_e32 v[60:61], v[74:75], v[76:77]
	v_fmac_f64_e32 v[58:59], v[0:1], v[76:77]
	;; [unrolled: 1-line block ×3, first 2 shown]
	v_lshl_add_u64 v[38:39], s[4:5], 0, v[38:39]
	v_fmac_f64_e32 v[62:63], v[4:5], v[78:79]
	v_fmac_f64_e32 v[60:61], v[6:7], v[78:79]
	;; [unrolled: 1-line block ×4, first 2 shown]
	global_load_dwordx4 v[76:79], v[38:39], off
	global_load_dwordx4 v[80:83], v[38:39], off offset:16
	global_load_dwordx4 v[4:7], v[54:55], off offset:1552
	;; [unrolled: 1-line block ×5, first 2 shown]
	s_waitcnt vmcnt(5)
	v_fmac_f64_e32 v[62:63], v[16:17], v[76:77]
	v_fmac_f64_e32 v[60:61], v[18:19], v[76:77]
	;; [unrolled: 1-line block ×4, first 2 shown]
	v_sub_co_u32_e32 v76, vcc, v84, v46
	global_load_dwordx4 v[16:19], v[54:55], off offset:1632
	s_nop 0
	v_subb_co_u32_e32 v77, vcc, v85, v47, vcc
	v_lshlrev_b64 v[76:77], 5, v[76:77]
	v_lshl_add_u64 v[84:85], s[4:5], 0, v[76:77]
	global_load_dwordx4 v[20:23], v[54:55], off offset:1616
	v_fmac_f64_e32 v[62:63], v[28:29], v[78:79]
	v_fmac_f64_e32 v[60:61], v[30:31], v[78:79]
	global_load_dwordx4 v[28:31], v[54:55], off offset:1600
	v_fmac_f64_e32 v[58:59], v[34:35], v[78:79]
	v_fmac_f64_e32 v[56:57], v[36:37], v[78:79]
	global_load_dwordx4 v[34:37], v[84:85], off
	global_load_dwordx4 v[76:79], v[84:85], off offset:16
	s_waitcnt vmcnt(9)
	v_fmac_f64_e32 v[62:63], v[24:25], v[80:81]
	v_fmac_f64_e32 v[60:61], v[26:27], v[80:81]
	global_load_dwordx4 v[24:27], v[54:55], off offset:1648
	v_fmac_f64_e32 v[58:59], v[64:65], v[80:81]
	v_fmac_f64_e32 v[56:57], v[66:67], v[80:81]
	;; [unrolled: 1-line block ×6, first 2 shown]
	v_cmp_ge_i64_e32 vcc, v[50:51], v[52:53]
	v_lshl_add_u64 v[54:55], v[54:55], 0, s[10:11]
	s_or_b64 s[8:9], vcc, s[8:9]
	s_waitcnt vmcnt(2)
	v_fmac_f64_e32 v[62:63], v[8:9], v[34:35]
	v_fmac_f64_e32 v[60:61], v[10:11], v[34:35]
	v_fmac_f64_e32 v[58:59], v[4:5], v[34:35]
	v_fmac_f64_e32 v[56:57], v[6:7], v[34:35]
	v_fmac_f64_e32 v[62:63], v[0:1], v[36:37]
	v_fmac_f64_e32 v[60:61], v[2:3], v[36:37]
	v_fmac_f64_e32 v[58:59], v[72:73], v[36:37]
	v_fmac_f64_e32 v[56:57], v[74:75], v[36:37]
	s_waitcnt vmcnt(1)
	v_fmac_f64_e32 v[62:63], v[28:29], v[76:77]
	v_fmac_f64_e32 v[60:61], v[30:31], v[76:77]
	;; [unrolled: 1-line block ×6, first 2 shown]
	s_waitcnt vmcnt(0)
	v_fmac_f64_e32 v[58:59], v[24:25], v[78:79]
	v_fmac_f64_e32 v[56:57], v[26:27], v[78:79]
	s_andn2_b64 exec, exec, s[8:9]
	s_cbranch_execnz .LBB45_35
; %bb.36:
	s_or_b64 exec, exec, s[8:9]
.LBB45_37:
	s_or_b64 exec, exec, s[2:3]
.LBB45_38:
	s_or_b64 exec, exec, s[6:7]
.LBB45_39:
	v_mov_b32_dpp v0, v62 row_shr:1 row_mask:0xf bank_mask:0xf
	v_mov_b32_dpp v1, v63 row_shr:1 row_mask:0xf bank_mask:0xf
	;; [unrolled: 1-line block ×8, first 2 shown]
	v_add_f64 v[0:1], v[62:63], v[0:1]
	v_add_f64 v[4:5], v[60:61], v[4:5]
	v_add_f64 v[8:9], v[58:59], v[8:9]
	v_add_f64 v[12:13], v[56:57], v[12:13]
	v_mov_b32_dpp v2, v0 row_shr:2 row_mask:0xf bank_mask:0xf
	v_mov_b32_dpp v3, v1 row_shr:2 row_mask:0xf bank_mask:0xf
	v_mov_b32_dpp v6, v4 row_shr:2 row_mask:0xf bank_mask:0xf
	v_mov_b32_dpp v7, v5 row_shr:2 row_mask:0xf bank_mask:0xf
	v_mov_b32_dpp v10, v8 row_shr:2 row_mask:0xf bank_mask:0xf
	v_mov_b32_dpp v11, v9 row_shr:2 row_mask:0xf bank_mask:0xf
	v_mov_b32_dpp v14, v12 row_shr:2 row_mask:0xf bank_mask:0xf
	v_mov_b32_dpp v15, v13 row_shr:2 row_mask:0xf bank_mask:0xf
	v_cmp_eq_u32_e32 vcc, 3, v48
	s_and_b64 exec, exec, vcc
	s_cbranch_execz .LBB45_10
; %bb.40:
	s_load_dwordx2 s[0:1], s[0:1], 0x58
	v_add_f64 v[0:1], v[0:1], v[2:3]
	v_add_f64 v[2:3], v[4:5], v[6:7]
	;; [unrolled: 1-line block ×4, first 2 shown]
	v_cmp_eq_f64_e32 vcc, 0, v[40:41]
	v_mul_f64 v[4:5], v[42:43], v[0:1]
	v_mul_f64 v[6:7], v[42:43], v[2:3]
	;; [unrolled: 1-line block ×4, first 2 shown]
	v_lshlrev_b64 v[8:9], 5, v[44:45]
	s_and_saveexec_b64 s[2:3], vcc
	s_xor_b64 s[2:3], exec, s[2:3]
	s_cbranch_execz .LBB45_42
; %bb.41:
	s_waitcnt lgkmcnt(0)
	v_lshl_add_u64 v[8:9], s[0:1], 0, v[8:9]
	global_store_dwordx4 v[8:9], v[4:7], off
	global_store_dwordx4 v[8:9], v[0:3], off offset:16
                                        ; implicit-def: $vgpr8_vgpr9
                                        ; implicit-def: $vgpr40_vgpr41
                                        ; implicit-def: $vgpr4_vgpr5
                                        ; implicit-def: $vgpr0_vgpr1
.LBB45_42:
	s_andn2_saveexec_b64 s[2:3], s[2:3]
	s_cbranch_execz .LBB45_10
; %bb.43:
	s_waitcnt lgkmcnt(0)
	v_lshl_add_u64 v[16:17], s[0:1], 0, v[8:9]
	global_load_dwordx4 v[8:11], v[16:17], off
	global_load_dwordx4 v[12:15], v[16:17], off offset:16
	s_waitcnt vmcnt(1)
	v_fmac_f64_e32 v[4:5], v[40:41], v[8:9]
	v_fmac_f64_e32 v[6:7], v[40:41], v[10:11]
	s_waitcnt vmcnt(0)
	v_fmac_f64_e32 v[0:1], v[40:41], v[12:13]
	v_fmac_f64_e32 v[2:3], v[40:41], v[14:15]
	global_store_dwordx4 v[16:17], v[4:7], off
	global_store_dwordx4 v[16:17], v[0:3], off offset:16
	s_endpgm
	.section	.rodata,"a",@progbits
	.p2align	6, 0x0
	.amdhsa_kernel _ZN9rocsparseL18bsrxmvn_4x4_kernelILj128ELj4EdlldddEEvT3_20rocsparse_direction_NS_24const_host_device_scalarIT1_EES1_PKS1_PKT2_SA_S7_PKT4_PKT5_S5_PT6_21rocsparse_index_base_b
		.amdhsa_group_segment_fixed_size 0
		.amdhsa_private_segment_fixed_size 0
		.amdhsa_kernarg_size 104
		.amdhsa_user_sgpr_count 2
		.amdhsa_user_sgpr_dispatch_ptr 0
		.amdhsa_user_sgpr_queue_ptr 0
		.amdhsa_user_sgpr_kernarg_segment_ptr 1
		.amdhsa_user_sgpr_dispatch_id 0
		.amdhsa_user_sgpr_kernarg_preload_length 0
		.amdhsa_user_sgpr_kernarg_preload_offset 0
		.amdhsa_user_sgpr_private_segment_size 0
		.amdhsa_uses_dynamic_stack 0
		.amdhsa_enable_private_segment 0
		.amdhsa_system_sgpr_workgroup_id_x 1
		.amdhsa_system_sgpr_workgroup_id_y 0
		.amdhsa_system_sgpr_workgroup_id_z 0
		.amdhsa_system_sgpr_workgroup_info 0
		.amdhsa_system_vgpr_workitem_id 0
		.amdhsa_next_free_vgpr 104
		.amdhsa_next_free_sgpr 18
		.amdhsa_accum_offset 104
		.amdhsa_reserve_vcc 1
		.amdhsa_float_round_mode_32 0
		.amdhsa_float_round_mode_16_64 0
		.amdhsa_float_denorm_mode_32 3
		.amdhsa_float_denorm_mode_16_64 3
		.amdhsa_dx10_clamp 1
		.amdhsa_ieee_mode 1
		.amdhsa_fp16_overflow 0
		.amdhsa_tg_split 0
		.amdhsa_exception_fp_ieee_invalid_op 0
		.amdhsa_exception_fp_denorm_src 0
		.amdhsa_exception_fp_ieee_div_zero 0
		.amdhsa_exception_fp_ieee_overflow 0
		.amdhsa_exception_fp_ieee_underflow 0
		.amdhsa_exception_fp_ieee_inexact 0
		.amdhsa_exception_int_div_zero 0
	.end_amdhsa_kernel
	.section	.text._ZN9rocsparseL18bsrxmvn_4x4_kernelILj128ELj4EdlldddEEvT3_20rocsparse_direction_NS_24const_host_device_scalarIT1_EES1_PKS1_PKT2_SA_S7_PKT4_PKT5_S5_PT6_21rocsparse_index_base_b,"axG",@progbits,_ZN9rocsparseL18bsrxmvn_4x4_kernelILj128ELj4EdlldddEEvT3_20rocsparse_direction_NS_24const_host_device_scalarIT1_EES1_PKS1_PKT2_SA_S7_PKT4_PKT5_S5_PT6_21rocsparse_index_base_b,comdat
.Lfunc_end45:
	.size	_ZN9rocsparseL18bsrxmvn_4x4_kernelILj128ELj4EdlldddEEvT3_20rocsparse_direction_NS_24const_host_device_scalarIT1_EES1_PKS1_PKT2_SA_S7_PKT4_PKT5_S5_PT6_21rocsparse_index_base_b, .Lfunc_end45-_ZN9rocsparseL18bsrxmvn_4x4_kernelILj128ELj4EdlldddEEvT3_20rocsparse_direction_NS_24const_host_device_scalarIT1_EES1_PKS1_PKT2_SA_S7_PKT4_PKT5_S5_PT6_21rocsparse_index_base_b
                                        ; -- End function
	.set _ZN9rocsparseL18bsrxmvn_4x4_kernelILj128ELj4EdlldddEEvT3_20rocsparse_direction_NS_24const_host_device_scalarIT1_EES1_PKS1_PKT2_SA_S7_PKT4_PKT5_S5_PT6_21rocsparse_index_base_b.num_vgpr, 104
	.set _ZN9rocsparseL18bsrxmvn_4x4_kernelILj128ELj4EdlldddEEvT3_20rocsparse_direction_NS_24const_host_device_scalarIT1_EES1_PKS1_PKT2_SA_S7_PKT4_PKT5_S5_PT6_21rocsparse_index_base_b.num_agpr, 0
	.set _ZN9rocsparseL18bsrxmvn_4x4_kernelILj128ELj4EdlldddEEvT3_20rocsparse_direction_NS_24const_host_device_scalarIT1_EES1_PKS1_PKT2_SA_S7_PKT4_PKT5_S5_PT6_21rocsparse_index_base_b.numbered_sgpr, 18
	.set _ZN9rocsparseL18bsrxmvn_4x4_kernelILj128ELj4EdlldddEEvT3_20rocsparse_direction_NS_24const_host_device_scalarIT1_EES1_PKS1_PKT2_SA_S7_PKT4_PKT5_S5_PT6_21rocsparse_index_base_b.num_named_barrier, 0
	.set _ZN9rocsparseL18bsrxmvn_4x4_kernelILj128ELj4EdlldddEEvT3_20rocsparse_direction_NS_24const_host_device_scalarIT1_EES1_PKS1_PKT2_SA_S7_PKT4_PKT5_S5_PT6_21rocsparse_index_base_b.private_seg_size, 0
	.set _ZN9rocsparseL18bsrxmvn_4x4_kernelILj128ELj4EdlldddEEvT3_20rocsparse_direction_NS_24const_host_device_scalarIT1_EES1_PKS1_PKT2_SA_S7_PKT4_PKT5_S5_PT6_21rocsparse_index_base_b.uses_vcc, 1
	.set _ZN9rocsparseL18bsrxmvn_4x4_kernelILj128ELj4EdlldddEEvT3_20rocsparse_direction_NS_24const_host_device_scalarIT1_EES1_PKS1_PKT2_SA_S7_PKT4_PKT5_S5_PT6_21rocsparse_index_base_b.uses_flat_scratch, 0
	.set _ZN9rocsparseL18bsrxmvn_4x4_kernelILj128ELj4EdlldddEEvT3_20rocsparse_direction_NS_24const_host_device_scalarIT1_EES1_PKS1_PKT2_SA_S7_PKT4_PKT5_S5_PT6_21rocsparse_index_base_b.has_dyn_sized_stack, 0
	.set _ZN9rocsparseL18bsrxmvn_4x4_kernelILj128ELj4EdlldddEEvT3_20rocsparse_direction_NS_24const_host_device_scalarIT1_EES1_PKS1_PKT2_SA_S7_PKT4_PKT5_S5_PT6_21rocsparse_index_base_b.has_recursion, 0
	.set _ZN9rocsparseL18bsrxmvn_4x4_kernelILj128ELj4EdlldddEEvT3_20rocsparse_direction_NS_24const_host_device_scalarIT1_EES1_PKS1_PKT2_SA_S7_PKT4_PKT5_S5_PT6_21rocsparse_index_base_b.has_indirect_call, 0
	.section	.AMDGPU.csdata,"",@progbits
; Kernel info:
; codeLenInByte = 3476
; TotalNumSgprs: 24
; NumVgprs: 104
; NumAgprs: 0
; TotalNumVgprs: 104
; ScratchSize: 0
; MemoryBound: 1
; FloatMode: 240
; IeeeMode: 1
; LDSByteSize: 0 bytes/workgroup (compile time only)
; SGPRBlocks: 2
; VGPRBlocks: 12
; NumSGPRsForWavesPerEU: 24
; NumVGPRsForWavesPerEU: 104
; AccumOffset: 104
; Occupancy: 4
; WaveLimiterHint : 1
; COMPUTE_PGM_RSRC2:SCRATCH_EN: 0
; COMPUTE_PGM_RSRC2:USER_SGPR: 2
; COMPUTE_PGM_RSRC2:TRAP_HANDLER: 0
; COMPUTE_PGM_RSRC2:TGID_X_EN: 1
; COMPUTE_PGM_RSRC2:TGID_Y_EN: 0
; COMPUTE_PGM_RSRC2:TGID_Z_EN: 0
; COMPUTE_PGM_RSRC2:TIDIG_COMP_CNT: 0
; COMPUTE_PGM_RSRC3_GFX90A:ACCUM_OFFSET: 25
; COMPUTE_PGM_RSRC3_GFX90A:TG_SPLIT: 0
	.section	.text._ZN9rocsparseL18bsrxmvn_4x4_kernelILj128ELj8EdlldddEEvT3_20rocsparse_direction_NS_24const_host_device_scalarIT1_EES1_PKS1_PKT2_SA_S7_PKT4_PKT5_S5_PT6_21rocsparse_index_base_b,"axG",@progbits,_ZN9rocsparseL18bsrxmvn_4x4_kernelILj128ELj8EdlldddEEvT3_20rocsparse_direction_NS_24const_host_device_scalarIT1_EES1_PKS1_PKT2_SA_S7_PKT4_PKT5_S5_PT6_21rocsparse_index_base_b,comdat
	.globl	_ZN9rocsparseL18bsrxmvn_4x4_kernelILj128ELj8EdlldddEEvT3_20rocsparse_direction_NS_24const_host_device_scalarIT1_EES1_PKS1_PKT2_SA_S7_PKT4_PKT5_S5_PT6_21rocsparse_index_base_b ; -- Begin function _ZN9rocsparseL18bsrxmvn_4x4_kernelILj128ELj8EdlldddEEvT3_20rocsparse_direction_NS_24const_host_device_scalarIT1_EES1_PKS1_PKT2_SA_S7_PKT4_PKT5_S5_PT6_21rocsparse_index_base_b
	.p2align	8
	.type	_ZN9rocsparseL18bsrxmvn_4x4_kernelILj128ELj8EdlldddEEvT3_20rocsparse_direction_NS_24const_host_device_scalarIT1_EES1_PKS1_PKT2_SA_S7_PKT4_PKT5_S5_PT6_21rocsparse_index_base_b,@function
_ZN9rocsparseL18bsrxmvn_4x4_kernelILj128ELj8EdlldddEEvT3_20rocsparse_direction_NS_24const_host_device_scalarIT1_EES1_PKS1_PKT2_SA_S7_PKT4_PKT5_S5_PT6_21rocsparse_index_base_b: ; @_ZN9rocsparseL18bsrxmvn_4x4_kernelILj128ELj8EdlldddEEvT3_20rocsparse_direction_NS_24const_host_device_scalarIT1_EES1_PKS1_PKT2_SA_S7_PKT4_PKT5_S5_PT6_21rocsparse_index_base_b
; %bb.0:
	s_load_dwordx2 s[8:9], s[0:1], 0x60
	s_load_dwordx4 s[4:7], s[0:1], 0x10
	s_load_dwordx2 s[10:11], s[0:1], 0x50
	s_waitcnt lgkmcnt(0)
	s_bitcmp1_b32 s9, 0
	s_cselect_b64 s[14:15], -1, 0
	s_xor_b64 s[12:13], s[14:15], -1
	s_and_b64 vcc, exec, s[14:15]
	v_mov_b64_e32 v[42:43], s[4:5]
	s_cbranch_vccnz .LBB46_2
; %bb.1:
	v_mov_b64_e32 v[2:3], s[4:5]
	flat_load_dwordx2 v[42:43], v[2:3]
.LBB46_2:
	s_andn2_b64 vcc, exec, s[12:13]
	v_mov_b64_e32 v[40:41], s[10:11]
	s_cbranch_vccnz .LBB46_4
; %bb.3:
	v_mov_b64_e32 v[2:3], s[10:11]
	flat_load_dwordx2 v[40:41], v[2:3]
.LBB46_4:
	s_waitcnt vmcnt(0) lgkmcnt(0)
	v_cmp_neq_f64_e32 vcc, 0, v[42:43]
	v_cmp_neq_f64_e64 s[4:5], 1.0, v[40:41]
	s_mov_b64 s[10:11], 0
	s_or_b64 s[4:5], vcc, s[4:5]
	s_and_saveexec_b64 s[12:13], s[4:5]
	s_cbranch_execz .LBB46_10
; %bb.5:
	s_load_dwordx2 s[4:5], s[0:1], 0x20
	v_lshrrev_b32_e32 v1, 3, v0
	v_lshl_or_b32 v2, s2, 4, v1
	v_mov_b32_e32 v3, 0
	s_mov_b64 s[2:3], 0
	s_waitcnt lgkmcnt(0)
	s_cmp_lg_u64 s[4:5], 0
	s_cbranch_scc0 .LBB46_11
; %bb.6:
	v_cmp_gt_i64_e32 vcc, s[6:7], v[2:3]
                                        ; implicit-def: $vgpr44_vgpr45
                                        ; implicit-def: $vgpr46_vgpr47
	s_and_saveexec_b64 s[6:7], vcc
	s_xor_b64 s[6:7], exec, s[6:7]
	s_cbranch_execz .LBB46_8
; %bb.7:
	v_lshl_add_u64 v[4:5], v[2:3], 3, s[4:5]
	global_load_dwordx2 v[4:5], v[4:5], off
	s_mov_b32 s9, 0
	s_mov_b64 s[2:3], exec
	v_mov_b64_e32 v[46:47], s[8:9]
	s_waitcnt vmcnt(0)
	v_subrev_co_u32_e32 v44, vcc, s8, v4
	s_nop 1
	v_subbrev_co_u32_e32 v45, vcc, 0, v5, vcc
.LBB46_8:
	s_or_b64 exec, exec, s[6:7]
	s_mov_b64 s[10:11], s[2:3]
.LBB46_9:
	s_and_b64 exec, exec, s[10:11]
	s_cbranch_execnz .LBB46_15
.LBB46_10:
	s_endpgm
.LBB46_11:
                                        ; implicit-def: $vgpr44_vgpr45
                                        ; implicit-def: $vgpr46_vgpr47
	s_cbranch_execz .LBB46_9
; %bb.12:
	s_load_dwordx2 s[2:3], s[0:1], 0x0
	s_waitcnt lgkmcnt(0)
	v_cmp_gt_i64_e32 vcc, s[2:3], v[2:3]
	s_and_saveexec_b64 s[2:3], vcc
; %bb.13:
	s_mov_b32 s9, 0
	s_or_b64 s[10:11], s[10:11], exec
; %bb.14:
	s_or_b64 exec, exec, s[2:3]
	v_mov_b64_e32 v[46:47], s[8:9]
	v_mov_b64_e32 v[44:45], v[2:3]
	s_and_b64 exec, exec, s[10:11]
	s_cbranch_execz .LBB46_10
.LBB46_15:
	s_load_dwordx8 s[4:11], s[0:1], 0x28
	v_lshlrev_b64 v[2:3], 3, v[44:45]
	v_and_b32_e32 v48, 7, v0
	v_mov_b32_e32 v49, 0
	s_waitcnt lgkmcnt(0)
	v_lshl_add_u64 v[4:5], s[4:5], 0, v[2:3]
	s_cmp_eq_u64 s[6:7], 0
	v_lshl_add_u64 v[2:3], s[6:7], 0, v[2:3]
	global_load_dwordx2 v[64:65], v[4:5], off
	v_lshl_add_u64 v[4:5], v[4:5], 0, 8
	s_cselect_b64 vcc, -1, 0
	v_cndmask_b32_e32 v3, v3, v5, vcc
	v_cndmask_b32_e32 v2, v2, v4, vcc
	global_load_dwordx2 v[2:3], v[2:3], off
	s_load_dword s2, s[0:1], 0x8
	s_load_dwordx2 s[4:5], s[0:1], 0x48
	s_waitcnt lgkmcnt(0)
	s_cmp_eq_u32 s2, 1
	s_waitcnt vmcnt(1)
	v_sub_co_u32_e32 v0, vcc, v64, v46
	s_nop 1
	v_subb_co_u32_e32 v1, vcc, v65, v47, vcc
	v_lshl_add_u64 v[50:51], v[0:1], 0, v[48:49]
	s_waitcnt vmcnt(0)
	v_sub_co_u32_e32 v52, vcc, v2, v46
	v_lshlrev_b64 v[0:1], 7, v[50:51]
	s_nop 0
	v_subb_co_u32_e32 v53, vcc, v3, v47, vcc
	v_lshl_add_u64 v[54:55], s[10:11], 0, v[0:1]
	v_cmp_lt_i64_e64 s[2:3], v[50:51], v[52:53]
	s_cbranch_scc1 .LBB46_27
; %bb.16:
	v_mov_b64_e32 v[56:57], 0
	v_mov_b64_e32 v[58:59], 0
	;; [unrolled: 1-line block ×4, first 2 shown]
	s_and_saveexec_b64 s[6:7], s[2:3]
	s_cbranch_execz .LBB46_26
; %bb.17:
	v_or_b32_e32 v0, 8, v48
	v_sub_co_u32_e32 v0, vcc, v0, v46
	v_not_b32_e32 v3, v65
	s_nop 0
	v_subb_co_u32_e32 v1, vcc, 0, v47, vcc
	v_lshl_add_u64 v[0:1], v[0:1], 0, v[64:65]
	v_cmp_gt_i64_e32 vcc, v[0:1], v[52:53]
	v_not_b32_e32 v2, v64
	v_mov_b64_e32 v[62:63], 0
	v_cndmask_b32_e32 v1, v53, v1, vcc
	v_cndmask_b32_e32 v0, v52, v0, vcc
	v_sub_co_u32_e32 v4, vcc, v46, v48
	v_mov_b64_e32 v[60:61], 0
	s_nop 0
	v_subbrev_co_u32_e32 v5, vcc, 0, v47, vcc
	v_lshl_add_u64 v[2:3], v[4:5], 0, v[2:3]
	v_lshl_add_u64 v[0:1], v[2:3], 0, v[0:1]
	v_and_b32_e32 v2, 24, v0
	v_mov_b32_e32 v3, 0
	v_cmp_ne_u64_e32 vcc, 24, v[2:3]
	v_mov_b64_e32 v[58:59], 0
	v_mov_b64_e32 v[56:57], 0
	v_mov_b64_e32 v[66:67], v[50:51]
	v_mov_b64_e32 v[68:69], v[54:55]
	s_and_saveexec_b64 s[10:11], vcc
	s_cbranch_execz .LBB46_21
; %bb.18:
	v_lshrrev_b32_e32 v2, 3, v0
	v_add_u32_e32 v2, 1, v2
	v_and_b32_e32 v4, 3, v2
	v_sub_co_u32_e32 v4, vcc, 0, v4
	v_lshl_add_u64 v[2:3], v[50:51], 3, s[8:9]
	s_nop 0
	v_subb_co_u32_e64 v5, s[14:15], 0, 0, vcc
	s_mov_b64 s[12:13], 0
	v_mov_b64_e32 v[56:57], 0
	s_mov_b64 s[14:15], 0x400
	v_mov_b64_e32 v[68:69], v[54:55]
	v_mov_b64_e32 v[66:67], v[50:51]
	;; [unrolled: 1-line block ×5, first 2 shown]
.LBB46_19:                              ; =>This Inner Loop Header: Depth=1
	global_load_dwordx2 v[38:39], v[2:3], off
	global_load_dwordx4 v[6:9], v[68:69], off offset:48
	global_load_dwordx4 v[10:13], v[68:69], off offset:32
	;; [unrolled: 1-line block ×3, first 2 shown]
	global_load_dwordx4 v[18:21], v[68:69], off
	global_load_dwordx4 v[22:25], v[68:69], off offset:112
	global_load_dwordx4 v[26:29], v[68:69], off offset:96
	;; [unrolled: 1-line block ×4, first 2 shown]
	v_lshl_add_u64 v[4:5], v[4:5], 0, 1
	v_lshl_add_u64 v[68:69], v[68:69], 0, s[14:15]
	;; [unrolled: 1-line block ×4, first 2 shown]
	s_waitcnt vmcnt(8)
	v_sub_co_u32_e32 v38, vcc, v38, v46
	s_nop 1
	v_subb_co_u32_e32 v39, vcc, v39, v47, vcc
	v_lshlrev_b64 v[38:39], 5, v[38:39]
	v_lshl_add_u64 v[38:39], s[4:5], 0, v[38:39]
	global_load_dwordx4 v[70:73], v[38:39], off
	global_load_dwordx4 v[74:77], v[38:39], off offset:16
	v_cmp_eq_u64_e32 vcc, 0, v[4:5]
	s_or_b64 s[12:13], vcc, s[12:13]
	s_waitcnt vmcnt(1)
	v_fmac_f64_e32 v[62:63], v[18:19], v[70:71]
	v_fmac_f64_e32 v[60:61], v[10:11], v[70:71]
	;; [unrolled: 1-line block ×8, first 2 shown]
	s_waitcnt vmcnt(0)
	v_fmac_f64_e32 v[62:63], v[14:15], v[74:75]
	v_fmac_f64_e32 v[60:61], v[6:7], v[74:75]
	;; [unrolled: 1-line block ×8, first 2 shown]
	s_andn2_b64 exec, exec, s[12:13]
	s_cbranch_execnz .LBB46_19
; %bb.20:
	s_or_b64 exec, exec, s[12:13]
.LBB46_21:
	s_or_b64 exec, exec, s[10:11]
	v_cmp_lt_u64_e32 vcc, 23, v[0:1]
	s_and_saveexec_b64 s[10:11], vcc
	s_cbranch_execz .LBB46_25
; %bb.22:
	v_lshl_add_u64 v[0:1], v[66:67], 3, s[8:9]
	s_mov_b64 s[12:13], 0x80
	v_lshl_add_u64 v[70:71], v[0:1], 0, s[12:13]
	s_mov_b64 s[12:13], 0
	s_mov_b64 s[14:15], 0x1000
	s_mov_b64 s[16:17], 0x100
.LBB46_23:                              ; =>This Inner Loop Header: Depth=1
	global_load_dwordx2 v[92:93], v[70:71], off offset:-128
	global_load_dwordx4 v[4:7], v[68:69], off offset:48
	global_load_dwordx4 v[24:27], v[68:69], off offset:32
	;; [unrolled: 1-line block ×3, first 2 shown]
	global_load_dwordx4 v[72:75], v[68:69], off
	global_load_dwordx4 v[28:31], v[68:69], off offset:112
	global_load_dwordx4 v[76:79], v[68:69], off offset:96
	;; [unrolled: 1-line block ×11, first 2 shown]
	v_lshl_add_u64 v[66:67], v[66:67], 0, 32
	s_waitcnt vmcnt(15)
	v_sub_co_u32_e32 v92, vcc, v92, v46
	s_nop 1
	v_subb_co_u32_e32 v93, vcc, v93, v47, vcc
	v_lshlrev_b64 v[92:93], 5, v[92:93]
	v_lshl_add_u64 v[96:97], s[4:5], 0, v[92:93]
	global_load_dwordx4 v[92:95], v[96:97], off
	global_load_dwordx2 v[98:99], v[70:71], off offset:-64
	global_load_dwordx2 v[100:101], v[70:71], off
	global_load_dwordx2 v[102:103], v[70:71], off offset:64
	v_lshl_add_u64 v[70:71], v[70:71], 0, s[16:17]
	s_waitcnt vmcnt(3)
	v_fmac_f64_e32 v[62:63], v[72:73], v[92:93]
	v_fmac_f64_e32 v[60:61], v[24:25], v[92:93]
	;; [unrolled: 1-line block ×7, first 2 shown]
	global_load_dwordx4 v[72:75], v[68:69], off offset:1088
	v_fmac_f64_e32 v[56:57], v[78:79], v[94:95]
	global_load_dwordx4 v[24:27], v[68:69], off offset:2096
	global_load_dwordx4 v[76:79], v[68:69], off offset:2080
	;; [unrolled: 1-line block ×4, first 2 shown]
	s_waitcnt vmcnt(1)
	v_fmac_f64_e32 v[58:59], v[32:33], v[80:81]
	v_sub_co_u32_e32 v32, vcc, v98, v46
	v_fmac_f64_e32 v[58:59], v[34:35], v[82:83]
	s_nop 0
	v_subb_co_u32_e32 v33, vcc, v99, v47, vcc
	v_lshlrev_b64 v[32:33], 5, v[32:33]
	v_lshl_add_u64 v[96:97], s[4:5], 0, v[32:33]
	global_load_dwordx4 v[32:35], v[96:97], off
	v_fmac_f64_e32 v[62:63], v[12:13], v[80:81]
	v_fmac_f64_e32 v[60:61], v[4:5], v[80:81]
	;; [unrolled: 1-line block ×6, first 2 shown]
	global_load_dwordx4 v[12:15], v[68:69], off offset:2064
	global_load_dwordx4 v[4:7], v[68:69], off offset:2160
	;; [unrolled: 1-line block ×4, first 2 shown]
	s_waitcnt vmcnt(4)
	v_fmac_f64_e32 v[62:63], v[84:85], v[32:33]
	v_fmac_f64_e32 v[60:61], v[36:37], v[32:33]
	;; [unrolled: 1-line block ×6, first 2 shown]
	global_load_dwordx4 v[36:39], v[68:69], off offset:2112
	v_fmac_f64_e32 v[58:59], v[74:75], v[34:35]
	global_load_dwordx4 v[72:75], v[68:69], off offset:3120
	v_fmac_f64_e32 v[56:57], v[90:91], v[34:35]
	global_load_dwordx4 v[32:35], v[68:69], off offset:3104
	global_load_dwordx4 v[84:87], v[96:97], off offset:16
	;; [unrolled: 1-line block ×3, first 2 shown]
	s_waitcnt vmcnt(1)
	v_fmac_f64_e32 v[62:63], v[20:21], v[84:85]
	v_fmac_f64_e32 v[60:61], v[16:17], v[84:85]
	;; [unrolled: 1-line block ×4, first 2 shown]
	v_sub_co_u32_e32 v84, vcc, v100, v46
	v_fmac_f64_e32 v[62:63], v[22:23], v[86:87]
	s_nop 0
	v_subb_co_u32_e32 v85, vcc, v101, v47, vcc
	v_lshlrev_b64 v[84:85], 5, v[84:85]
	v_lshl_add_u64 v[96:97], s[4:5], 0, v[84:85]
	v_fmac_f64_e32 v[60:61], v[18:19], v[86:87]
	v_fmac_f64_e32 v[58:59], v[10:11], v[86:87]
	;; [unrolled: 1-line block ×3, first 2 shown]
	global_load_dwordx4 v[84:87], v[96:97], off
	global_load_dwordx4 v[20:23], v[68:69], off offset:3088
	global_load_dwordx4 v[16:19], v[68:69], off offset:3072
	;; [unrolled: 1-line block ×4, first 2 shown]
	s_waitcnt vmcnt(4)
	v_fmac_f64_e32 v[62:63], v[92:93], v[84:85]
	v_sub_co_u32_e32 v92, vcc, v102, v46
	v_fmac_f64_e32 v[62:63], v[94:95], v[86:87]
	s_nop 0
	v_subb_co_u32_e32 v93, vcc, v103, v47, vcc
	v_lshlrev_b64 v[92:93], 5, v[92:93]
	v_lshl_add_u64 v[98:99], s[4:5], 0, v[92:93]
	global_load_dwordx4 v[92:95], v[96:97], off offset:16
	v_fmac_f64_e32 v[60:61], v[76:77], v[84:85]
	v_fmac_f64_e32 v[58:59], v[36:37], v[84:85]
	;; [unrolled: 1-line block ×3, first 2 shown]
	global_load_dwordx4 v[76:79], v[68:69], off offset:3136
	v_fmac_f64_e32 v[58:59], v[38:39], v[86:87]
	global_load_dwordx4 v[36:39], v[98:99], off
	v_fmac_f64_e32 v[56:57], v[28:29], v[84:85]
	v_fmac_f64_e32 v[56:57], v[30:31], v[86:87]
	global_load_dwordx4 v[28:31], v[98:99], off offset:16
	v_cmp_ge_i64_e32 vcc, v[66:67], v[52:53]
	v_lshl_add_u64 v[68:69], v[68:69], 0, s[14:15]
	s_or_b64 s[12:13], vcc, s[12:13]
	s_waitcnt vmcnt(3)
	v_fmac_f64_e32 v[62:63], v[12:13], v[92:93]
	v_fmac_f64_e32 v[60:61], v[24:25], v[92:93]
	v_fmac_f64_e32 v[58:59], v[80:81], v[92:93]
	v_fmac_f64_e32 v[56:57], v[4:5], v[92:93]
	v_fmac_f64_e32 v[62:63], v[14:15], v[94:95]
	v_fmac_f64_e32 v[60:61], v[26:27], v[94:95]
	v_fmac_f64_e32 v[58:59], v[82:83], v[94:95]
	v_fmac_f64_e32 v[56:57], v[6:7], v[94:95]
	s_waitcnt vmcnt(1)
	v_fmac_f64_e32 v[62:63], v[16:17], v[36:37]
	v_fmac_f64_e32 v[60:61], v[32:33], v[36:37]
	v_fmac_f64_e32 v[58:59], v[76:77], v[36:37]
	v_fmac_f64_e32 v[56:57], v[0:1], v[36:37]
	v_fmac_f64_e32 v[62:63], v[18:19], v[38:39]
	v_fmac_f64_e32 v[60:61], v[34:35], v[38:39]
	v_fmac_f64_e32 v[58:59], v[78:79], v[38:39]
	v_fmac_f64_e32 v[56:57], v[2:3], v[38:39]
	s_waitcnt vmcnt(0)
	v_fmac_f64_e32 v[62:63], v[20:21], v[28:29]
	v_fmac_f64_e32 v[60:61], v[72:73], v[28:29]
	v_fmac_f64_e32 v[58:59], v[88:89], v[28:29]
	v_fmac_f64_e32 v[56:57], v[8:9], v[28:29]
	v_fmac_f64_e32 v[62:63], v[22:23], v[30:31]
	v_fmac_f64_e32 v[60:61], v[74:75], v[30:31]
	v_fmac_f64_e32 v[58:59], v[90:91], v[30:31]
	v_fmac_f64_e32 v[56:57], v[10:11], v[30:31]
	s_andn2_b64 exec, exec, s[12:13]
	s_cbranch_execnz .LBB46_23
; %bb.24:
	s_or_b64 exec, exec, s[12:13]
.LBB46_25:
	s_or_b64 exec, exec, s[10:11]
.LBB46_26:
	s_or_b64 exec, exec, s[6:7]
	s_cbranch_execz .LBB46_28
	s_branch .LBB46_39
.LBB46_27:
                                        ; implicit-def: $vgpr56_vgpr57
                                        ; implicit-def: $vgpr58_vgpr59
                                        ; implicit-def: $vgpr60_vgpr61
                                        ; implicit-def: $vgpr62_vgpr63
.LBB46_28:
	v_mov_b64_e32 v[56:57], 0
	v_mov_b64_e32 v[58:59], 0
	;; [unrolled: 1-line block ×4, first 2 shown]
	s_and_saveexec_b64 s[6:7], s[2:3]
	s_cbranch_execz .LBB46_38
; %bb.29:
	v_or_b32_e32 v0, 8, v48
	v_sub_co_u32_e32 v0, vcc, v0, v46
	v_not_b32_e32 v3, v65
	s_nop 0
	v_subb_co_u32_e32 v1, vcc, 0, v47, vcc
	v_lshl_add_u64 v[0:1], v[0:1], 0, v[64:65]
	v_cmp_gt_i64_e32 vcc, v[0:1], v[52:53]
	v_not_b32_e32 v2, v64
	v_mov_b64_e32 v[62:63], 0
	v_cndmask_b32_e32 v1, v53, v1, vcc
	v_cndmask_b32_e32 v0, v52, v0, vcc
	v_sub_co_u32_e32 v4, vcc, v46, v48
	v_mov_b64_e32 v[60:61], 0
	s_nop 0
	v_subbrev_co_u32_e32 v5, vcc, 0, v47, vcc
	v_lshl_add_u64 v[2:3], v[4:5], 0, v[2:3]
	v_lshl_add_u64 v[0:1], v[2:3], 0, v[0:1]
	v_and_b32_e32 v2, 24, v0
	v_mov_b32_e32 v3, 0
	v_cmp_ne_u64_e32 vcc, 24, v[2:3]
	v_mov_b64_e32 v[58:59], 0
	v_mov_b64_e32 v[56:57], 0
	s_and_saveexec_b64 s[2:3], vcc
	s_cbranch_execz .LBB46_33
; %bb.30:
	v_lshrrev_b32_e32 v2, 3, v0
	v_add_u32_e32 v2, 1, v2
	v_and_b32_e32 v4, 3, v2
	v_sub_co_u32_e32 v4, vcc, 0, v4
	v_lshl_add_u64 v[2:3], v[50:51], 3, s[8:9]
	s_nop 0
	v_subb_co_u32_e64 v5, s[12:13], 0, 0, vcc
	s_mov_b64 s[10:11], 0
	v_mov_b64_e32 v[56:57], 0
	s_mov_b64 s[12:13], 0x400
	v_mov_b64_e32 v[58:59], 0
	v_mov_b64_e32 v[60:61], 0
	;; [unrolled: 1-line block ×3, first 2 shown]
.LBB46_31:                              ; =>This Inner Loop Header: Depth=1
	global_load_dwordx2 v[30:31], v[2:3], off
	global_load_dwordx4 v[6:9], v[54:55], off offset:48
	global_load_dwordx4 v[10:13], v[54:55], off offset:32
	;; [unrolled: 1-line block ×3, first 2 shown]
	global_load_dwordx4 v[18:21], v[54:55], off
	global_load_dwordx4 v[22:25], v[54:55], off offset:80
	global_load_dwordx4 v[26:29], v[54:55], off offset:64
	v_lshl_add_u64 v[4:5], v[4:5], 0, 1
	v_lshl_add_u64 v[50:51], v[50:51], 0, 8
	;; [unrolled: 1-line block ×3, first 2 shown]
	s_waitcnt vmcnt(6)
	v_sub_co_u32_e32 v30, vcc, v30, v46
	s_nop 1
	v_subb_co_u32_e32 v31, vcc, v31, v47, vcc
	v_lshlrev_b64 v[30:31], 5, v[30:31]
	v_lshl_add_u64 v[38:39], s[4:5], 0, v[30:31]
	global_load_dwordx4 v[30:33], v[38:39], off
	global_load_dwordx4 v[34:37], v[38:39], off offset:16
	global_load_dwordx4 v[64:67], v[54:55], off offset:96
	;; [unrolled: 1-line block ×3, first 2 shown]
	v_cmp_eq_u64_e32 vcc, 0, v[4:5]
	v_lshl_add_u64 v[54:55], v[54:55], 0, s[12:13]
	s_or_b64 s[10:11], vcc, s[10:11]
	s_waitcnt vmcnt(3)
	v_fmac_f64_e32 v[62:63], v[18:19], v[30:31]
	v_fmac_f64_e32 v[60:61], v[20:21], v[30:31]
	;; [unrolled: 1-line block ×8, first 2 shown]
	s_waitcnt vmcnt(2)
	v_fmac_f64_e32 v[62:63], v[26:27], v[34:35]
	v_fmac_f64_e32 v[60:61], v[28:29], v[34:35]
	;; [unrolled: 1-line block ×4, first 2 shown]
	s_waitcnt vmcnt(1)
	v_fmac_f64_e32 v[62:63], v[64:65], v[36:37]
	v_fmac_f64_e32 v[60:61], v[66:67], v[36:37]
	s_waitcnt vmcnt(0)
	v_fmac_f64_e32 v[58:59], v[68:69], v[36:37]
	v_fmac_f64_e32 v[56:57], v[70:71], v[36:37]
	s_andn2_b64 exec, exec, s[10:11]
	s_cbranch_execnz .LBB46_31
; %bb.32:
	s_or_b64 exec, exec, s[10:11]
.LBB46_33:
	s_or_b64 exec, exec, s[2:3]
	v_cmp_lt_u64_e32 vcc, 23, v[0:1]
	s_and_saveexec_b64 s[2:3], vcc
	s_cbranch_execz .LBB46_37
; %bb.34:
	v_lshl_add_u64 v[0:1], v[50:51], 3, s[8:9]
	s_mov_b64 s[8:9], 0x80
	v_lshl_add_u64 v[32:33], v[0:1], 0, s[8:9]
	s_mov_b64 s[8:9], 0
	s_mov_b64 s[10:11], 0x1000
	s_mov_b64 s[12:13], 0x100
.LBB46_35:                              ; =>This Inner Loop Header: Depth=1
	global_load_dwordx2 v[34:35], v[32:33], off offset:-128
	global_load_dwordx4 v[0:3], v[54:55], off offset:48
	global_load_dwordx4 v[4:7], v[54:55], off offset:32
	;; [unrolled: 1-line block ×3, first 2 shown]
	global_load_dwordx4 v[12:15], v[54:55], off
	global_load_dwordx4 v[16:19], v[54:55], off offset:112
	global_load_dwordx4 v[20:23], v[54:55], off offset:96
	;; [unrolled: 1-line block ×7, first 2 shown]
	global_load_dwordx2 v[80:81], v[32:33], off offset:-64
	global_load_dwordx2 v[82:83], v[32:33], off
	global_load_dwordx2 v[84:85], v[32:33], off offset:64
	v_lshl_add_u64 v[50:51], v[50:51], 0, 32
	v_lshl_add_u64 v[32:33], v[32:33], 0, s[12:13]
	s_waitcnt vmcnt(14)
	v_sub_co_u32_e32 v34, vcc, v34, v46
	s_nop 1
	v_subb_co_u32_e32 v35, vcc, v35, v47, vcc
	v_lshlrev_b64 v[34:35], 5, v[34:35]
	v_lshl_add_u64 v[34:35], s[4:5], 0, v[34:35]
	global_load_dwordx4 v[72:75], v[34:35], off
	s_waitcnt vmcnt(0)
	v_fmac_f64_e32 v[62:63], v[12:13], v[72:73]
	v_fmac_f64_e32 v[60:61], v[14:15], v[72:73]
	;; [unrolled: 1-line block ×4, first 2 shown]
	global_load_dwordx4 v[12:15], v[54:55], off offset:1024
	global_load_dwordx4 v[8:11], v[54:55], off offset:1136
	v_fmac_f64_e32 v[62:63], v[4:5], v[74:75]
	v_fmac_f64_e32 v[60:61], v[6:7], v[74:75]
	global_load_dwordx4 v[4:7], v[54:55], off offset:1120
	v_fmac_f64_e32 v[58:59], v[0:1], v[74:75]
	v_fmac_f64_e32 v[56:57], v[2:3], v[74:75]
	global_load_dwordx4 v[0:3], v[54:55], off offset:1104
	global_load_dwordx4 v[72:75], v[54:55], off offset:1088
	;; [unrolled: 1-line block ×3, first 2 shown]
	s_waitcnt vmcnt(0)
	v_fmac_f64_e32 v[60:61], v[38:39], v[76:77]
	v_sub_co_u32_e32 v38, vcc, v80, v46
	v_fmac_f64_e32 v[62:63], v[36:37], v[76:77]
	s_nop 0
	v_subb_co_u32_e32 v39, vcc, v81, v47, vcc
	v_lshlrev_b64 v[38:39], 5, v[38:39]
	v_fmac_f64_e32 v[58:59], v[28:29], v[76:77]
	v_fmac_f64_e32 v[56:57], v[30:31], v[76:77]
	v_lshl_add_u64 v[38:39], s[4:5], 0, v[38:39]
	v_fmac_f64_e32 v[62:63], v[20:21], v[78:79]
	v_fmac_f64_e32 v[60:61], v[22:23], v[78:79]
	;; [unrolled: 1-line block ×4, first 2 shown]
	global_load_dwordx4 v[76:79], v[38:39], off
	global_load_dwordx4 v[34:37], v[54:55], off offset:2096
	global_load_dwordx4 v[28:31], v[54:55], off offset:2080
	;; [unrolled: 1-line block ×4, first 2 shown]
	s_waitcnt vmcnt(4)
	v_fmac_f64_e32 v[62:63], v[12:13], v[76:77]
	v_fmac_f64_e32 v[60:61], v[14:15], v[76:77]
	;; [unrolled: 1-line block ×4, first 2 shown]
	global_load_dwordx4 v[12:15], v[54:55], off offset:2160
	global_load_dwordx4 v[68:71], v[54:55], off offset:2144
	v_fmac_f64_e32 v[62:63], v[64:65], v[78:79]
	v_fmac_f64_e32 v[60:61], v[66:67], v[78:79]
	global_load_dwordx4 v[64:67], v[54:55], off offset:2128
	v_fmac_f64_e32 v[58:59], v[24:25], v[78:79]
	v_fmac_f64_e32 v[56:57], v[26:27], v[78:79]
	global_load_dwordx4 v[24:27], v[54:55], off offset:2112
	global_load_dwordx4 v[76:79], v[38:39], off offset:16
	v_sub_co_u32_e32 v38, vcc, v82, v46
	s_waitcnt vmcnt(0)
	v_fmac_f64_e32 v[62:63], v[72:73], v[76:77]
	v_subb_co_u32_e32 v39, vcc, v83, v47, vcc
	v_lshlrev_b64 v[38:39], 5, v[38:39]
	v_fmac_f64_e32 v[60:61], v[74:75], v[76:77]
	v_fmac_f64_e32 v[58:59], v[0:1], v[76:77]
	;; [unrolled: 1-line block ×3, first 2 shown]
	v_lshl_add_u64 v[38:39], s[4:5], 0, v[38:39]
	v_fmac_f64_e32 v[62:63], v[4:5], v[78:79]
	v_fmac_f64_e32 v[60:61], v[6:7], v[78:79]
	;; [unrolled: 1-line block ×4, first 2 shown]
	global_load_dwordx4 v[76:79], v[38:39], off
	global_load_dwordx4 v[80:83], v[38:39], off offset:16
	global_load_dwordx4 v[4:7], v[54:55], off offset:3088
	;; [unrolled: 1-line block ×5, first 2 shown]
	s_waitcnt vmcnt(5)
	v_fmac_f64_e32 v[62:63], v[16:17], v[76:77]
	v_fmac_f64_e32 v[60:61], v[18:19], v[76:77]
	v_fmac_f64_e32 v[58:59], v[20:21], v[76:77]
	v_fmac_f64_e32 v[56:57], v[22:23], v[76:77]
	v_sub_co_u32_e32 v76, vcc, v84, v46
	global_load_dwordx4 v[16:19], v[54:55], off offset:3168
	s_nop 0
	v_subb_co_u32_e32 v77, vcc, v85, v47, vcc
	v_lshlrev_b64 v[76:77], 5, v[76:77]
	v_lshl_add_u64 v[84:85], s[4:5], 0, v[76:77]
	global_load_dwordx4 v[20:23], v[54:55], off offset:3152
	v_fmac_f64_e32 v[62:63], v[28:29], v[78:79]
	v_fmac_f64_e32 v[60:61], v[30:31], v[78:79]
	global_load_dwordx4 v[28:31], v[54:55], off offset:3136
	v_fmac_f64_e32 v[58:59], v[34:35], v[78:79]
	v_fmac_f64_e32 v[56:57], v[36:37], v[78:79]
	global_load_dwordx4 v[34:37], v[84:85], off
	global_load_dwordx4 v[76:79], v[84:85], off offset:16
	s_waitcnt vmcnt(9)
	v_fmac_f64_e32 v[62:63], v[24:25], v[80:81]
	v_fmac_f64_e32 v[60:61], v[26:27], v[80:81]
	global_load_dwordx4 v[24:27], v[54:55], off offset:3184
	v_fmac_f64_e32 v[58:59], v[64:65], v[80:81]
	v_fmac_f64_e32 v[56:57], v[66:67], v[80:81]
	;; [unrolled: 1-line block ×6, first 2 shown]
	v_cmp_ge_i64_e32 vcc, v[50:51], v[52:53]
	v_lshl_add_u64 v[54:55], v[54:55], 0, s[10:11]
	s_or_b64 s[8:9], vcc, s[8:9]
	s_waitcnt vmcnt(2)
	v_fmac_f64_e32 v[62:63], v[8:9], v[34:35]
	v_fmac_f64_e32 v[60:61], v[10:11], v[34:35]
	;; [unrolled: 1-line block ×8, first 2 shown]
	s_waitcnt vmcnt(1)
	v_fmac_f64_e32 v[62:63], v[28:29], v[76:77]
	v_fmac_f64_e32 v[60:61], v[30:31], v[76:77]
	v_fmac_f64_e32 v[58:59], v[20:21], v[76:77]
	v_fmac_f64_e32 v[56:57], v[22:23], v[76:77]
	v_fmac_f64_e32 v[62:63], v[16:17], v[78:79]
	v_fmac_f64_e32 v[60:61], v[18:19], v[78:79]
	s_waitcnt vmcnt(0)
	v_fmac_f64_e32 v[58:59], v[24:25], v[78:79]
	v_fmac_f64_e32 v[56:57], v[26:27], v[78:79]
	s_andn2_b64 exec, exec, s[8:9]
	s_cbranch_execnz .LBB46_35
; %bb.36:
	s_or_b64 exec, exec, s[8:9]
.LBB46_37:
	s_or_b64 exec, exec, s[2:3]
.LBB46_38:
	s_or_b64 exec, exec, s[6:7]
.LBB46_39:
	v_mov_b32_dpp v0, v62 row_shr:1 row_mask:0xf bank_mask:0xf
	v_mov_b32_dpp v1, v63 row_shr:1 row_mask:0xf bank_mask:0xf
	;; [unrolled: 1-line block ×8, first 2 shown]
	v_add_f64 v[0:1], v[62:63], v[0:1]
	v_add_f64 v[4:5], v[60:61], v[4:5]
	;; [unrolled: 1-line block ×4, first 2 shown]
	v_mov_b32_dpp v2, v0 row_shr:2 row_mask:0xf bank_mask:0xf
	v_mov_b32_dpp v3, v1 row_shr:2 row_mask:0xf bank_mask:0xf
	v_mov_b32_dpp v6, v4 row_shr:2 row_mask:0xf bank_mask:0xf
	v_mov_b32_dpp v7, v5 row_shr:2 row_mask:0xf bank_mask:0xf
	v_mov_b32_dpp v10, v8 row_shr:2 row_mask:0xf bank_mask:0xf
	v_mov_b32_dpp v11, v9 row_shr:2 row_mask:0xf bank_mask:0xf
	v_mov_b32_dpp v14, v12 row_shr:2 row_mask:0xf bank_mask:0xf
	v_mov_b32_dpp v15, v13 row_shr:2 row_mask:0xf bank_mask:0xf
	v_add_f64 v[0:1], v[0:1], v[2:3]
	v_add_f64 v[4:5], v[4:5], v[6:7]
	;; [unrolled: 1-line block ×4, first 2 shown]
	v_mov_b32_dpp v2, v0 row_shr:4 row_mask:0xf bank_mask:0xe
	v_mov_b32_dpp v3, v1 row_shr:4 row_mask:0xf bank_mask:0xe
	;; [unrolled: 1-line block ×8, first 2 shown]
	v_cmp_eq_u32_e32 vcc, 7, v48
	s_and_b64 exec, exec, vcc
	s_cbranch_execz .LBB46_10
; %bb.40:
	s_load_dwordx2 s[0:1], s[0:1], 0x58
	v_add_f64 v[0:1], v[0:1], v[2:3]
	v_add_f64 v[2:3], v[4:5], v[6:7]
	;; [unrolled: 1-line block ×4, first 2 shown]
	v_cmp_eq_f64_e32 vcc, 0, v[40:41]
	v_mul_f64 v[4:5], v[42:43], v[0:1]
	v_mul_f64 v[6:7], v[42:43], v[2:3]
	;; [unrolled: 1-line block ×4, first 2 shown]
	v_lshlrev_b64 v[8:9], 5, v[44:45]
	s_and_saveexec_b64 s[2:3], vcc
	s_xor_b64 s[2:3], exec, s[2:3]
	s_cbranch_execz .LBB46_42
; %bb.41:
	s_waitcnt lgkmcnt(0)
	v_lshl_add_u64 v[8:9], s[0:1], 0, v[8:9]
	global_store_dwordx4 v[8:9], v[4:7], off
	global_store_dwordx4 v[8:9], v[0:3], off offset:16
                                        ; implicit-def: $vgpr8_vgpr9
                                        ; implicit-def: $vgpr40_vgpr41
                                        ; implicit-def: $vgpr4_vgpr5
                                        ; implicit-def: $vgpr0_vgpr1
.LBB46_42:
	s_andn2_saveexec_b64 s[2:3], s[2:3]
	s_cbranch_execz .LBB46_10
; %bb.43:
	s_waitcnt lgkmcnt(0)
	v_lshl_add_u64 v[16:17], s[0:1], 0, v[8:9]
	global_load_dwordx4 v[8:11], v[16:17], off
	global_load_dwordx4 v[12:15], v[16:17], off offset:16
	s_waitcnt vmcnt(1)
	v_fmac_f64_e32 v[4:5], v[40:41], v[8:9]
	v_fmac_f64_e32 v[6:7], v[40:41], v[10:11]
	s_waitcnt vmcnt(0)
	v_fmac_f64_e32 v[0:1], v[40:41], v[12:13]
	v_fmac_f64_e32 v[2:3], v[40:41], v[14:15]
	global_store_dwordx4 v[16:17], v[4:7], off
	global_store_dwordx4 v[16:17], v[0:3], off offset:16
	s_endpgm
	.section	.rodata,"a",@progbits
	.p2align	6, 0x0
	.amdhsa_kernel _ZN9rocsparseL18bsrxmvn_4x4_kernelILj128ELj8EdlldddEEvT3_20rocsparse_direction_NS_24const_host_device_scalarIT1_EES1_PKS1_PKT2_SA_S7_PKT4_PKT5_S5_PT6_21rocsparse_index_base_b
		.amdhsa_group_segment_fixed_size 0
		.amdhsa_private_segment_fixed_size 0
		.amdhsa_kernarg_size 104
		.amdhsa_user_sgpr_count 2
		.amdhsa_user_sgpr_dispatch_ptr 0
		.amdhsa_user_sgpr_queue_ptr 0
		.amdhsa_user_sgpr_kernarg_segment_ptr 1
		.amdhsa_user_sgpr_dispatch_id 0
		.amdhsa_user_sgpr_kernarg_preload_length 0
		.amdhsa_user_sgpr_kernarg_preload_offset 0
		.amdhsa_user_sgpr_private_segment_size 0
		.amdhsa_uses_dynamic_stack 0
		.amdhsa_enable_private_segment 0
		.amdhsa_system_sgpr_workgroup_id_x 1
		.amdhsa_system_sgpr_workgroup_id_y 0
		.amdhsa_system_sgpr_workgroup_id_z 0
		.amdhsa_system_sgpr_workgroup_info 0
		.amdhsa_system_vgpr_workitem_id 0
		.amdhsa_next_free_vgpr 104
		.amdhsa_next_free_sgpr 18
		.amdhsa_accum_offset 104
		.amdhsa_reserve_vcc 1
		.amdhsa_float_round_mode_32 0
		.amdhsa_float_round_mode_16_64 0
		.amdhsa_float_denorm_mode_32 3
		.amdhsa_float_denorm_mode_16_64 3
		.amdhsa_dx10_clamp 1
		.amdhsa_ieee_mode 1
		.amdhsa_fp16_overflow 0
		.amdhsa_tg_split 0
		.amdhsa_exception_fp_ieee_invalid_op 0
		.amdhsa_exception_fp_denorm_src 0
		.amdhsa_exception_fp_ieee_div_zero 0
		.amdhsa_exception_fp_ieee_overflow 0
		.amdhsa_exception_fp_ieee_underflow 0
		.amdhsa_exception_fp_ieee_inexact 0
		.amdhsa_exception_int_div_zero 0
	.end_amdhsa_kernel
	.section	.text._ZN9rocsparseL18bsrxmvn_4x4_kernelILj128ELj8EdlldddEEvT3_20rocsparse_direction_NS_24const_host_device_scalarIT1_EES1_PKS1_PKT2_SA_S7_PKT4_PKT5_S5_PT6_21rocsparse_index_base_b,"axG",@progbits,_ZN9rocsparseL18bsrxmvn_4x4_kernelILj128ELj8EdlldddEEvT3_20rocsparse_direction_NS_24const_host_device_scalarIT1_EES1_PKS1_PKT2_SA_S7_PKT4_PKT5_S5_PT6_21rocsparse_index_base_b,comdat
.Lfunc_end46:
	.size	_ZN9rocsparseL18bsrxmvn_4x4_kernelILj128ELj8EdlldddEEvT3_20rocsparse_direction_NS_24const_host_device_scalarIT1_EES1_PKS1_PKT2_SA_S7_PKT4_PKT5_S5_PT6_21rocsparse_index_base_b, .Lfunc_end46-_ZN9rocsparseL18bsrxmvn_4x4_kernelILj128ELj8EdlldddEEvT3_20rocsparse_direction_NS_24const_host_device_scalarIT1_EES1_PKS1_PKT2_SA_S7_PKT4_PKT5_S5_PT6_21rocsparse_index_base_b
                                        ; -- End function
	.set _ZN9rocsparseL18bsrxmvn_4x4_kernelILj128ELj8EdlldddEEvT3_20rocsparse_direction_NS_24const_host_device_scalarIT1_EES1_PKS1_PKT2_SA_S7_PKT4_PKT5_S5_PT6_21rocsparse_index_base_b.num_vgpr, 104
	.set _ZN9rocsparseL18bsrxmvn_4x4_kernelILj128ELj8EdlldddEEvT3_20rocsparse_direction_NS_24const_host_device_scalarIT1_EES1_PKS1_PKT2_SA_S7_PKT4_PKT5_S5_PT6_21rocsparse_index_base_b.num_agpr, 0
	.set _ZN9rocsparseL18bsrxmvn_4x4_kernelILj128ELj8EdlldddEEvT3_20rocsparse_direction_NS_24const_host_device_scalarIT1_EES1_PKS1_PKT2_SA_S7_PKT4_PKT5_S5_PT6_21rocsparse_index_base_b.numbered_sgpr, 18
	.set _ZN9rocsparseL18bsrxmvn_4x4_kernelILj128ELj8EdlldddEEvT3_20rocsparse_direction_NS_24const_host_device_scalarIT1_EES1_PKS1_PKT2_SA_S7_PKT4_PKT5_S5_PT6_21rocsparse_index_base_b.num_named_barrier, 0
	.set _ZN9rocsparseL18bsrxmvn_4x4_kernelILj128ELj8EdlldddEEvT3_20rocsparse_direction_NS_24const_host_device_scalarIT1_EES1_PKS1_PKT2_SA_S7_PKT4_PKT5_S5_PT6_21rocsparse_index_base_b.private_seg_size, 0
	.set _ZN9rocsparseL18bsrxmvn_4x4_kernelILj128ELj8EdlldddEEvT3_20rocsparse_direction_NS_24const_host_device_scalarIT1_EES1_PKS1_PKT2_SA_S7_PKT4_PKT5_S5_PT6_21rocsparse_index_base_b.uses_vcc, 1
	.set _ZN9rocsparseL18bsrxmvn_4x4_kernelILj128ELj8EdlldddEEvT3_20rocsparse_direction_NS_24const_host_device_scalarIT1_EES1_PKS1_PKT2_SA_S7_PKT4_PKT5_S5_PT6_21rocsparse_index_base_b.uses_flat_scratch, 0
	.set _ZN9rocsparseL18bsrxmvn_4x4_kernelILj128ELj8EdlldddEEvT3_20rocsparse_direction_NS_24const_host_device_scalarIT1_EES1_PKS1_PKT2_SA_S7_PKT4_PKT5_S5_PT6_21rocsparse_index_base_b.has_dyn_sized_stack, 0
	.set _ZN9rocsparseL18bsrxmvn_4x4_kernelILj128ELj8EdlldddEEvT3_20rocsparse_direction_NS_24const_host_device_scalarIT1_EES1_PKS1_PKT2_SA_S7_PKT4_PKT5_S5_PT6_21rocsparse_index_base_b.has_recursion, 0
	.set _ZN9rocsparseL18bsrxmvn_4x4_kernelILj128ELj8EdlldddEEvT3_20rocsparse_direction_NS_24const_host_device_scalarIT1_EES1_PKS1_PKT2_SA_S7_PKT4_PKT5_S5_PT6_21rocsparse_index_base_b.has_indirect_call, 0
	.section	.AMDGPU.csdata,"",@progbits
; Kernel info:
; codeLenInByte = 3588
; TotalNumSgprs: 24
; NumVgprs: 104
; NumAgprs: 0
; TotalNumVgprs: 104
; ScratchSize: 0
; MemoryBound: 1
; FloatMode: 240
; IeeeMode: 1
; LDSByteSize: 0 bytes/workgroup (compile time only)
; SGPRBlocks: 2
; VGPRBlocks: 12
; NumSGPRsForWavesPerEU: 24
; NumVGPRsForWavesPerEU: 104
; AccumOffset: 104
; Occupancy: 4
; WaveLimiterHint : 1
; COMPUTE_PGM_RSRC2:SCRATCH_EN: 0
; COMPUTE_PGM_RSRC2:USER_SGPR: 2
; COMPUTE_PGM_RSRC2:TRAP_HANDLER: 0
; COMPUTE_PGM_RSRC2:TGID_X_EN: 1
; COMPUTE_PGM_RSRC2:TGID_Y_EN: 0
; COMPUTE_PGM_RSRC2:TGID_Z_EN: 0
; COMPUTE_PGM_RSRC2:TIDIG_COMP_CNT: 0
; COMPUTE_PGM_RSRC3_GFX90A:ACCUM_OFFSET: 25
; COMPUTE_PGM_RSRC3_GFX90A:TG_SPLIT: 0
	.section	.text._ZN9rocsparseL18bsrxmvn_4x4_kernelILj128ELj16EdlldddEEvT3_20rocsparse_direction_NS_24const_host_device_scalarIT1_EES1_PKS1_PKT2_SA_S7_PKT4_PKT5_S5_PT6_21rocsparse_index_base_b,"axG",@progbits,_ZN9rocsparseL18bsrxmvn_4x4_kernelILj128ELj16EdlldddEEvT3_20rocsparse_direction_NS_24const_host_device_scalarIT1_EES1_PKS1_PKT2_SA_S7_PKT4_PKT5_S5_PT6_21rocsparse_index_base_b,comdat
	.globl	_ZN9rocsparseL18bsrxmvn_4x4_kernelILj128ELj16EdlldddEEvT3_20rocsparse_direction_NS_24const_host_device_scalarIT1_EES1_PKS1_PKT2_SA_S7_PKT4_PKT5_S5_PT6_21rocsparse_index_base_b ; -- Begin function _ZN9rocsparseL18bsrxmvn_4x4_kernelILj128ELj16EdlldddEEvT3_20rocsparse_direction_NS_24const_host_device_scalarIT1_EES1_PKS1_PKT2_SA_S7_PKT4_PKT5_S5_PT6_21rocsparse_index_base_b
	.p2align	8
	.type	_ZN9rocsparseL18bsrxmvn_4x4_kernelILj128ELj16EdlldddEEvT3_20rocsparse_direction_NS_24const_host_device_scalarIT1_EES1_PKS1_PKT2_SA_S7_PKT4_PKT5_S5_PT6_21rocsparse_index_base_b,@function
_ZN9rocsparseL18bsrxmvn_4x4_kernelILj128ELj16EdlldddEEvT3_20rocsparse_direction_NS_24const_host_device_scalarIT1_EES1_PKS1_PKT2_SA_S7_PKT4_PKT5_S5_PT6_21rocsparse_index_base_b: ; @_ZN9rocsparseL18bsrxmvn_4x4_kernelILj128ELj16EdlldddEEvT3_20rocsparse_direction_NS_24const_host_device_scalarIT1_EES1_PKS1_PKT2_SA_S7_PKT4_PKT5_S5_PT6_21rocsparse_index_base_b
; %bb.0:
	s_load_dwordx2 s[8:9], s[0:1], 0x60
	s_load_dwordx4 s[4:7], s[0:1], 0x10
	s_load_dwordx2 s[10:11], s[0:1], 0x50
	s_waitcnt lgkmcnt(0)
	s_bitcmp1_b32 s9, 0
	s_cselect_b64 s[14:15], -1, 0
	s_xor_b64 s[12:13], s[14:15], -1
	s_and_b64 vcc, exec, s[14:15]
	v_mov_b64_e32 v[46:47], s[4:5]
	s_cbranch_vccnz .LBB47_2
; %bb.1:
	v_mov_b64_e32 v[2:3], s[4:5]
	flat_load_dwordx2 v[46:47], v[2:3]
.LBB47_2:
	s_andn2_b64 vcc, exec, s[12:13]
	v_mov_b64_e32 v[44:45], s[10:11]
	s_cbranch_vccnz .LBB47_4
; %bb.3:
	v_mov_b64_e32 v[2:3], s[10:11]
	flat_load_dwordx2 v[44:45], v[2:3]
.LBB47_4:
	s_waitcnt vmcnt(0) lgkmcnt(0)
	v_cmp_neq_f64_e32 vcc, 0, v[46:47]
	v_cmp_neq_f64_e64 s[4:5], 1.0, v[44:45]
	s_mov_b64 s[10:11], 0
	s_or_b64 s[4:5], vcc, s[4:5]
	s_and_saveexec_b64 s[12:13], s[4:5]
	s_cbranch_execz .LBB47_10
; %bb.5:
	s_load_dwordx2 s[4:5], s[0:1], 0x20
	v_lshrrev_b32_e32 v1, 4, v0
	v_lshl_or_b32 v2, s2, 3, v1
	v_mov_b32_e32 v3, 0
	s_mov_b64 s[2:3], 0
	s_waitcnt lgkmcnt(0)
	s_cmp_lg_u64 s[4:5], 0
	s_cbranch_scc0 .LBB47_11
; %bb.6:
	v_cmp_gt_i64_e32 vcc, s[6:7], v[2:3]
                                        ; implicit-def: $vgpr48_vgpr49
                                        ; implicit-def: $vgpr52_vgpr53
	s_and_saveexec_b64 s[6:7], vcc
	s_xor_b64 s[6:7], exec, s[6:7]
	s_cbranch_execz .LBB47_8
; %bb.7:
	v_lshl_add_u64 v[4:5], v[2:3], 3, s[4:5]
	global_load_dwordx2 v[4:5], v[4:5], off
	s_mov_b32 s9, 0
	s_mov_b64 s[2:3], exec
	v_mov_b64_e32 v[52:53], s[8:9]
	s_waitcnt vmcnt(0)
	v_subrev_co_u32_e32 v48, vcc, s8, v4
	s_nop 1
	v_subbrev_co_u32_e32 v49, vcc, 0, v5, vcc
.LBB47_8:
	s_or_b64 exec, exec, s[6:7]
	s_mov_b64 s[10:11], s[2:3]
.LBB47_9:
	s_and_b64 exec, exec, s[10:11]
	s_cbranch_execnz .LBB47_15
.LBB47_10:
	s_endpgm
.LBB47_11:
                                        ; implicit-def: $vgpr48_vgpr49
                                        ; implicit-def: $vgpr52_vgpr53
	s_cbranch_execz .LBB47_9
; %bb.12:
	s_load_dwordx2 s[2:3], s[0:1], 0x0
	s_waitcnt lgkmcnt(0)
	v_cmp_gt_i64_e32 vcc, s[2:3], v[2:3]
	s_and_saveexec_b64 s[2:3], vcc
; %bb.13:
	s_mov_b32 s9, 0
	s_or_b64 s[10:11], s[10:11], exec
; %bb.14:
	s_or_b64 exec, exec, s[2:3]
	v_mov_b64_e32 v[52:53], s[8:9]
	v_mov_b64_e32 v[48:49], v[2:3]
	s_and_b64 exec, exec, s[10:11]
	s_cbranch_execz .LBB47_10
.LBB47_15:
	s_load_dwordx8 s[4:11], s[0:1], 0x28
	v_lshlrev_b64 v[2:3], 3, v[48:49]
	v_and_b32_e32 v50, 15, v0
	v_mov_b32_e32 v51, 0
	s_waitcnt lgkmcnt(0)
	v_lshl_add_u64 v[4:5], s[4:5], 0, v[2:3]
	s_cmp_eq_u64 s[6:7], 0
	v_lshl_add_u64 v[2:3], s[6:7], 0, v[2:3]
	global_load_dwordx2 v[68:69], v[4:5], off
	v_lshl_add_u64 v[4:5], v[4:5], 0, 8
	s_cselect_b64 vcc, -1, 0
	v_cndmask_b32_e32 v3, v3, v5, vcc
	v_cndmask_b32_e32 v2, v2, v4, vcc
	global_load_dwordx2 v[2:3], v[2:3], off
	s_load_dword s2, s[0:1], 0x8
	s_load_dwordx2 s[4:5], s[0:1], 0x48
	s_waitcnt lgkmcnt(0)
	s_cmp_eq_u32 s2, 1
	s_waitcnt vmcnt(1)
	v_sub_co_u32_e32 v0, vcc, v68, v52
	s_nop 1
	v_subb_co_u32_e32 v1, vcc, v69, v53, vcc
	v_lshl_add_u64 v[54:55], v[0:1], 0, v[50:51]
	s_waitcnt vmcnt(0)
	v_sub_co_u32_e32 v56, vcc, v2, v52
	v_lshlrev_b64 v[0:1], 7, v[54:55]
	s_nop 0
	v_subb_co_u32_e32 v57, vcc, v3, v53, vcc
	v_lshl_add_u64 v[58:59], s[10:11], 0, v[0:1]
	v_cmp_lt_i64_e64 s[2:3], v[54:55], v[56:57]
	s_cbranch_scc1 .LBB47_27
; %bb.16:
	v_mov_b64_e32 v[60:61], 0
	v_mov_b64_e32 v[62:63], 0
	;; [unrolled: 1-line block ×4, first 2 shown]
	s_and_saveexec_b64 s[6:7], s[2:3]
	s_cbranch_execz .LBB47_26
; %bb.17:
	v_or_b32_e32 v0, 16, v50
	v_sub_co_u32_e32 v0, vcc, v0, v52
	v_not_b32_e32 v3, v69
	s_nop 0
	v_subb_co_u32_e32 v1, vcc, 0, v53, vcc
	v_lshl_add_u64 v[0:1], v[0:1], 0, v[68:69]
	v_cmp_gt_i64_e32 vcc, v[0:1], v[56:57]
	v_not_b32_e32 v2, v68
	v_mov_b64_e32 v[66:67], 0
	v_cndmask_b32_e32 v1, v57, v1, vcc
	v_cndmask_b32_e32 v0, v56, v0, vcc
	v_sub_co_u32_e32 v4, vcc, v52, v50
	v_mov_b64_e32 v[64:65], 0
	s_nop 0
	v_subbrev_co_u32_e32 v5, vcc, 0, v53, vcc
	v_lshl_add_u64 v[2:3], v[4:5], 0, v[2:3]
	v_lshl_add_u64 v[0:1], v[2:3], 0, v[0:1]
	v_and_b32_e32 v2, 48, v0
	v_mov_b32_e32 v3, 0
	v_cmp_ne_u64_e32 vcc, 48, v[2:3]
	v_mov_b64_e32 v[62:63], 0
	v_mov_b64_e32 v[60:61], 0
	;; [unrolled: 1-line block ×4, first 2 shown]
	s_and_saveexec_b64 s[10:11], vcc
	s_cbranch_execz .LBB47_21
; %bb.18:
	v_lshrrev_b32_e32 v2, 4, v0
	v_add_u32_e32 v2, 1, v2
	v_and_b32_e32 v4, 3, v2
	v_sub_co_u32_e32 v4, vcc, 0, v4
	v_lshl_add_u64 v[2:3], v[54:55], 3, s[8:9]
	s_nop 0
	v_subb_co_u32_e64 v5, s[14:15], 0, 0, vcc
	s_mov_b64 s[12:13], 0
	v_mov_b64_e32 v[60:61], 0
	s_mov_b64 s[14:15], 0x800
	s_mov_b64 s[16:17], 0x80
	v_mov_b64_e32 v[72:73], v[58:59]
	v_mov_b64_e32 v[70:71], v[54:55]
	;; [unrolled: 1-line block ×5, first 2 shown]
.LBB47_19:                              ; =>This Inner Loop Header: Depth=1
	global_load_dwordx2 v[38:39], v[2:3], off
	global_load_dwordx4 v[6:9], v[72:73], off offset:48
	global_load_dwordx4 v[10:13], v[72:73], off offset:32
	;; [unrolled: 1-line block ×3, first 2 shown]
	global_load_dwordx4 v[18:21], v[72:73], off
	global_load_dwordx4 v[22:25], v[72:73], off offset:112
	global_load_dwordx4 v[26:29], v[72:73], off offset:96
	;; [unrolled: 1-line block ×4, first 2 shown]
	v_lshl_add_u64 v[4:5], v[4:5], 0, 1
	v_lshl_add_u64 v[72:73], v[72:73], 0, s[14:15]
	;; [unrolled: 1-line block ×4, first 2 shown]
	s_waitcnt vmcnt(8)
	v_sub_co_u32_e32 v38, vcc, v38, v52
	s_nop 1
	v_subb_co_u32_e32 v39, vcc, v39, v53, vcc
	v_lshlrev_b64 v[38:39], 5, v[38:39]
	v_lshl_add_u64 v[42:43], s[4:5], 0, v[38:39]
	global_load_dwordx4 v[38:41], v[42:43], off
	global_load_dwordx4 v[74:77], v[42:43], off offset:16
	v_cmp_eq_u64_e32 vcc, 0, v[4:5]
	s_or_b64 s[12:13], vcc, s[12:13]
	s_waitcnt vmcnt(1)
	v_fmac_f64_e32 v[66:67], v[18:19], v[38:39]
	v_fmac_f64_e32 v[64:65], v[10:11], v[38:39]
	;; [unrolled: 1-line block ×8, first 2 shown]
	s_waitcnt vmcnt(0)
	v_fmac_f64_e32 v[66:67], v[14:15], v[74:75]
	v_fmac_f64_e32 v[64:65], v[6:7], v[74:75]
	v_fmac_f64_e32 v[62:63], v[30:31], v[74:75]
	v_fmac_f64_e32 v[60:61], v[22:23], v[74:75]
	v_fmac_f64_e32 v[66:67], v[16:17], v[76:77]
	v_fmac_f64_e32 v[64:65], v[8:9], v[76:77]
	v_fmac_f64_e32 v[62:63], v[32:33], v[76:77]
	v_fmac_f64_e32 v[60:61], v[24:25], v[76:77]
	s_andn2_b64 exec, exec, s[12:13]
	s_cbranch_execnz .LBB47_19
; %bb.20:
	s_or_b64 exec, exec, s[12:13]
.LBB47_21:
	s_or_b64 exec, exec, s[10:11]
	v_cmp_lt_u64_e32 vcc, 47, v[0:1]
	s_and_saveexec_b64 s[10:11], vcc
	s_cbranch_execz .LBB47_25
; %bb.22:
	v_lshl_add_u64 v[0:1], v[70:71], 3, s[8:9]
	s_mov_b64 s[12:13], 0x100
	v_lshl_add_u64 v[74:75], v[0:1], 0, s[12:13]
	s_mov_b64 s[12:13], 0
	s_mov_b64 s[14:15], 0x1000
	s_movk_i32 s20, 0x1000
	s_mov_b64 s[16:17], 0x200
	s_mov_b64 s[18:19], 0x2000
.LBB47_23:                              ; =>This Inner Loop Header: Depth=1
	global_load_dwordx2 v[92:93], v[74:75], off offset:-256
	global_load_dwordx4 v[4:7], v[72:73], off offset:48
	global_load_dwordx4 v[24:27], v[72:73], off offset:32
	;; [unrolled: 1-line block ×3, first 2 shown]
	global_load_dwordx4 v[76:79], v[72:73], off
	global_load_dwordx4 v[28:31], v[72:73], off offset:112
	global_load_dwordx4 v[40:43], v[72:73], off offset:96
	;; [unrolled: 1-line block ×11, first 2 shown]
	v_lshl_add_u64 v[104:105], v[72:73], 0, s[14:15]
	v_lshl_add_u64 v[70:71], v[70:71], 0, 64
	s_waitcnt vmcnt(15)
	v_sub_co_u32_e32 v92, vcc, v92, v52
	s_nop 1
	v_subb_co_u32_e32 v93, vcc, v93, v53, vcc
	v_lshlrev_b64 v[92:93], 5, v[92:93]
	v_lshl_add_u64 v[96:97], s[4:5], 0, v[92:93]
	global_load_dwordx4 v[92:95], v[96:97], off
	global_load_dwordx2 v[98:99], v[74:75], off offset:-128
	global_load_dwordx2 v[100:101], v[74:75], off
	global_load_dwordx2 v[102:103], v[74:75], off offset:128
	v_lshl_add_u64 v[74:75], v[74:75], 0, s[16:17]
	s_waitcnt vmcnt(3)
	v_fmac_f64_e32 v[66:67], v[76:77], v[92:93]
	v_fmac_f64_e32 v[64:65], v[24:25], v[92:93]
	;; [unrolled: 1-line block ×5, first 2 shown]
	global_load_dwordx4 v[76:79], v[72:73], off offset:2112
	v_fmac_f64_e32 v[60:61], v[42:43], v[94:95]
	global_load_dwordx4 v[24:27], v[104:105], off offset:48
	global_load_dwordx4 v[40:43], v[96:97], off offset:16
	v_fmac_f64_e32 v[62:63], v[80:81], v[92:93]
	v_add_co_u32_e32 v92, vcc, s20, v72
	v_fmac_f64_e32 v[62:63], v[82:83], v[94:95]
	s_nop 0
	v_addc_co_u32_e32 v93, vcc, 0, v73, vcc
	global_load_dwordx4 v[80:83], v[104:105], off offset:32
	v_lshl_add_u64 v[72:73], v[72:73], 0, s[18:19]
	s_waitcnt vmcnt(1)
	v_fmac_f64_e32 v[60:61], v[28:29], v[40:41]
	v_sub_co_u32_e32 v28, vcc, v98, v52
	v_fmac_f64_e32 v[60:61], v[30:31], v[42:43]
	s_nop 0
	v_subb_co_u32_e32 v29, vcc, v99, v53, vcc
	v_lshlrev_b64 v[28:29], 5, v[28:29]
	v_lshl_add_u64 v[94:95], s[4:5], 0, v[28:29]
	global_load_dwordx4 v[28:31], v[94:95], off
	v_fmac_f64_e32 v[66:67], v[16:17], v[40:41]
	v_fmac_f64_e32 v[64:65], v[4:5], v[40:41]
	v_fmac_f64_e32 v[62:63], v[32:33], v[40:41]
	v_fmac_f64_e32 v[66:67], v[18:19], v[42:43]
	v_fmac_f64_e32 v[64:65], v[6:7], v[42:43]
	v_fmac_f64_e32 v[62:63], v[34:35], v[42:43]
	global_load_dwordx4 v[4:7], v[104:105], off offset:16
	global_load_dwordx4 v[32:35], v[104:105], off offset:96
	;; [unrolled: 1-line block ×4, first 2 shown]
	s_waitcnt vmcnt(4)
	v_fmac_f64_e32 v[66:67], v[84:85], v[28:29]
	v_fmac_f64_e32 v[64:65], v[36:37], v[28:29]
	;; [unrolled: 1-line block ×6, first 2 shown]
	global_load_dwordx4 v[36:39], v[104:105], off offset:2096
	v_fmac_f64_e32 v[62:63], v[78:79], v[30:31]
	global_load_dwordx4 v[76:79], v[104:105], off offset:2080
	v_fmac_f64_e32 v[60:61], v[90:91], v[30:31]
	global_load_dwordx4 v[28:31], v[104:105], off offset:2064
	global_load_dwordx4 v[84:87], v[94:95], off offset:16
	v_sub_co_u32_e32 v88, vcc, v100, v52
	s_waitcnt vmcnt(0)
	v_fmac_f64_e32 v[66:67], v[20:21], v[84:85]
	v_subb_co_u32_e32 v89, vcc, v101, v53, vcc
	v_fmac_f64_e32 v[64:65], v[8:9], v[84:85]
	v_fmac_f64_e32 v[62:63], v[12:13], v[84:85]
	;; [unrolled: 1-line block ×3, first 2 shown]
	v_lshlrev_b64 v[88:89], 5, v[88:89]
	v_fmac_f64_e32 v[66:67], v[22:23], v[86:87]
	global_load_dwordx4 v[20:23], v[104:105], off offset:112
	v_fmac_f64_e32 v[64:65], v[10:11], v[86:87]
	global_load_dwordx4 v[8:11], v[104:105], off offset:2048
	;; [unrolled: 2-line block ×4, first 2 shown]
	global_load_dwordx4 v[84:87], v[92:93], off
	v_lshl_add_u64 v[92:93], s[4:5], 0, v[88:89]
	global_load_dwordx4 v[88:91], v[92:93], off
	v_sub_co_u32_e32 v94, vcc, v102, v52
	s_waitcnt vmcnt(0)
	v_fmac_f64_e32 v[66:67], v[84:85], v[88:89]
	v_subb_co_u32_e32 v95, vcc, v103, v53, vcc
	v_lshlrev_b64 v[94:95], 5, v[94:95]
	v_lshl_add_u64 v[96:97], s[4:5], 0, v[94:95]
	global_load_dwordx4 v[92:95], v[92:93], off offset:16
	v_fmac_f64_e32 v[62:63], v[40:41], v[88:89]
	v_fmac_f64_e32 v[66:67], v[86:87], v[90:91]
	global_load_dwordx4 v[84:87], v[104:105], off offset:2112
	v_fmac_f64_e32 v[62:63], v[42:43], v[90:91]
	global_load_dwordx4 v[40:43], v[96:97], off
	v_fmac_f64_e32 v[64:65], v[80:81], v[88:89]
	v_fmac_f64_e32 v[60:61], v[32:33], v[88:89]
	;; [unrolled: 1-line block ×3, first 2 shown]
	global_load_dwordx4 v[80:83], v[104:105], off offset:2128
	v_fmac_f64_e32 v[60:61], v[34:35], v[90:91]
	global_load_dwordx4 v[32:35], v[96:97], off offset:16
	v_cmp_ge_i64_e32 vcc, v[70:71], v[56:57]
	s_or_b64 s[12:13], vcc, s[12:13]
	s_waitcnt vmcnt(4)
	v_fmac_f64_e32 v[66:67], v[4:5], v[92:93]
	v_fmac_f64_e32 v[64:65], v[24:25], v[92:93]
	v_fmac_f64_e32 v[62:63], v[16:17], v[92:93]
	v_fmac_f64_e32 v[60:61], v[20:21], v[92:93]
	v_fmac_f64_e32 v[66:67], v[6:7], v[94:95]
	v_fmac_f64_e32 v[64:65], v[26:27], v[94:95]
	v_fmac_f64_e32 v[62:63], v[18:19], v[94:95]
	v_fmac_f64_e32 v[60:61], v[22:23], v[94:95]
	s_waitcnt vmcnt(2)
	v_fmac_f64_e32 v[66:67], v[8:9], v[40:41]
	v_fmac_f64_e32 v[64:65], v[76:77], v[40:41]
	v_fmac_f64_e32 v[62:63], v[84:85], v[40:41]
	v_fmac_f64_e32 v[60:61], v[0:1], v[40:41]
	v_fmac_f64_e32 v[66:67], v[10:11], v[42:43]
	v_fmac_f64_e32 v[64:65], v[78:79], v[42:43]
	v_fmac_f64_e32 v[62:63], v[86:87], v[42:43]
	v_fmac_f64_e32 v[60:61], v[2:3], v[42:43]
	;; [unrolled: 9-line block ×3, first 2 shown]
	s_andn2_b64 exec, exec, s[12:13]
	s_cbranch_execnz .LBB47_23
; %bb.24:
	s_or_b64 exec, exec, s[12:13]
.LBB47_25:
	s_or_b64 exec, exec, s[10:11]
.LBB47_26:
	s_or_b64 exec, exec, s[6:7]
	s_cbranch_execz .LBB47_28
	s_branch .LBB47_39
.LBB47_27:
                                        ; implicit-def: $vgpr60_vgpr61
                                        ; implicit-def: $vgpr62_vgpr63
                                        ; implicit-def: $vgpr64_vgpr65
                                        ; implicit-def: $vgpr66_vgpr67
.LBB47_28:
	v_mov_b64_e32 v[60:61], 0
	v_mov_b64_e32 v[62:63], 0
	;; [unrolled: 1-line block ×4, first 2 shown]
	s_and_saveexec_b64 s[6:7], s[2:3]
	s_cbranch_execz .LBB47_38
; %bb.29:
	v_or_b32_e32 v0, 16, v50
	v_sub_co_u32_e32 v0, vcc, v0, v52
	v_not_b32_e32 v3, v69
	s_nop 0
	v_subb_co_u32_e32 v1, vcc, 0, v53, vcc
	v_lshl_add_u64 v[0:1], v[0:1], 0, v[68:69]
	v_cmp_gt_i64_e32 vcc, v[0:1], v[56:57]
	v_not_b32_e32 v2, v68
	v_mov_b64_e32 v[66:67], 0
	v_cndmask_b32_e32 v1, v57, v1, vcc
	v_cndmask_b32_e32 v0, v56, v0, vcc
	v_sub_co_u32_e32 v4, vcc, v52, v50
	v_mov_b64_e32 v[64:65], 0
	s_nop 0
	v_subbrev_co_u32_e32 v5, vcc, 0, v53, vcc
	v_lshl_add_u64 v[2:3], v[4:5], 0, v[2:3]
	v_lshl_add_u64 v[0:1], v[2:3], 0, v[0:1]
	v_and_b32_e32 v2, 48, v0
	v_mov_b32_e32 v3, 0
	v_cmp_ne_u64_e32 vcc, 48, v[2:3]
	v_mov_b64_e32 v[62:63], 0
	v_mov_b64_e32 v[60:61], 0
	s_and_saveexec_b64 s[2:3], vcc
	s_cbranch_execz .LBB47_33
; %bb.30:
	v_lshrrev_b32_e32 v2, 4, v0
	v_add_u32_e32 v2, 1, v2
	v_and_b32_e32 v4, 3, v2
	v_sub_co_u32_e32 v4, vcc, 0, v4
	v_lshl_add_u64 v[2:3], v[54:55], 3, s[8:9]
	s_nop 0
	v_subb_co_u32_e64 v5, s[12:13], 0, 0, vcc
	s_mov_b64 s[10:11], 0
	v_mov_b64_e32 v[60:61], 0
	s_mov_b64 s[12:13], 0x800
	s_mov_b64 s[14:15], 0x80
	v_mov_b64_e32 v[62:63], 0
	v_mov_b64_e32 v[64:65], 0
	;; [unrolled: 1-line block ×3, first 2 shown]
.LBB47_31:                              ; =>This Inner Loop Header: Depth=1
	global_load_dwordx2 v[30:31], v[2:3], off
	global_load_dwordx4 v[6:9], v[58:59], off offset:48
	global_load_dwordx4 v[10:13], v[58:59], off offset:32
	;; [unrolled: 1-line block ×3, first 2 shown]
	global_load_dwordx4 v[18:21], v[58:59], off
	global_load_dwordx4 v[22:25], v[58:59], off offset:80
	global_load_dwordx4 v[26:29], v[58:59], off offset:64
	v_lshl_add_u64 v[4:5], v[4:5], 0, 1
	v_lshl_add_u64 v[54:55], v[54:55], 0, 16
	;; [unrolled: 1-line block ×3, first 2 shown]
	s_waitcnt vmcnt(6)
	v_sub_co_u32_e32 v30, vcc, v30, v52
	s_nop 1
	v_subb_co_u32_e32 v31, vcc, v31, v53, vcc
	v_lshlrev_b64 v[30:31], 5, v[30:31]
	v_lshl_add_u64 v[42:43], s[4:5], 0, v[30:31]
	global_load_dwordx4 v[30:33], v[42:43], off
	global_load_dwordx4 v[34:37], v[42:43], off offset:16
	global_load_dwordx4 v[38:41], v[58:59], off offset:96
	;; [unrolled: 1-line block ×3, first 2 shown]
	v_cmp_eq_u64_e32 vcc, 0, v[4:5]
	v_lshl_add_u64 v[58:59], v[58:59], 0, s[12:13]
	s_or_b64 s[10:11], vcc, s[10:11]
	s_waitcnt vmcnt(3)
	v_fmac_f64_e32 v[66:67], v[18:19], v[30:31]
	v_fmac_f64_e32 v[64:65], v[20:21], v[30:31]
	;; [unrolled: 1-line block ×8, first 2 shown]
	s_waitcnt vmcnt(2)
	v_fmac_f64_e32 v[66:67], v[26:27], v[34:35]
	v_fmac_f64_e32 v[64:65], v[28:29], v[34:35]
	v_fmac_f64_e32 v[62:63], v[22:23], v[34:35]
	v_fmac_f64_e32 v[60:61], v[24:25], v[34:35]
	s_waitcnt vmcnt(1)
	v_fmac_f64_e32 v[66:67], v[38:39], v[36:37]
	v_fmac_f64_e32 v[64:65], v[40:41], v[36:37]
	s_waitcnt vmcnt(0)
	v_fmac_f64_e32 v[62:63], v[68:69], v[36:37]
	v_fmac_f64_e32 v[60:61], v[70:71], v[36:37]
	s_andn2_b64 exec, exec, s[10:11]
	s_cbranch_execnz .LBB47_31
; %bb.32:
	s_or_b64 exec, exec, s[10:11]
.LBB47_33:
	s_or_b64 exec, exec, s[2:3]
	v_cmp_lt_u64_e32 vcc, 47, v[0:1]
	s_and_saveexec_b64 s[2:3], vcc
	s_cbranch_execz .LBB47_37
; %bb.34:
	v_lshl_add_u64 v[0:1], v[54:55], 3, s[8:9]
	s_mov_b64 s[8:9], 0x100
	v_lshl_add_u64 v[36:37], v[0:1], 0, s[8:9]
	s_mov_b64 s[8:9], 0
	s_mov_b64 s[10:11], 0x1000
	s_movk_i32 s16, 0x1000
	s_mov_b64 s[12:13], 0x200
	s_mov_b64 s[14:15], 0x2000
.LBB47_35:                              ; =>This Inner Loop Header: Depth=1
	global_load_dwordx2 v[38:39], v[36:37], off offset:-256
	global_load_dwordx4 v[0:3], v[58:59], off offset:48
	global_load_dwordx4 v[4:7], v[58:59], off offset:32
	;; [unrolled: 1-line block ×3, first 2 shown]
	global_load_dwordx4 v[16:19], v[58:59], off
	global_load_dwordx4 v[12:15], v[58:59], off offset:112
	global_load_dwordx4 v[20:23], v[58:59], off offset:96
	global_load_dwordx4 v[28:31], v[58:59], off offset:80
	global_load_dwordx4 v[40:43], v[58:59], off offset:64
	global_load_dwordx4 v[24:27], v[58:59], off offset:2096
	global_load_dwordx4 v[32:35], v[58:59], off offset:2080
	global_load_dwordx4 v[68:71], v[58:59], off offset:2064
	global_load_dwordx2 v[80:81], v[36:37], off offset:-128
	global_load_dwordx2 v[82:83], v[36:37], off
	global_load_dwordx2 v[84:85], v[36:37], off offset:128
	v_lshl_add_u64 v[54:55], v[54:55], 0, 64
	v_lshl_add_u64 v[36:37], v[36:37], 0, s[12:13]
	s_waitcnt vmcnt(14)
	v_sub_co_u32_e32 v38, vcc, v38, v52
	s_nop 1
	v_subb_co_u32_e32 v39, vcc, v39, v53, vcc
	v_lshlrev_b64 v[38:39], 5, v[38:39]
	v_lshl_add_u64 v[38:39], s[4:5], 0, v[38:39]
	global_load_dwordx4 v[72:75], v[38:39], off
	s_waitcnt vmcnt(0)
	v_fmac_f64_e32 v[66:67], v[16:17], v[72:73]
	v_fmac_f64_e32 v[64:65], v[18:19], v[72:73]
	;; [unrolled: 1-line block ×4, first 2 shown]
	global_load_dwordx4 v[16:19], v[58:59], off offset:2048
	global_load_dwordx4 v[8:11], v[58:59], off offset:2160
	v_fmac_f64_e32 v[66:67], v[4:5], v[74:75]
	v_fmac_f64_e32 v[64:65], v[6:7], v[74:75]
	global_load_dwordx4 v[4:7], v[58:59], off offset:2144
	v_fmac_f64_e32 v[62:63], v[0:1], v[74:75]
	v_fmac_f64_e32 v[60:61], v[2:3], v[74:75]
	global_load_dwordx4 v[0:3], v[58:59], off offset:2128
	global_load_dwordx4 v[72:75], v[58:59], off offset:2112
	;; [unrolled: 1-line block ×3, first 2 shown]
	v_add_co_u32_e32 v38, vcc, s16, v58
	s_waitcnt vmcnt(0)
	v_fmac_f64_e32 v[64:65], v[42:43], v[76:77]
	v_lshl_add_u64 v[42:43], v[58:59], 0, s[10:11]
	v_addc_co_u32_e32 v39, vcc, 0, v59, vcc
	v_fmac_f64_e32 v[62:63], v[28:29], v[76:77]
	v_fmac_f64_e32 v[60:61], v[30:31], v[76:77]
	global_load_dwordx4 v[28:31], v[38:39], off
	v_fmac_f64_e32 v[62:63], v[12:13], v[78:79]
	v_fmac_f64_e32 v[60:61], v[14:15], v[78:79]
	global_load_dwordx4 v[12:15], v[42:43], off offset:16
	v_sub_co_u32_e32 v38, vcc, v80, v52
	v_fmac_f64_e32 v[66:67], v[40:41], v[76:77]
	s_nop 0
	v_subb_co_u32_e32 v39, vcc, v81, v53, vcc
	v_lshlrev_b64 v[38:39], 5, v[38:39]
	v_lshl_add_u64 v[80:81], s[4:5], 0, v[38:39]
	global_load_dwordx4 v[38:41], v[80:81], off
	v_fmac_f64_e32 v[66:67], v[20:21], v[78:79]
	v_fmac_f64_e32 v[64:65], v[22:23], v[78:79]
	global_load_dwordx4 v[20:23], v[42:43], off offset:32
	v_lshl_add_u64 v[58:59], v[58:59], 0, s[14:15]
	s_waitcnt vmcnt(1)
	v_fmac_f64_e32 v[66:67], v[16:17], v[38:39]
	v_fmac_f64_e32 v[64:65], v[18:19], v[38:39]
	;; [unrolled: 1-line block ×4, first 2 shown]
	global_load_dwordx4 v[16:19], v[42:43], off offset:112
	global_load_dwordx4 v[68:71], v[42:43], off offset:96
	v_fmac_f64_e32 v[66:67], v[32:33], v[40:41]
	v_fmac_f64_e32 v[64:65], v[34:35], v[40:41]
	global_load_dwordx4 v[32:35], v[42:43], off offset:80
	v_fmac_f64_e32 v[62:63], v[24:25], v[40:41]
	v_fmac_f64_e32 v[60:61], v[26:27], v[40:41]
	global_load_dwordx4 v[24:27], v[42:43], off offset:48
	global_load_dwordx4 v[38:41], v[42:43], off offset:64
	;; [unrolled: 1-line block ×3, first 2 shown]
	s_waitcnt vmcnt(0)
	v_fmac_f64_e32 v[66:67], v[72:73], v[76:77]
	v_fmac_f64_e32 v[64:65], v[74:75], v[76:77]
	;; [unrolled: 1-line block ×4, first 2 shown]
	v_sub_co_u32_e32 v76, vcc, v82, v52
	v_fmac_f64_e32 v[66:67], v[4:5], v[78:79]
	s_nop 0
	v_subb_co_u32_e32 v77, vcc, v83, v53, vcc
	v_sub_co_u32_e32 v80, vcc, v84, v52
	v_lshlrev_b64 v[76:77], 5, v[76:77]
	s_nop 0
	v_subb_co_u32_e32 v81, vcc, v85, v53, vcc
	v_lshl_add_u64 v[84:85], s[4:5], 0, v[76:77]
	v_fmac_f64_e32 v[64:65], v[6:7], v[78:79]
	v_fmac_f64_e32 v[62:63], v[8:9], v[78:79]
	v_fmac_f64_e32 v[60:61], v[10:11], v[78:79]
	global_load_dwordx4 v[76:79], v[84:85], off
	global_load_dwordx4 v[72:75], v[42:43], off offset:2096
	global_load_dwordx4 v[0:3], v[42:43], off offset:2080
	;; [unrolled: 1-line block ×4, first 2 shown]
	v_cmp_ge_i64_e32 vcc, v[54:55], v[56:57]
	s_or_b64 s[8:9], vcc, s[8:9]
	s_waitcnt vmcnt(4)
	v_fmac_f64_e32 v[66:67], v[28:29], v[76:77]
	v_fmac_f64_e32 v[64:65], v[30:31], v[76:77]
	;; [unrolled: 1-line block ×4, first 2 shown]
	v_lshlrev_b64 v[76:77], 5, v[80:81]
	global_load_dwordx4 v[28:31], v[42:43], off offset:2048
	global_load_dwordx4 v[12:15], v[42:43], off offset:2128
	v_fmac_f64_e32 v[66:67], v[20:21], v[78:79]
	v_fmac_f64_e32 v[64:65], v[22:23], v[78:79]
	global_load_dwordx4 v[20:23], v[42:43], off offset:2112
	v_lshl_add_u64 v[86:87], s[4:5], 0, v[76:77]
	v_fmac_f64_e32 v[62:63], v[24:25], v[78:79]
	v_fmac_f64_e32 v[60:61], v[26:27], v[78:79]
	global_load_dwordx4 v[24:27], v[84:85], off offset:16
	global_load_dwordx4 v[76:79], v[86:87], off
	global_load_dwordx4 v[80:83], v[86:87], off offset:16
	s_waitcnt vmcnt(2)
	v_fmac_f64_e32 v[66:67], v[38:39], v[24:25]
	v_fmac_f64_e32 v[64:65], v[40:41], v[24:25]
	global_load_dwordx4 v[38:41], v[42:43], off offset:2144
	v_fmac_f64_e32 v[62:63], v[32:33], v[24:25]
	v_fmac_f64_e32 v[60:61], v[34:35], v[24:25]
	;; [unrolled: 1-line block ×6, first 2 shown]
	s_waitcnt vmcnt(2)
	v_fmac_f64_e32 v[66:67], v[28:29], v[76:77]
	v_fmac_f64_e32 v[64:65], v[30:31], v[76:77]
	;; [unrolled: 1-line block ×8, first 2 shown]
	s_waitcnt vmcnt(1)
	v_fmac_f64_e32 v[66:67], v[20:21], v[80:81]
	v_fmac_f64_e32 v[64:65], v[22:23], v[80:81]
	;; [unrolled: 1-line block ×6, first 2 shown]
	s_waitcnt vmcnt(0)
	v_fmac_f64_e32 v[66:67], v[38:39], v[82:83]
	v_fmac_f64_e32 v[64:65], v[40:41], v[82:83]
	s_andn2_b64 exec, exec, s[8:9]
	s_cbranch_execnz .LBB47_35
; %bb.36:
	s_or_b64 exec, exec, s[8:9]
.LBB47_37:
	s_or_b64 exec, exec, s[2:3]
.LBB47_38:
	s_or_b64 exec, exec, s[6:7]
.LBB47_39:
	v_mov_b32_dpp v0, v66 row_shr:1 row_mask:0xf bank_mask:0xf
	v_mov_b32_dpp v1, v67 row_shr:1 row_mask:0xf bank_mask:0xf
	v_mov_b32_dpp v4, v64 row_shr:1 row_mask:0xf bank_mask:0xf
	v_mov_b32_dpp v5, v65 row_shr:1 row_mask:0xf bank_mask:0xf
	v_mov_b32_dpp v8, v62 row_shr:1 row_mask:0xf bank_mask:0xf
	v_mov_b32_dpp v9, v63 row_shr:1 row_mask:0xf bank_mask:0xf
	v_mov_b32_dpp v12, v60 row_shr:1 row_mask:0xf bank_mask:0xf
	v_mov_b32_dpp v13, v61 row_shr:1 row_mask:0xf bank_mask:0xf
	v_add_f64 v[0:1], v[66:67], v[0:1]
	v_add_f64 v[4:5], v[64:65], v[4:5]
	v_add_f64 v[8:9], v[62:63], v[8:9]
	v_add_f64 v[12:13], v[60:61], v[12:13]
	v_mov_b32_dpp v2, v0 row_shr:2 row_mask:0xf bank_mask:0xf
	v_mov_b32_dpp v3, v1 row_shr:2 row_mask:0xf bank_mask:0xf
	v_mov_b32_dpp v6, v4 row_shr:2 row_mask:0xf bank_mask:0xf
	v_mov_b32_dpp v7, v5 row_shr:2 row_mask:0xf bank_mask:0xf
	v_mov_b32_dpp v10, v8 row_shr:2 row_mask:0xf bank_mask:0xf
	v_mov_b32_dpp v11, v9 row_shr:2 row_mask:0xf bank_mask:0xf
	v_mov_b32_dpp v14, v12 row_shr:2 row_mask:0xf bank_mask:0xf
	v_mov_b32_dpp v15, v13 row_shr:2 row_mask:0xf bank_mask:0xf
	v_add_f64 v[0:1], v[0:1], v[2:3]
	v_add_f64 v[4:5], v[4:5], v[6:7]
	v_add_f64 v[8:9], v[8:9], v[10:11]
	v_add_f64 v[12:13], v[12:13], v[14:15]
	;; [unrolled: 12-line block ×3, first 2 shown]
	v_mov_b32_dpp v2, v0 row_shr:8 row_mask:0xf bank_mask:0xc
	v_mov_b32_dpp v3, v1 row_shr:8 row_mask:0xf bank_mask:0xc
	v_mov_b32_dpp v6, v4 row_shr:8 row_mask:0xf bank_mask:0xc
	v_mov_b32_dpp v7, v5 row_shr:8 row_mask:0xf bank_mask:0xc
	v_mov_b32_dpp v10, v8 row_shr:8 row_mask:0xf bank_mask:0xc
	v_mov_b32_dpp v11, v9 row_shr:8 row_mask:0xf bank_mask:0xc
	v_mov_b32_dpp v14, v12 row_shr:8 row_mask:0xf bank_mask:0xc
	v_mov_b32_dpp v15, v13 row_shr:8 row_mask:0xf bank_mask:0xc
	v_cmp_eq_u32_e32 vcc, 15, v50
	s_and_b64 exec, exec, vcc
	s_cbranch_execz .LBB47_10
; %bb.40:
	s_load_dwordx2 s[0:1], s[0:1], 0x58
	v_add_f64 v[0:1], v[0:1], v[2:3]
	v_add_f64 v[2:3], v[4:5], v[6:7]
	;; [unrolled: 1-line block ×4, first 2 shown]
	v_cmp_eq_f64_e32 vcc, 0, v[44:45]
	v_mul_f64 v[4:5], v[46:47], v[0:1]
	v_mul_f64 v[6:7], v[46:47], v[2:3]
	;; [unrolled: 1-line block ×4, first 2 shown]
	v_lshlrev_b64 v[8:9], 5, v[48:49]
	s_and_saveexec_b64 s[2:3], vcc
	s_xor_b64 s[2:3], exec, s[2:3]
	s_cbranch_execz .LBB47_42
; %bb.41:
	s_waitcnt lgkmcnt(0)
	v_lshl_add_u64 v[8:9], s[0:1], 0, v[8:9]
	global_store_dwordx4 v[8:9], v[4:7], off
	global_store_dwordx4 v[8:9], v[0:3], off offset:16
                                        ; implicit-def: $vgpr8_vgpr9
                                        ; implicit-def: $vgpr44_vgpr45
                                        ; implicit-def: $vgpr4_vgpr5
                                        ; implicit-def: $vgpr0_vgpr1
.LBB47_42:
	s_andn2_saveexec_b64 s[2:3], s[2:3]
	s_cbranch_execz .LBB47_10
; %bb.43:
	s_waitcnt lgkmcnt(0)
	v_lshl_add_u64 v[16:17], s[0:1], 0, v[8:9]
	global_load_dwordx4 v[8:11], v[16:17], off
	global_load_dwordx4 v[12:15], v[16:17], off offset:16
	s_waitcnt vmcnt(1)
	v_fmac_f64_e32 v[4:5], v[44:45], v[8:9]
	v_fmac_f64_e32 v[6:7], v[44:45], v[10:11]
	s_waitcnt vmcnt(0)
	v_fmac_f64_e32 v[0:1], v[44:45], v[12:13]
	v_fmac_f64_e32 v[2:3], v[44:45], v[14:15]
	global_store_dwordx4 v[16:17], v[4:7], off
	global_store_dwordx4 v[16:17], v[0:3], off offset:16
	s_endpgm
	.section	.rodata,"a",@progbits
	.p2align	6, 0x0
	.amdhsa_kernel _ZN9rocsparseL18bsrxmvn_4x4_kernelILj128ELj16EdlldddEEvT3_20rocsparse_direction_NS_24const_host_device_scalarIT1_EES1_PKS1_PKT2_SA_S7_PKT4_PKT5_S5_PT6_21rocsparse_index_base_b
		.amdhsa_group_segment_fixed_size 0
		.amdhsa_private_segment_fixed_size 0
		.amdhsa_kernarg_size 104
		.amdhsa_user_sgpr_count 2
		.amdhsa_user_sgpr_dispatch_ptr 0
		.amdhsa_user_sgpr_queue_ptr 0
		.amdhsa_user_sgpr_kernarg_segment_ptr 1
		.amdhsa_user_sgpr_dispatch_id 0
		.amdhsa_user_sgpr_kernarg_preload_length 0
		.amdhsa_user_sgpr_kernarg_preload_offset 0
		.amdhsa_user_sgpr_private_segment_size 0
		.amdhsa_uses_dynamic_stack 0
		.amdhsa_enable_private_segment 0
		.amdhsa_system_sgpr_workgroup_id_x 1
		.amdhsa_system_sgpr_workgroup_id_y 0
		.amdhsa_system_sgpr_workgroup_id_z 0
		.amdhsa_system_sgpr_workgroup_info 0
		.amdhsa_system_vgpr_workitem_id 0
		.amdhsa_next_free_vgpr 106
		.amdhsa_next_free_sgpr 21
		.amdhsa_accum_offset 108
		.amdhsa_reserve_vcc 1
		.amdhsa_float_round_mode_32 0
		.amdhsa_float_round_mode_16_64 0
		.amdhsa_float_denorm_mode_32 3
		.amdhsa_float_denorm_mode_16_64 3
		.amdhsa_dx10_clamp 1
		.amdhsa_ieee_mode 1
		.amdhsa_fp16_overflow 0
		.amdhsa_tg_split 0
		.amdhsa_exception_fp_ieee_invalid_op 0
		.amdhsa_exception_fp_denorm_src 0
		.amdhsa_exception_fp_ieee_div_zero 0
		.amdhsa_exception_fp_ieee_overflow 0
		.amdhsa_exception_fp_ieee_underflow 0
		.amdhsa_exception_fp_ieee_inexact 0
		.amdhsa_exception_int_div_zero 0
	.end_amdhsa_kernel
	.section	.text._ZN9rocsparseL18bsrxmvn_4x4_kernelILj128ELj16EdlldddEEvT3_20rocsparse_direction_NS_24const_host_device_scalarIT1_EES1_PKS1_PKT2_SA_S7_PKT4_PKT5_S5_PT6_21rocsparse_index_base_b,"axG",@progbits,_ZN9rocsparseL18bsrxmvn_4x4_kernelILj128ELj16EdlldddEEvT3_20rocsparse_direction_NS_24const_host_device_scalarIT1_EES1_PKS1_PKT2_SA_S7_PKT4_PKT5_S5_PT6_21rocsparse_index_base_b,comdat
.Lfunc_end47:
	.size	_ZN9rocsparseL18bsrxmvn_4x4_kernelILj128ELj16EdlldddEEvT3_20rocsparse_direction_NS_24const_host_device_scalarIT1_EES1_PKS1_PKT2_SA_S7_PKT4_PKT5_S5_PT6_21rocsparse_index_base_b, .Lfunc_end47-_ZN9rocsparseL18bsrxmvn_4x4_kernelILj128ELj16EdlldddEEvT3_20rocsparse_direction_NS_24const_host_device_scalarIT1_EES1_PKS1_PKT2_SA_S7_PKT4_PKT5_S5_PT6_21rocsparse_index_base_b
                                        ; -- End function
	.set _ZN9rocsparseL18bsrxmvn_4x4_kernelILj128ELj16EdlldddEEvT3_20rocsparse_direction_NS_24const_host_device_scalarIT1_EES1_PKS1_PKT2_SA_S7_PKT4_PKT5_S5_PT6_21rocsparse_index_base_b.num_vgpr, 106
	.set _ZN9rocsparseL18bsrxmvn_4x4_kernelILj128ELj16EdlldddEEvT3_20rocsparse_direction_NS_24const_host_device_scalarIT1_EES1_PKS1_PKT2_SA_S7_PKT4_PKT5_S5_PT6_21rocsparse_index_base_b.num_agpr, 0
	.set _ZN9rocsparseL18bsrxmvn_4x4_kernelILj128ELj16EdlldddEEvT3_20rocsparse_direction_NS_24const_host_device_scalarIT1_EES1_PKS1_PKT2_SA_S7_PKT4_PKT5_S5_PT6_21rocsparse_index_base_b.numbered_sgpr, 21
	.set _ZN9rocsparseL18bsrxmvn_4x4_kernelILj128ELj16EdlldddEEvT3_20rocsparse_direction_NS_24const_host_device_scalarIT1_EES1_PKS1_PKT2_SA_S7_PKT4_PKT5_S5_PT6_21rocsparse_index_base_b.num_named_barrier, 0
	.set _ZN9rocsparseL18bsrxmvn_4x4_kernelILj128ELj16EdlldddEEvT3_20rocsparse_direction_NS_24const_host_device_scalarIT1_EES1_PKS1_PKT2_SA_S7_PKT4_PKT5_S5_PT6_21rocsparse_index_base_b.private_seg_size, 0
	.set _ZN9rocsparseL18bsrxmvn_4x4_kernelILj128ELj16EdlldddEEvT3_20rocsparse_direction_NS_24const_host_device_scalarIT1_EES1_PKS1_PKT2_SA_S7_PKT4_PKT5_S5_PT6_21rocsparse_index_base_b.uses_vcc, 1
	.set _ZN9rocsparseL18bsrxmvn_4x4_kernelILj128ELj16EdlldddEEvT3_20rocsparse_direction_NS_24const_host_device_scalarIT1_EES1_PKS1_PKT2_SA_S7_PKT4_PKT5_S5_PT6_21rocsparse_index_base_b.uses_flat_scratch, 0
	.set _ZN9rocsparseL18bsrxmvn_4x4_kernelILj128ELj16EdlldddEEvT3_20rocsparse_direction_NS_24const_host_device_scalarIT1_EES1_PKS1_PKT2_SA_S7_PKT4_PKT5_S5_PT6_21rocsparse_index_base_b.has_dyn_sized_stack, 0
	.set _ZN9rocsparseL18bsrxmvn_4x4_kernelILj128ELj16EdlldddEEvT3_20rocsparse_direction_NS_24const_host_device_scalarIT1_EES1_PKS1_PKT2_SA_S7_PKT4_PKT5_S5_PT6_21rocsparse_index_base_b.has_recursion, 0
	.set _ZN9rocsparseL18bsrxmvn_4x4_kernelILj128ELj16EdlldddEEvT3_20rocsparse_direction_NS_24const_host_device_scalarIT1_EES1_PKS1_PKT2_SA_S7_PKT4_PKT5_S5_PT6_21rocsparse_index_base_b.has_indirect_call, 0
	.section	.AMDGPU.csdata,"",@progbits
; Kernel info:
; codeLenInByte = 3756
; TotalNumSgprs: 27
; NumVgprs: 106
; NumAgprs: 0
; TotalNumVgprs: 106
; ScratchSize: 0
; MemoryBound: 1
; FloatMode: 240
; IeeeMode: 1
; LDSByteSize: 0 bytes/workgroup (compile time only)
; SGPRBlocks: 3
; VGPRBlocks: 13
; NumSGPRsForWavesPerEU: 27
; NumVGPRsForWavesPerEU: 106
; AccumOffset: 108
; Occupancy: 4
; WaveLimiterHint : 1
; COMPUTE_PGM_RSRC2:SCRATCH_EN: 0
; COMPUTE_PGM_RSRC2:USER_SGPR: 2
; COMPUTE_PGM_RSRC2:TRAP_HANDLER: 0
; COMPUTE_PGM_RSRC2:TGID_X_EN: 1
; COMPUTE_PGM_RSRC2:TGID_Y_EN: 0
; COMPUTE_PGM_RSRC2:TGID_Z_EN: 0
; COMPUTE_PGM_RSRC2:TIDIG_COMP_CNT: 0
; COMPUTE_PGM_RSRC3_GFX90A:ACCUM_OFFSET: 26
; COMPUTE_PGM_RSRC3_GFX90A:TG_SPLIT: 0
	.section	.text._ZN9rocsparseL18bsrxmvn_4x4_kernelILj128ELj32EdlldddEEvT3_20rocsparse_direction_NS_24const_host_device_scalarIT1_EES1_PKS1_PKT2_SA_S7_PKT4_PKT5_S5_PT6_21rocsparse_index_base_b,"axG",@progbits,_ZN9rocsparseL18bsrxmvn_4x4_kernelILj128ELj32EdlldddEEvT3_20rocsparse_direction_NS_24const_host_device_scalarIT1_EES1_PKS1_PKT2_SA_S7_PKT4_PKT5_S5_PT6_21rocsparse_index_base_b,comdat
	.globl	_ZN9rocsparseL18bsrxmvn_4x4_kernelILj128ELj32EdlldddEEvT3_20rocsparse_direction_NS_24const_host_device_scalarIT1_EES1_PKS1_PKT2_SA_S7_PKT4_PKT5_S5_PT6_21rocsparse_index_base_b ; -- Begin function _ZN9rocsparseL18bsrxmvn_4x4_kernelILj128ELj32EdlldddEEvT3_20rocsparse_direction_NS_24const_host_device_scalarIT1_EES1_PKS1_PKT2_SA_S7_PKT4_PKT5_S5_PT6_21rocsparse_index_base_b
	.p2align	8
	.type	_ZN9rocsparseL18bsrxmvn_4x4_kernelILj128ELj32EdlldddEEvT3_20rocsparse_direction_NS_24const_host_device_scalarIT1_EES1_PKS1_PKT2_SA_S7_PKT4_PKT5_S5_PT6_21rocsparse_index_base_b,@function
_ZN9rocsparseL18bsrxmvn_4x4_kernelILj128ELj32EdlldddEEvT3_20rocsparse_direction_NS_24const_host_device_scalarIT1_EES1_PKS1_PKT2_SA_S7_PKT4_PKT5_S5_PT6_21rocsparse_index_base_b: ; @_ZN9rocsparseL18bsrxmvn_4x4_kernelILj128ELj32EdlldddEEvT3_20rocsparse_direction_NS_24const_host_device_scalarIT1_EES1_PKS1_PKT2_SA_S7_PKT4_PKT5_S5_PT6_21rocsparse_index_base_b
; %bb.0:
	s_load_dwordx2 s[8:9], s[0:1], 0x60
	s_load_dwordx4 s[4:7], s[0:1], 0x10
	s_load_dwordx2 s[10:11], s[0:1], 0x50
	s_waitcnt lgkmcnt(0)
	s_bitcmp1_b32 s9, 0
	s_cselect_b64 s[14:15], -1, 0
	s_xor_b64 s[12:13], s[14:15], -1
	s_and_b64 vcc, exec, s[14:15]
	v_mov_b64_e32 v[34:35], s[4:5]
	s_cbranch_vccnz .LBB48_2
; %bb.1:
	v_mov_b64_e32 v[2:3], s[4:5]
	flat_load_dwordx2 v[34:35], v[2:3]
.LBB48_2:
	s_andn2_b64 vcc, exec, s[12:13]
	v_mov_b64_e32 v[32:33], s[10:11]
	s_cbranch_vccnz .LBB48_4
; %bb.3:
	v_mov_b64_e32 v[2:3], s[10:11]
	flat_load_dwordx2 v[32:33], v[2:3]
.LBB48_4:
	s_waitcnt vmcnt(0) lgkmcnt(0)
	v_cmp_neq_f64_e32 vcc, 0, v[34:35]
	v_cmp_neq_f64_e64 s[4:5], 1.0, v[32:33]
	s_mov_b64 s[10:11], 0
	s_or_b64 s[4:5], vcc, s[4:5]
	s_and_saveexec_b64 s[12:13], s[4:5]
	s_cbranch_execz .LBB48_10
; %bb.5:
	s_load_dwordx2 s[4:5], s[0:1], 0x20
	v_lshrrev_b32_e32 v1, 5, v0
	v_lshl_or_b32 v2, s2, 2, v1
	v_mov_b32_e32 v3, 0
	s_mov_b64 s[2:3], 0
	s_waitcnt lgkmcnt(0)
	s_cmp_lg_u64 s[4:5], 0
	s_cbranch_scc0 .LBB48_11
; %bb.6:
	v_cmp_gt_i64_e32 vcc, s[6:7], v[2:3]
                                        ; implicit-def: $vgpr36_vgpr37
                                        ; implicit-def: $vgpr40_vgpr41
	s_and_saveexec_b64 s[6:7], vcc
	s_xor_b64 s[6:7], exec, s[6:7]
	s_cbranch_execz .LBB48_8
; %bb.7:
	v_lshl_add_u64 v[4:5], v[2:3], 3, s[4:5]
	global_load_dwordx2 v[4:5], v[4:5], off
	s_mov_b32 s9, 0
	s_mov_b64 s[2:3], exec
	v_mov_b64_e32 v[40:41], s[8:9]
	s_waitcnt vmcnt(0)
	v_subrev_co_u32_e32 v36, vcc, s8, v4
	s_nop 1
	v_subbrev_co_u32_e32 v37, vcc, 0, v5, vcc
.LBB48_8:
	s_or_b64 exec, exec, s[6:7]
	s_mov_b64 s[10:11], s[2:3]
.LBB48_9:
	s_and_b64 exec, exec, s[10:11]
	s_cbranch_execnz .LBB48_15
.LBB48_10:
	s_endpgm
.LBB48_11:
                                        ; implicit-def: $vgpr36_vgpr37
                                        ; implicit-def: $vgpr40_vgpr41
	s_cbranch_execz .LBB48_9
; %bb.12:
	s_load_dwordx2 s[2:3], s[0:1], 0x0
	s_waitcnt lgkmcnt(0)
	v_cmp_gt_i64_e32 vcc, s[2:3], v[2:3]
	s_and_saveexec_b64 s[2:3], vcc
; %bb.13:
	s_mov_b32 s9, 0
	s_or_b64 s[10:11], s[10:11], exec
; %bb.14:
	s_or_b64 exec, exec, s[2:3]
	v_mov_b64_e32 v[40:41], s[8:9]
	v_mov_b64_e32 v[36:37], v[2:3]
	s_and_b64 exec, exec, s[10:11]
	s_cbranch_execz .LBB48_10
.LBB48_15:
	s_load_dwordx8 s[4:11], s[0:1], 0x28
	v_lshlrev_b64 v[2:3], 3, v[36:37]
	v_and_b32_e32 v38, 31, v0
	v_mov_b32_e32 v39, 0
	s_waitcnt lgkmcnt(0)
	v_lshl_add_u64 v[4:5], s[4:5], 0, v[2:3]
	s_cmp_eq_u64 s[6:7], 0
	v_lshl_add_u64 v[2:3], s[6:7], 0, v[2:3]
	global_load_dwordx2 v[56:57], v[4:5], off
	v_lshl_add_u64 v[4:5], v[4:5], 0, 8
	s_cselect_b64 vcc, -1, 0
	v_cndmask_b32_e32 v3, v3, v5, vcc
	v_cndmask_b32_e32 v2, v2, v4, vcc
	global_load_dwordx2 v[2:3], v[2:3], off
	s_load_dword s2, s[0:1], 0x8
	s_load_dwordx2 s[6:7], s[0:1], 0x48
	s_waitcnt lgkmcnt(0)
	s_cmp_eq_u32 s2, 1
	s_waitcnt vmcnt(1)
	v_sub_co_u32_e32 v0, vcc, v56, v40
	s_nop 1
	v_subb_co_u32_e32 v1, vcc, v57, v41, vcc
	v_lshl_add_u64 v[44:45], v[0:1], 0, v[38:39]
	s_waitcnt vmcnt(0)
	v_sub_co_u32_e32 v46, vcc, v2, v40
	v_lshlrev_b64 v[0:1], 7, v[44:45]
	s_nop 0
	v_subb_co_u32_e32 v47, vcc, v3, v41, vcc
	v_lshl_add_u64 v[48:49], s[10:11], 0, v[0:1]
	v_cmp_lt_i64_e64 s[2:3], v[44:45], v[46:47]
	s_cbranch_scc1 .LBB48_27
; %bb.16:
	v_mov_b64_e32 v[42:43], 0
	v_mov_b64_e32 v[50:51], 0
	;; [unrolled: 1-line block ×4, first 2 shown]
	s_and_saveexec_b64 s[10:11], s[2:3]
	s_cbranch_execz .LBB48_26
; %bb.17:
	v_or_b32_e32 v0, 32, v38
	v_sub_co_u32_e32 v0, vcc, v0, v40
	v_not_b32_e32 v3, v57
	s_nop 0
	v_subb_co_u32_e32 v1, vcc, 0, v41, vcc
	v_lshl_add_u64 v[0:1], v[0:1], 0, v[56:57]
	v_cmp_gt_i64_e32 vcc, v[0:1], v[46:47]
	v_not_b32_e32 v2, v56
	s_mov_b64 s[4:5], 0x60
	v_cndmask_b32_e32 v1, v47, v1, vcc
	v_cndmask_b32_e32 v0, v46, v0, vcc
	v_sub_co_u32_e32 v4, vcc, v40, v38
	v_mov_b64_e32 v[54:55], 0
	s_nop 0
	v_subbrev_co_u32_e32 v5, vcc, 0, v41, vcc
	v_lshl_add_u64 v[2:3], v[4:5], 0, v[2:3]
	v_lshl_add_u64 v[0:1], v[2:3], 0, v[0:1]
	v_and_b32_e32 v2, 0x60, v0
	v_mov_b32_e32 v3, 0
	v_cmp_ne_u64_e32 vcc, s[4:5], v[2:3]
	v_mov_b64_e32 v[52:53], 0
	v_mov_b64_e32 v[50:51], 0
	;; [unrolled: 1-line block ×5, first 2 shown]
	s_and_saveexec_b64 s[4:5], vcc
	s_cbranch_execz .LBB48_21
; %bb.18:
	v_lshrrev_b32_e32 v2, 5, v0
	v_add_u32_e32 v2, 1, v2
	v_and_b32_e32 v4, 3, v2
	v_sub_co_u32_e32 v4, vcc, 0, v4
	v_lshl_add_u64 v[2:3], v[44:45], 3, s[8:9]
	s_nop 0
	v_subb_co_u32_e64 v5, s[14:15], 0, 0, vcc
	s_mov_b64 s[12:13], 0
	v_mov_b64_e32 v[42:43], 0
	s_mov_b64 s[14:15], 0x1000
	s_mov_b64 s[16:17], 0x100
	v_mov_b64_e32 v[60:61], v[48:49]
	v_mov_b64_e32 v[58:59], v[44:45]
	;; [unrolled: 1-line block ×5, first 2 shown]
.LBB48_19:                              ; =>This Inner Loop Header: Depth=1
	global_load_dwordx2 v[30:31], v[2:3], off
	global_load_dwordx4 v[6:9], v[60:61], off offset:48
	global_load_dwordx4 v[10:13], v[60:61], off offset:32
	;; [unrolled: 1-line block ×3, first 2 shown]
	global_load_dwordx4 v[18:21], v[60:61], off
	global_load_dwordx4 v[22:25], v[60:61], off offset:112
	global_load_dwordx4 v[26:29], v[60:61], off offset:96
	;; [unrolled: 1-line block ×4, first 2 shown]
	v_lshl_add_u64 v[4:5], v[4:5], 0, 1
	v_lshl_add_u64 v[60:61], v[60:61], 0, s[14:15]
	;; [unrolled: 1-line block ×4, first 2 shown]
	s_waitcnt vmcnt(8)
	v_sub_co_u32_e32 v30, vcc, v30, v40
	s_nop 1
	v_subb_co_u32_e32 v31, vcc, v31, v41, vcc
	v_lshlrev_b64 v[30:31], 5, v[30:31]
	v_lshl_add_u64 v[30:31], s[6:7], 0, v[30:31]
	global_load_dwordx4 v[70:73], v[30:31], off
	global_load_dwordx4 v[74:77], v[30:31], off offset:16
	v_cmp_eq_u64_e32 vcc, 0, v[4:5]
	s_or_b64 s[12:13], vcc, s[12:13]
	s_waitcnt vmcnt(1)
	v_fmac_f64_e32 v[54:55], v[18:19], v[70:71]
	v_fmac_f64_e32 v[52:53], v[10:11], v[70:71]
	v_fmac_f64_e32 v[50:51], v[66:67], v[70:71]
	v_fmac_f64_e32 v[42:43], v[26:27], v[70:71]
	v_fmac_f64_e32 v[54:55], v[20:21], v[72:73]
	v_fmac_f64_e32 v[52:53], v[12:13], v[72:73]
	v_fmac_f64_e32 v[50:51], v[68:69], v[72:73]
	v_fmac_f64_e32 v[42:43], v[28:29], v[72:73]
	s_waitcnt vmcnt(0)
	v_fmac_f64_e32 v[54:55], v[14:15], v[74:75]
	v_fmac_f64_e32 v[52:53], v[6:7], v[74:75]
	;; [unrolled: 1-line block ×8, first 2 shown]
	s_andn2_b64 exec, exec, s[12:13]
	s_cbranch_execnz .LBB48_19
; %bb.20:
	s_or_b64 exec, exec, s[12:13]
.LBB48_21:
	s_or_b64 exec, exec, s[4:5]
	s_mov_b64 s[4:5], 0x5f
	v_cmp_lt_u64_e32 vcc, s[4:5], v[0:1]
	s_and_saveexec_b64 s[12:13], vcc
	s_cbranch_execz .LBB48_25
; %bb.22:
	v_lshl_add_u64 v[0:1], v[58:59], 3, s[8:9]
	s_mov_b64 s[4:5], 0x200
	v_lshl_add_u64 v[62:63], v[0:1], 0, s[4:5]
	s_mov_b64 s[14:15], 0
	s_mov_b64 s[16:17], 0x1000
	;; [unrolled: 1-line block ×3, first 2 shown]
	s_movk_i32 s28, 0x2000
	s_mov_b64 s[20:21], 0x3000
	s_movk_i32 s29, 0x3000
	s_mov_b64 s[22:23], 0x80
	s_mov_b64 s[24:25], 0x400
	;; [unrolled: 1-line block ×3, first 2 shown]
.LBB48_23:                              ; =>This Inner Loop Header: Depth=1
	global_load_dwordx2 v[68:69], v[62:63], off offset:-512
	global_load_dwordx4 v[0:3], v[60:61], off offset:48
	global_load_dwordx4 v[8:11], v[60:61], off offset:32
	;; [unrolled: 1-line block ×3, first 2 shown]
	global_load_dwordx4 v[16:19], v[60:61], off
	global_load_dwordx4 v[12:15], v[60:61], off offset:112
	global_load_dwordx4 v[24:27], v[60:61], off offset:96
	;; [unrolled: 1-line block ×4, first 2 shown]
	v_add_co_u32_e32 v64, vcc, s28, v60
	v_add_co_u32_e64 v100, s[4:5], s29, v60
	s_nop 0
	v_addc_co_u32_e32 v65, vcc, 0, v61, vcc
	v_addc_co_u32_e64 v101, vcc, 0, v61, s[4:5]
	v_lshl_add_u64 v[92:93], v[60:61], 0, s[16:17]
	global_load_dwordx2 v[96:97], v[62:63], off offset:-256
	global_load_dwordx2 v[66:67], v[62:63], off
	global_load_dwordx2 v[70:71], v[62:63], off offset:256
	global_load_dwordx4 v[72:75], v[92:93], off offset:48
	global_load_dwordx4 v[76:79], v[92:93], off offset:32
	;; [unrolled: 1-line block ×3, first 2 shown]
	v_lshl_add_u64 v[94:95], v[60:61], 0, s[18:19]
	v_lshl_add_u64 v[98:99], v[60:61], 0, s[20:21]
	;; [unrolled: 1-line block ×5, first 2 shown]
	s_waitcnt vmcnt(14)
	v_sub_co_u32_e32 v68, vcc, v68, v40
	s_nop 1
	v_subb_co_u32_e32 v69, vcc, v69, v41, vcc
	v_lshlrev_b64 v[68:69], 5, v[68:69]
	v_lshl_add_u64 v[68:69], s[6:7], 0, v[68:69]
	global_load_dwordx4 v[84:87], v[68:69], off
	s_waitcnt vmcnt(0)
	v_fmac_f64_e32 v[54:55], v[16:17], v[84:85]
	v_fmac_f64_e32 v[52:53], v[8:9], v[84:85]
	v_fmac_f64_e32 v[50:51], v[28:29], v[84:85]
	v_fmac_f64_e32 v[42:43], v[24:25], v[84:85]
	v_fmac_f64_e32 v[54:55], v[18:19], v[86:87]
	global_load_dwordx4 v[16:19], v[92:93], off offset:112
	v_fmac_f64_e32 v[52:53], v[10:11], v[86:87]
	global_load_dwordx4 v[8:11], v[92:93], off offset:96
	v_fmac_f64_e32 v[50:51], v[30:31], v[86:87]
	;; [unrolled: 2-line block ×3, first 2 shown]
	global_load_dwordx4 v[24:27], v[92:93], off offset:64
	global_load_dwordx4 v[84:87], v[94:95], off offset:32
	;; [unrolled: 1-line block ×3, first 2 shown]
	v_sub_co_u32_e32 v68, vcc, v96, v40
	s_waitcnt vmcnt(0)
	v_fmac_f64_e32 v[54:55], v[4:5], v[88:89]
	v_subb_co_u32_e32 v69, vcc, v97, v41, vcc
	v_lshlrev_b64 v[68:69], 5, v[68:69]
	v_fmac_f64_e32 v[52:53], v[0:1], v[88:89]
	v_fmac_f64_e32 v[50:51], v[20:21], v[88:89]
	;; [unrolled: 1-line block ×3, first 2 shown]
	v_lshl_add_u64 v[68:69], s[6:7], 0, v[68:69]
	v_fmac_f64_e32 v[54:55], v[6:7], v[90:91]
	v_fmac_f64_e32 v[52:53], v[2:3], v[90:91]
	;; [unrolled: 1-line block ×4, first 2 shown]
	global_load_dwordx4 v[12:15], v[64:65], off offset:-4096
	global_load_dwordx4 v[88:91], v[68:69], off
	global_load_dwordx4 v[4:7], v[94:95], off offset:16
	global_load_dwordx4 v[0:3], v[94:95], off offset:112
	global_load_dwordx4 v[20:23], v[94:95], off offset:96
	s_waitcnt vmcnt(3)
	v_fmac_f64_e32 v[54:55], v[12:13], v[88:89]
	v_fmac_f64_e32 v[52:53], v[76:77], v[88:89]
	;; [unrolled: 1-line block ×5, first 2 shown]
	global_load_dwordx4 v[12:15], v[94:95], off offset:80
	v_fmac_f64_e32 v[52:53], v[78:79], v[90:91]
	global_load_dwordx4 v[76:79], v[94:95], off offset:48
	v_fmac_f64_e32 v[50:51], v[26:27], v[90:91]
	;; [unrolled: 2-line block ×3, first 2 shown]
	global_load_dwordx4 v[8:11], v[98:99], off offset:48
	global_load_dwordx4 v[88:91], v[98:99], off offset:32
	;; [unrolled: 1-line block ×3, first 2 shown]
	s_waitcnt vmcnt(0)
	v_fmac_f64_e32 v[54:55], v[80:81], v[92:93]
	v_fmac_f64_e32 v[42:43], v[16:17], v[92:93]
	v_fmac_f64_e32 v[54:55], v[82:83], v[94:95]
	global_load_dwordx4 v[80:83], v[98:99], off offset:16
	v_fmac_f64_e32 v[42:43], v[18:19], v[94:95]
	global_load_dwordx4 v[16:19], v[64:65], off
	v_sub_co_u32_e32 v64, vcc, v66, v40
	v_fmac_f64_e32 v[52:53], v[72:73], v[92:93]
	s_nop 0
	v_subb_co_u32_e32 v65, vcc, v67, v41, vcc
	v_lshlrev_b64 v[64:65], 5, v[64:65]
	v_lshl_add_u64 v[68:69], s[6:7], 0, v[64:65]
	global_load_dwordx4 v[64:67], v[68:69], off
	v_sub_co_u32_e32 v70, vcc, v70, v40
	v_fmac_f64_e32 v[50:51], v[28:29], v[92:93]
	s_nop 0
	v_subb_co_u32_e32 v71, vcc, v71, v41, vcc
	v_lshlrev_b64 v[70:71], 5, v[70:71]
	v_fmac_f64_e32 v[52:53], v[74:75], v[94:95]
	global_load_dwordx4 v[72:75], v[98:99], off offset:96
	v_fmac_f64_e32 v[50:51], v[30:31], v[94:95]
	global_load_dwordx4 v[28:31], v[98:99], off offset:80
	v_lshl_add_u64 v[96:97], s[6:7], 0, v[70:71]
	v_cmp_ge_i64_e32 vcc, v[58:59], v[46:47]
	s_or_b64 s[14:15], vcc, s[14:15]
	s_waitcnt vmcnt(2)
	v_fmac_f64_e32 v[54:55], v[16:17], v[64:65]
	v_fmac_f64_e32 v[54:55], v[18:19], v[66:67]
	global_load_dwordx4 v[16:19], v[98:99], off offset:64
	global_load_dwordx4 v[92:95], v[98:99], off offset:112
	v_fmac_f64_e32 v[52:53], v[84:85], v[64:65]
	global_load_dwordx4 v[68:71], v[68:69], off offset:16
	v_fmac_f64_e32 v[50:51], v[24:25], v[64:65]
	v_fmac_f64_e32 v[52:53], v[86:87], v[66:67]
	global_load_dwordx4 v[84:87], v[100:101], off
	v_fmac_f64_e32 v[50:51], v[26:27], v[66:67]
	global_load_dwordx4 v[24:27], v[96:97], off
	v_fmac_f64_e32 v[42:43], v[20:21], v[64:65]
	v_fmac_f64_e32 v[42:43], v[22:23], v[66:67]
	global_load_dwordx4 v[20:23], v[96:97], off offset:16
	s_waitcnt vmcnt(3)
	v_fmac_f64_e32 v[54:55], v[4:5], v[68:69]
	v_fmac_f64_e32 v[52:53], v[76:77], v[68:69]
	v_fmac_f64_e32 v[50:51], v[12:13], v[68:69]
	v_fmac_f64_e32 v[42:43], v[0:1], v[68:69]
	v_fmac_f64_e32 v[54:55], v[6:7], v[70:71]
	v_fmac_f64_e32 v[52:53], v[78:79], v[70:71]
	v_fmac_f64_e32 v[50:51], v[14:15], v[70:71]
	v_fmac_f64_e32 v[42:43], v[2:3], v[70:71]
	s_waitcnt vmcnt(1)
	v_fmac_f64_e32 v[54:55], v[84:85], v[24:25]
	v_fmac_f64_e32 v[52:53], v[88:89], v[24:25]
	v_fmac_f64_e32 v[50:51], v[16:17], v[24:25]
	v_fmac_f64_e32 v[42:43], v[72:73], v[24:25]
	v_fmac_f64_e32 v[54:55], v[86:87], v[26:27]
	v_fmac_f64_e32 v[52:53], v[90:91], v[26:27]
	v_fmac_f64_e32 v[50:51], v[18:19], v[26:27]
	v_fmac_f64_e32 v[42:43], v[74:75], v[26:27]
	;; [unrolled: 9-line block ×3, first 2 shown]
	s_andn2_b64 exec, exec, s[14:15]
	s_cbranch_execnz .LBB48_23
; %bb.24:
	s_or_b64 exec, exec, s[14:15]
.LBB48_25:
	s_or_b64 exec, exec, s[12:13]
.LBB48_26:
	s_or_b64 exec, exec, s[10:11]
	s_cbranch_execz .LBB48_28
	s_branch .LBB48_39
.LBB48_27:
                                        ; implicit-def: $vgpr42_vgpr43
                                        ; implicit-def: $vgpr50_vgpr51
                                        ; implicit-def: $vgpr52_vgpr53
                                        ; implicit-def: $vgpr54_vgpr55
.LBB48_28:
	v_mov_b64_e32 v[42:43], 0
	v_mov_b64_e32 v[50:51], 0
	;; [unrolled: 1-line block ×4, first 2 shown]
	s_and_saveexec_b64 s[4:5], s[2:3]
	s_cbranch_execz .LBB48_38
; %bb.29:
	v_or_b32_e32 v0, 32, v38
	v_sub_co_u32_e32 v0, vcc, v0, v40
	v_not_b32_e32 v3, v57
	s_nop 0
	v_subb_co_u32_e32 v1, vcc, 0, v41, vcc
	v_lshl_add_u64 v[0:1], v[0:1], 0, v[56:57]
	v_cmp_gt_i64_e32 vcc, v[0:1], v[46:47]
	v_not_b32_e32 v2, v56
	s_mov_b64 s[2:3], 0x60
	v_cndmask_b32_e32 v1, v47, v1, vcc
	v_cndmask_b32_e32 v0, v46, v0, vcc
	v_sub_co_u32_e32 v4, vcc, v40, v38
	v_mov_b64_e32 v[54:55], 0
	s_nop 0
	v_subbrev_co_u32_e32 v5, vcc, 0, v41, vcc
	v_lshl_add_u64 v[2:3], v[4:5], 0, v[2:3]
	v_lshl_add_u64 v[0:1], v[2:3], 0, v[0:1]
	v_and_b32_e32 v2, 0x60, v0
	v_mov_b32_e32 v3, 0
	v_cmp_ne_u64_e32 vcc, s[2:3], v[2:3]
	v_mov_b64_e32 v[52:53], 0
	v_mov_b64_e32 v[50:51], 0
	;; [unrolled: 1-line block ×3, first 2 shown]
	s_and_saveexec_b64 s[2:3], vcc
	s_cbranch_execz .LBB48_33
; %bb.30:
	v_lshrrev_b32_e32 v2, 5, v0
	v_add_u32_e32 v2, 1, v2
	v_and_b32_e32 v4, 3, v2
	v_sub_co_u32_e32 v4, vcc, 0, v4
	v_lshl_add_u64 v[2:3], v[44:45], 3, s[8:9]
	s_nop 0
	v_subb_co_u32_e64 v5, s[12:13], 0, 0, vcc
	s_mov_b64 s[10:11], 0
	v_mov_b64_e32 v[42:43], 0
	s_mov_b64 s[12:13], 0x1000
	s_mov_b64 s[14:15], 0x100
	v_mov_b64_e32 v[50:51], 0
	v_mov_b64_e32 v[52:53], 0
	;; [unrolled: 1-line block ×3, first 2 shown]
.LBB48_31:                              ; =>This Inner Loop Header: Depth=1
	global_load_dwordx2 v[30:31], v[2:3], off
	global_load_dwordx4 v[6:9], v[48:49], off offset:48
	global_load_dwordx4 v[10:13], v[48:49], off offset:32
	;; [unrolled: 1-line block ×3, first 2 shown]
	global_load_dwordx4 v[18:21], v[48:49], off
	global_load_dwordx4 v[22:25], v[48:49], off offset:80
	global_load_dwordx4 v[26:29], v[48:49], off offset:64
	v_lshl_add_u64 v[4:5], v[4:5], 0, 1
	v_lshl_add_u64 v[44:45], v[44:45], 0, 32
	;; [unrolled: 1-line block ×3, first 2 shown]
	s_waitcnt vmcnt(6)
	v_sub_co_u32_e32 v30, vcc, v30, v40
	s_nop 1
	v_subb_co_u32_e32 v31, vcc, v31, v41, vcc
	v_lshlrev_b64 v[30:31], 5, v[30:31]
	v_lshl_add_u64 v[30:31], s[6:7], 0, v[30:31]
	global_load_dwordx4 v[56:59], v[30:31], off
	global_load_dwordx4 v[60:63], v[30:31], off offset:16
	global_load_dwordx4 v[64:67], v[48:49], off offset:96
	global_load_dwordx4 v[68:71], v[48:49], off offset:112
	v_cmp_eq_u64_e32 vcc, 0, v[4:5]
	v_lshl_add_u64 v[48:49], v[48:49], 0, s[12:13]
	s_or_b64 s[10:11], vcc, s[10:11]
	s_waitcnt vmcnt(3)
	v_fmac_f64_e32 v[54:55], v[18:19], v[56:57]
	v_fmac_f64_e32 v[52:53], v[20:21], v[56:57]
	;; [unrolled: 1-line block ×8, first 2 shown]
	s_waitcnt vmcnt(2)
	v_fmac_f64_e32 v[54:55], v[26:27], v[60:61]
	v_fmac_f64_e32 v[52:53], v[28:29], v[60:61]
	v_fmac_f64_e32 v[50:51], v[22:23], v[60:61]
	v_fmac_f64_e32 v[42:43], v[24:25], v[60:61]
	s_waitcnt vmcnt(1)
	v_fmac_f64_e32 v[54:55], v[64:65], v[62:63]
	v_fmac_f64_e32 v[52:53], v[66:67], v[62:63]
	s_waitcnt vmcnt(0)
	v_fmac_f64_e32 v[50:51], v[68:69], v[62:63]
	v_fmac_f64_e32 v[42:43], v[70:71], v[62:63]
	s_andn2_b64 exec, exec, s[10:11]
	s_cbranch_execnz .LBB48_31
; %bb.32:
	s_or_b64 exec, exec, s[10:11]
.LBB48_33:
	s_or_b64 exec, exec, s[2:3]
	s_mov_b64 s[2:3], 0x5f
	v_cmp_lt_u64_e32 vcc, s[2:3], v[0:1]
	s_and_saveexec_b64 s[2:3], vcc
	s_cbranch_execz .LBB48_37
; %bb.34:
	v_lshl_add_u64 v[0:1], v[44:45], 3, s[8:9]
	s_mov_b64 s[8:9], 0x200
	v_lshl_add_u64 v[56:57], v[0:1], 0, s[8:9]
	s_mov_b64 s[8:9], 0
	s_mov_b64 s[10:11], 0x1000
	;; [unrolled: 1-line block ×3, first 2 shown]
	s_movk_i32 s22, 0x2000
	s_mov_b64 s[14:15], 0x3000
	s_movk_i32 s23, 0x3000
	s_mov_b64 s[16:17], 0x80
	s_mov_b64 s[18:19], 0x400
	;; [unrolled: 1-line block ×3, first 2 shown]
.LBB48_35:                              ; =>This Inner Loop Header: Depth=1
	global_load_dwordx2 v[58:59], v[56:57], off offset:-512
	global_load_dwordx4 v[0:3], v[48:49], off offset:48
	global_load_dwordx4 v[4:7], v[48:49], off offset:32
	;; [unrolled: 1-line block ×3, first 2 shown]
	global_load_dwordx4 v[16:19], v[48:49], off
	global_load_dwordx4 v[12:15], v[48:49], off offset:112
	global_load_dwordx4 v[20:23], v[48:49], off offset:96
	;; [unrolled: 1-line block ×4, first 2 shown]
	v_add_co_u32_e32 v74, vcc, s22, v48
	global_load_dwordx2 v[76:77], v[56:57], off offset:-256
	global_load_dwordx2 v[82:83], v[56:57], off
	global_load_dwordx2 v[84:85], v[56:57], off offset:256
	v_addc_co_u32_e32 v75, vcc, 0, v49, vcc
	v_add_co_u32_e32 v88, vcc, s23, v48
	v_lshl_add_u64 v[72:73], v[48:49], 0, s[10:11]
	s_nop 0
	v_addc_co_u32_e32 v89, vcc, 0, v49, vcc
	global_load_dwordx4 v[60:63], v[74:75], off offset:-4096
	v_lshl_add_u64 v[80:81], v[48:49], 0, s[12:13]
	v_lshl_add_u64 v[86:87], v[48:49], 0, s[14:15]
	;; [unrolled: 1-line block ×5, first 2 shown]
	s_waitcnt vmcnt(12)
	v_sub_co_u32_e32 v58, vcc, v58, v40
	s_nop 1
	v_subb_co_u32_e32 v59, vcc, v59, v41, vcc
	v_lshlrev_b64 v[58:59], 5, v[58:59]
	v_lshl_add_u64 v[58:59], s[6:7], 0, v[58:59]
	global_load_dwordx4 v[64:67], v[58:59], off
	s_waitcnt vmcnt(0)
	v_fmac_f64_e32 v[54:55], v[16:17], v[64:65]
	v_fmac_f64_e32 v[52:53], v[18:19], v[64:65]
	;; [unrolled: 1-line block ×4, first 2 shown]
	global_load_dwordx4 v[16:19], v[72:73], off offset:32
	global_load_dwordx4 v[8:11], v[72:73], off offset:16
	v_fmac_f64_e32 v[54:55], v[4:5], v[66:67]
	v_fmac_f64_e32 v[52:53], v[6:7], v[66:67]
	global_load_dwordx4 v[4:7], v[72:73], off offset:112
	v_fmac_f64_e32 v[50:51], v[0:1], v[66:67]
	v_fmac_f64_e32 v[42:43], v[2:3], v[66:67]
	global_load_dwordx4 v[0:3], v[72:73], off offset:96
	global_load_dwordx4 v[64:67], v[58:59], off offset:16
	v_sub_co_u32_e32 v58, vcc, v76, v40
	s_waitcnt vmcnt(0)
	v_fmac_f64_e32 v[54:55], v[28:29], v[64:65]
	v_subb_co_u32_e32 v59, vcc, v77, v41, vcc
	v_lshlrev_b64 v[58:59], 5, v[58:59]
	v_fmac_f64_e32 v[52:53], v[30:31], v[64:65]
	v_fmac_f64_e32 v[50:51], v[24:25], v[64:65]
	;; [unrolled: 1-line block ×3, first 2 shown]
	v_lshl_add_u64 v[76:77], s[6:7], 0, v[58:59]
	global_load_dwordx4 v[28:31], v[72:73], off offset:80
	global_load_dwordx4 v[24:27], v[72:73], off offset:48
	;; [unrolled: 1-line block ×3, first 2 shown]
	v_fmac_f64_e32 v[54:55], v[20:21], v[66:67]
	v_fmac_f64_e32 v[52:53], v[22:23], v[66:67]
	;; [unrolled: 1-line block ×4, first 2 shown]
	global_load_dwordx4 v[64:67], v[76:77], off
	global_load_dwordx4 v[20:23], v[74:75], off
	global_load_dwordx4 v[12:15], v[80:81], off offset:48
	s_waitcnt vmcnt(2)
	v_fmac_f64_e32 v[54:55], v[60:61], v[64:65]
	v_fmac_f64_e32 v[52:53], v[62:63], v[64:65]
	;; [unrolled: 1-line block ×4, first 2 shown]
	global_load_dwordx4 v[58:61], v[80:81], off offset:32
	global_load_dwordx4 v[8:11], v[80:81], off offset:16
	v_fmac_f64_e32 v[54:55], v[16:17], v[66:67]
	v_fmac_f64_e32 v[52:53], v[18:19], v[66:67]
	global_load_dwordx4 v[16:19], v[80:81], off offset:112
	v_fmac_f64_e32 v[50:51], v[24:25], v[66:67]
	v_fmac_f64_e32 v[42:43], v[26:27], v[66:67]
	global_load_dwordx4 v[24:27], v[80:81], off offset:96
	global_load_dwordx4 v[62:65], v[80:81], off offset:80
	;; [unrolled: 1-line block ×3, first 2 shown]
	s_waitcnt vmcnt(0)
	v_fmac_f64_e32 v[52:53], v[70:71], v[72:73]
	v_sub_co_u32_e32 v70, vcc, v82, v40
	v_fmac_f64_e32 v[54:55], v[68:69], v[72:73]
	v_fmac_f64_e32 v[50:51], v[28:29], v[72:73]
	;; [unrolled: 1-line block ×3, first 2 shown]
	v_subb_co_u32_e32 v71, vcc, v83, v41, vcc
	v_fmac_f64_e32 v[54:55], v[0:1], v[74:75]
	v_fmac_f64_e32 v[52:53], v[2:3], v[74:75]
	v_fmac_f64_e32 v[50:51], v[4:5], v[74:75]
	v_fmac_f64_e32 v[42:43], v[6:7], v[74:75]
	v_sub_co_u32_e32 v74, vcc, v84, v40
	v_lshlrev_b64 v[70:71], 5, v[70:71]
	s_nop 0
	v_subb_co_u32_e32 v75, vcc, v85, v41, vcc
	v_lshl_add_u64 v[84:85], s[6:7], 0, v[70:71]
	global_load_dwordx4 v[66:69], v[80:81], off offset:64
	global_load_dwordx4 v[76:79], v[88:89], off
	global_load_dwordx4 v[70:73], v[84:85], off
	global_load_dwordx4 v[28:31], v[86:87], off offset:48
	global_load_dwordx4 v[0:3], v[86:87], off offset:32
	;; [unrolled: 1-line block ×3, first 2 shown]
	v_cmp_ge_i64_e32 vcc, v[44:45], v[46:47]
	s_or_b64 s[8:9], vcc, s[8:9]
	s_waitcnt vmcnt(3)
	v_fmac_f64_e32 v[54:55], v[20:21], v[70:71]
	v_fmac_f64_e32 v[52:53], v[22:23], v[70:71]
	;; [unrolled: 1-line block ×4, first 2 shown]
	v_lshlrev_b64 v[70:71], 5, v[74:75]
	global_load_dwordx4 v[20:23], v[86:87], off offset:96
	global_load_dwordx4 v[8:11], v[86:87], off offset:80
	v_fmac_f64_e32 v[54:55], v[58:59], v[72:73]
	v_fmac_f64_e32 v[52:53], v[60:61], v[72:73]
	global_load_dwordx4 v[58:61], v[86:87], off offset:64
	v_lshl_add_u64 v[74:75], s[6:7], 0, v[70:71]
	v_fmac_f64_e32 v[50:51], v[12:13], v[72:73]
	v_fmac_f64_e32 v[42:43], v[14:15], v[72:73]
	global_load_dwordx4 v[12:15], v[84:85], off offset:16
	global_load_dwordx4 v[70:73], v[74:75], off
	global_load_dwordx4 v[80:83], v[74:75], off offset:16
	s_waitcnt vmcnt(2)
	v_fmac_f64_e32 v[54:55], v[66:67], v[12:13]
	v_fmac_f64_e32 v[52:53], v[68:69], v[12:13]
	global_load_dwordx4 v[66:69], v[86:87], off offset:112
	v_fmac_f64_e32 v[50:51], v[62:63], v[12:13]
	v_fmac_f64_e32 v[42:43], v[64:65], v[12:13]
	;; [unrolled: 1-line block ×6, first 2 shown]
	s_waitcnt vmcnt(2)
	v_fmac_f64_e32 v[54:55], v[76:77], v[70:71]
	v_fmac_f64_e32 v[52:53], v[78:79], v[70:71]
	;; [unrolled: 1-line block ×8, first 2 shown]
	s_waitcnt vmcnt(1)
	v_fmac_f64_e32 v[54:55], v[58:59], v[80:81]
	v_fmac_f64_e32 v[52:53], v[60:61], v[80:81]
	;; [unrolled: 1-line block ×6, first 2 shown]
	s_waitcnt vmcnt(0)
	v_fmac_f64_e32 v[50:51], v[66:67], v[82:83]
	v_fmac_f64_e32 v[42:43], v[68:69], v[82:83]
	s_andn2_b64 exec, exec, s[8:9]
	s_cbranch_execnz .LBB48_35
; %bb.36:
	s_or_b64 exec, exec, s[8:9]
.LBB48_37:
	s_or_b64 exec, exec, s[2:3]
.LBB48_38:
	s_or_b64 exec, exec, s[4:5]
.LBB48_39:
	v_mov_b32_dpp v0, v54 row_shr:1 row_mask:0xf bank_mask:0xf
	v_mov_b32_dpp v1, v55 row_shr:1 row_mask:0xf bank_mask:0xf
	v_mov_b32_dpp v4, v52 row_shr:1 row_mask:0xf bank_mask:0xf
	v_mov_b32_dpp v5, v53 row_shr:1 row_mask:0xf bank_mask:0xf
	v_mov_b32_dpp v8, v50 row_shr:1 row_mask:0xf bank_mask:0xf
	v_mov_b32_dpp v9, v51 row_shr:1 row_mask:0xf bank_mask:0xf
	v_mov_b32_dpp v12, v42 row_shr:1 row_mask:0xf bank_mask:0xf
	v_mov_b32_dpp v13, v43 row_shr:1 row_mask:0xf bank_mask:0xf
	v_add_f64 v[0:1], v[54:55], v[0:1]
	v_add_f64 v[4:5], v[52:53], v[4:5]
	v_add_f64 v[8:9], v[50:51], v[8:9]
	v_add_f64 v[12:13], v[42:43], v[12:13]
	v_mov_b32_dpp v2, v0 row_shr:2 row_mask:0xf bank_mask:0xf
	v_mov_b32_dpp v3, v1 row_shr:2 row_mask:0xf bank_mask:0xf
	v_mov_b32_dpp v6, v4 row_shr:2 row_mask:0xf bank_mask:0xf
	v_mov_b32_dpp v7, v5 row_shr:2 row_mask:0xf bank_mask:0xf
	v_mov_b32_dpp v10, v8 row_shr:2 row_mask:0xf bank_mask:0xf
	v_mov_b32_dpp v11, v9 row_shr:2 row_mask:0xf bank_mask:0xf
	v_mov_b32_dpp v14, v12 row_shr:2 row_mask:0xf bank_mask:0xf
	v_mov_b32_dpp v15, v13 row_shr:2 row_mask:0xf bank_mask:0xf
	v_add_f64 v[0:1], v[0:1], v[2:3]
	v_add_f64 v[4:5], v[4:5], v[6:7]
	v_add_f64 v[8:9], v[8:9], v[10:11]
	v_add_f64 v[12:13], v[12:13], v[14:15]
	;; [unrolled: 12-line block ×4, first 2 shown]
	v_mov_b32_dpp v2, v0 row_bcast:15 row_mask:0xa bank_mask:0xf
	v_mov_b32_dpp v3, v1 row_bcast:15 row_mask:0xa bank_mask:0xf
	;; [unrolled: 1-line block ×8, first 2 shown]
	v_cmp_eq_u32_e32 vcc, 31, v38
	s_and_b64 exec, exec, vcc
	s_cbranch_execz .LBB48_10
; %bb.40:
	s_load_dwordx2 s[0:1], s[0:1], 0x58
	v_add_f64 v[0:1], v[0:1], v[2:3]
	v_add_f64 v[2:3], v[4:5], v[6:7]
	;; [unrolled: 1-line block ×4, first 2 shown]
	v_cmp_eq_f64_e32 vcc, 0, v[32:33]
	v_mul_f64 v[4:5], v[34:35], v[0:1]
	v_mul_f64 v[6:7], v[34:35], v[2:3]
	;; [unrolled: 1-line block ×4, first 2 shown]
	v_lshlrev_b64 v[8:9], 5, v[36:37]
	s_and_saveexec_b64 s[2:3], vcc
	s_xor_b64 s[2:3], exec, s[2:3]
	s_cbranch_execz .LBB48_42
; %bb.41:
	s_waitcnt lgkmcnt(0)
	v_lshl_add_u64 v[8:9], s[0:1], 0, v[8:9]
	global_store_dwordx4 v[8:9], v[4:7], off
	global_store_dwordx4 v[8:9], v[0:3], off offset:16
                                        ; implicit-def: $vgpr8_vgpr9
                                        ; implicit-def: $vgpr32_vgpr33
                                        ; implicit-def: $vgpr4_vgpr5
                                        ; implicit-def: $vgpr0_vgpr1
.LBB48_42:
	s_andn2_saveexec_b64 s[2:3], s[2:3]
	s_cbranch_execz .LBB48_10
; %bb.43:
	s_waitcnt lgkmcnt(0)
	v_lshl_add_u64 v[16:17], s[0:1], 0, v[8:9]
	global_load_dwordx4 v[8:11], v[16:17], off
	global_load_dwordx4 v[12:15], v[16:17], off offset:16
	s_waitcnt vmcnt(1)
	v_fmac_f64_e32 v[4:5], v[32:33], v[8:9]
	v_fmac_f64_e32 v[6:7], v[32:33], v[10:11]
	s_waitcnt vmcnt(0)
	v_fmac_f64_e32 v[0:1], v[32:33], v[12:13]
	v_fmac_f64_e32 v[2:3], v[32:33], v[14:15]
	global_store_dwordx4 v[16:17], v[4:7], off
	global_store_dwordx4 v[16:17], v[0:3], off offset:16
	s_endpgm
	.section	.rodata,"a",@progbits
	.p2align	6, 0x0
	.amdhsa_kernel _ZN9rocsparseL18bsrxmvn_4x4_kernelILj128ELj32EdlldddEEvT3_20rocsparse_direction_NS_24const_host_device_scalarIT1_EES1_PKS1_PKT2_SA_S7_PKT4_PKT5_S5_PT6_21rocsparse_index_base_b
		.amdhsa_group_segment_fixed_size 0
		.amdhsa_private_segment_fixed_size 0
		.amdhsa_kernarg_size 104
		.amdhsa_user_sgpr_count 2
		.amdhsa_user_sgpr_dispatch_ptr 0
		.amdhsa_user_sgpr_queue_ptr 0
		.amdhsa_user_sgpr_kernarg_segment_ptr 1
		.amdhsa_user_sgpr_dispatch_id 0
		.amdhsa_user_sgpr_kernarg_preload_length 0
		.amdhsa_user_sgpr_kernarg_preload_offset 0
		.amdhsa_user_sgpr_private_segment_size 0
		.amdhsa_uses_dynamic_stack 0
		.amdhsa_enable_private_segment 0
		.amdhsa_system_sgpr_workgroup_id_x 1
		.amdhsa_system_sgpr_workgroup_id_y 0
		.amdhsa_system_sgpr_workgroup_id_z 0
		.amdhsa_system_sgpr_workgroup_info 0
		.amdhsa_system_vgpr_workitem_id 0
		.amdhsa_next_free_vgpr 102
		.amdhsa_next_free_sgpr 30
		.amdhsa_accum_offset 104
		.amdhsa_reserve_vcc 1
		.amdhsa_float_round_mode_32 0
		.amdhsa_float_round_mode_16_64 0
		.amdhsa_float_denorm_mode_32 3
		.amdhsa_float_denorm_mode_16_64 3
		.amdhsa_dx10_clamp 1
		.amdhsa_ieee_mode 1
		.amdhsa_fp16_overflow 0
		.amdhsa_tg_split 0
		.amdhsa_exception_fp_ieee_invalid_op 0
		.amdhsa_exception_fp_denorm_src 0
		.amdhsa_exception_fp_ieee_div_zero 0
		.amdhsa_exception_fp_ieee_overflow 0
		.amdhsa_exception_fp_ieee_underflow 0
		.amdhsa_exception_fp_ieee_inexact 0
		.amdhsa_exception_int_div_zero 0
	.end_amdhsa_kernel
	.section	.text._ZN9rocsparseL18bsrxmvn_4x4_kernelILj128ELj32EdlldddEEvT3_20rocsparse_direction_NS_24const_host_device_scalarIT1_EES1_PKS1_PKT2_SA_S7_PKT4_PKT5_S5_PT6_21rocsparse_index_base_b,"axG",@progbits,_ZN9rocsparseL18bsrxmvn_4x4_kernelILj128ELj32EdlldddEEvT3_20rocsparse_direction_NS_24const_host_device_scalarIT1_EES1_PKS1_PKT2_SA_S7_PKT4_PKT5_S5_PT6_21rocsparse_index_base_b,comdat
.Lfunc_end48:
	.size	_ZN9rocsparseL18bsrxmvn_4x4_kernelILj128ELj32EdlldddEEvT3_20rocsparse_direction_NS_24const_host_device_scalarIT1_EES1_PKS1_PKT2_SA_S7_PKT4_PKT5_S5_PT6_21rocsparse_index_base_b, .Lfunc_end48-_ZN9rocsparseL18bsrxmvn_4x4_kernelILj128ELj32EdlldddEEvT3_20rocsparse_direction_NS_24const_host_device_scalarIT1_EES1_PKS1_PKT2_SA_S7_PKT4_PKT5_S5_PT6_21rocsparse_index_base_b
                                        ; -- End function
	.set _ZN9rocsparseL18bsrxmvn_4x4_kernelILj128ELj32EdlldddEEvT3_20rocsparse_direction_NS_24const_host_device_scalarIT1_EES1_PKS1_PKT2_SA_S7_PKT4_PKT5_S5_PT6_21rocsparse_index_base_b.num_vgpr, 102
	.set _ZN9rocsparseL18bsrxmvn_4x4_kernelILj128ELj32EdlldddEEvT3_20rocsparse_direction_NS_24const_host_device_scalarIT1_EES1_PKS1_PKT2_SA_S7_PKT4_PKT5_S5_PT6_21rocsparse_index_base_b.num_agpr, 0
	.set _ZN9rocsparseL18bsrxmvn_4x4_kernelILj128ELj32EdlldddEEvT3_20rocsparse_direction_NS_24const_host_device_scalarIT1_EES1_PKS1_PKT2_SA_S7_PKT4_PKT5_S5_PT6_21rocsparse_index_base_b.numbered_sgpr, 30
	.set _ZN9rocsparseL18bsrxmvn_4x4_kernelILj128ELj32EdlldddEEvT3_20rocsparse_direction_NS_24const_host_device_scalarIT1_EES1_PKS1_PKT2_SA_S7_PKT4_PKT5_S5_PT6_21rocsparse_index_base_b.num_named_barrier, 0
	.set _ZN9rocsparseL18bsrxmvn_4x4_kernelILj128ELj32EdlldddEEvT3_20rocsparse_direction_NS_24const_host_device_scalarIT1_EES1_PKS1_PKT2_SA_S7_PKT4_PKT5_S5_PT6_21rocsparse_index_base_b.private_seg_size, 0
	.set _ZN9rocsparseL18bsrxmvn_4x4_kernelILj128ELj32EdlldddEEvT3_20rocsparse_direction_NS_24const_host_device_scalarIT1_EES1_PKS1_PKT2_SA_S7_PKT4_PKT5_S5_PT6_21rocsparse_index_base_b.uses_vcc, 1
	.set _ZN9rocsparseL18bsrxmvn_4x4_kernelILj128ELj32EdlldddEEvT3_20rocsparse_direction_NS_24const_host_device_scalarIT1_EES1_PKS1_PKT2_SA_S7_PKT4_PKT5_S5_PT6_21rocsparse_index_base_b.uses_flat_scratch, 0
	.set _ZN9rocsparseL18bsrxmvn_4x4_kernelILj128ELj32EdlldddEEvT3_20rocsparse_direction_NS_24const_host_device_scalarIT1_EES1_PKS1_PKT2_SA_S7_PKT4_PKT5_S5_PT6_21rocsparse_index_base_b.has_dyn_sized_stack, 0
	.set _ZN9rocsparseL18bsrxmvn_4x4_kernelILj128ELj32EdlldddEEvT3_20rocsparse_direction_NS_24const_host_device_scalarIT1_EES1_PKS1_PKT2_SA_S7_PKT4_PKT5_S5_PT6_21rocsparse_index_base_b.has_recursion, 0
	.set _ZN9rocsparseL18bsrxmvn_4x4_kernelILj128ELj32EdlldddEEvT3_20rocsparse_direction_NS_24const_host_device_scalarIT1_EES1_PKS1_PKT2_SA_S7_PKT4_PKT5_S5_PT6_21rocsparse_index_base_b.has_indirect_call, 0
	.section	.AMDGPU.csdata,"",@progbits
; Kernel info:
; codeLenInByte = 4004
; TotalNumSgprs: 36
; NumVgprs: 102
; NumAgprs: 0
; TotalNumVgprs: 102
; ScratchSize: 0
; MemoryBound: 1
; FloatMode: 240
; IeeeMode: 1
; LDSByteSize: 0 bytes/workgroup (compile time only)
; SGPRBlocks: 4
; VGPRBlocks: 12
; NumSGPRsForWavesPerEU: 36
; NumVGPRsForWavesPerEU: 102
; AccumOffset: 104
; Occupancy: 4
; WaveLimiterHint : 1
; COMPUTE_PGM_RSRC2:SCRATCH_EN: 0
; COMPUTE_PGM_RSRC2:USER_SGPR: 2
; COMPUTE_PGM_RSRC2:TRAP_HANDLER: 0
; COMPUTE_PGM_RSRC2:TGID_X_EN: 1
; COMPUTE_PGM_RSRC2:TGID_Y_EN: 0
; COMPUTE_PGM_RSRC2:TGID_Z_EN: 0
; COMPUTE_PGM_RSRC2:TIDIG_COMP_CNT: 0
; COMPUTE_PGM_RSRC3_GFX90A:ACCUM_OFFSET: 25
; COMPUTE_PGM_RSRC3_GFX90A:TG_SPLIT: 0
	.section	.text._ZN9rocsparseL18bsrxmvn_4x4_kernelILj128ELj64EdlldddEEvT3_20rocsparse_direction_NS_24const_host_device_scalarIT1_EES1_PKS1_PKT2_SA_S7_PKT4_PKT5_S5_PT6_21rocsparse_index_base_b,"axG",@progbits,_ZN9rocsparseL18bsrxmvn_4x4_kernelILj128ELj64EdlldddEEvT3_20rocsparse_direction_NS_24const_host_device_scalarIT1_EES1_PKS1_PKT2_SA_S7_PKT4_PKT5_S5_PT6_21rocsparse_index_base_b,comdat
	.globl	_ZN9rocsparseL18bsrxmvn_4x4_kernelILj128ELj64EdlldddEEvT3_20rocsparse_direction_NS_24const_host_device_scalarIT1_EES1_PKS1_PKT2_SA_S7_PKT4_PKT5_S5_PT6_21rocsparse_index_base_b ; -- Begin function _ZN9rocsparseL18bsrxmvn_4x4_kernelILj128ELj64EdlldddEEvT3_20rocsparse_direction_NS_24const_host_device_scalarIT1_EES1_PKS1_PKT2_SA_S7_PKT4_PKT5_S5_PT6_21rocsparse_index_base_b
	.p2align	8
	.type	_ZN9rocsparseL18bsrxmvn_4x4_kernelILj128ELj64EdlldddEEvT3_20rocsparse_direction_NS_24const_host_device_scalarIT1_EES1_PKS1_PKT2_SA_S7_PKT4_PKT5_S5_PT6_21rocsparse_index_base_b,@function
_ZN9rocsparseL18bsrxmvn_4x4_kernelILj128ELj64EdlldddEEvT3_20rocsparse_direction_NS_24const_host_device_scalarIT1_EES1_PKS1_PKT2_SA_S7_PKT4_PKT5_S5_PT6_21rocsparse_index_base_b: ; @_ZN9rocsparseL18bsrxmvn_4x4_kernelILj128ELj64EdlldddEEvT3_20rocsparse_direction_NS_24const_host_device_scalarIT1_EES1_PKS1_PKT2_SA_S7_PKT4_PKT5_S5_PT6_21rocsparse_index_base_b
; %bb.0:
	s_load_dwordx2 s[8:9], s[0:1], 0x60
	s_load_dwordx4 s[4:7], s[0:1], 0x10
	s_load_dwordx2 s[10:11], s[0:1], 0x50
	s_waitcnt lgkmcnt(0)
	s_bitcmp1_b32 s9, 0
	s_cselect_b64 s[14:15], -1, 0
	s_xor_b64 s[12:13], s[14:15], -1
	s_and_b64 vcc, exec, s[14:15]
	v_mov_b64_e32 v[34:35], s[4:5]
	s_cbranch_vccnz .LBB49_2
; %bb.1:
	v_mov_b64_e32 v[2:3], s[4:5]
	flat_load_dwordx2 v[34:35], v[2:3]
.LBB49_2:
	s_andn2_b64 vcc, exec, s[12:13]
	v_mov_b64_e32 v[32:33], s[10:11]
	s_cbranch_vccnz .LBB49_4
; %bb.3:
	v_mov_b64_e32 v[2:3], s[10:11]
	flat_load_dwordx2 v[32:33], v[2:3]
.LBB49_4:
	s_waitcnt vmcnt(0) lgkmcnt(0)
	v_cmp_neq_f64_e32 vcc, 0, v[34:35]
	v_cmp_neq_f64_e64 s[4:5], 1.0, v[32:33]
	s_mov_b64 s[10:11], 0
	s_or_b64 s[4:5], vcc, s[4:5]
	s_and_saveexec_b64 s[12:13], s[4:5]
	s_cbranch_execz .LBB49_10
; %bb.5:
	s_load_dwordx2 s[4:5], s[0:1], 0x20
	v_lshrrev_b32_e32 v1, 6, v0
	v_lshl_or_b32 v2, s2, 1, v1
	v_mov_b32_e32 v3, 0
	s_mov_b64 s[2:3], 0
	s_waitcnt lgkmcnt(0)
	s_cmp_lg_u64 s[4:5], 0
	s_cbranch_scc0 .LBB49_11
; %bb.6:
	v_cmp_gt_i64_e32 vcc, s[6:7], v[2:3]
                                        ; implicit-def: $vgpr36_vgpr37
                                        ; implicit-def: $vgpr40_vgpr41
	s_and_saveexec_b64 s[6:7], vcc
	s_xor_b64 s[6:7], exec, s[6:7]
	s_cbranch_execz .LBB49_8
; %bb.7:
	v_lshl_add_u64 v[4:5], v[2:3], 3, s[4:5]
	global_load_dwordx2 v[4:5], v[4:5], off
	s_mov_b32 s9, 0
	s_mov_b64 s[2:3], exec
	v_mov_b64_e32 v[40:41], s[8:9]
	s_waitcnt vmcnt(0)
	v_subrev_co_u32_e32 v36, vcc, s8, v4
	s_nop 1
	v_subbrev_co_u32_e32 v37, vcc, 0, v5, vcc
.LBB49_8:
	s_or_b64 exec, exec, s[6:7]
	s_mov_b64 s[10:11], s[2:3]
.LBB49_9:
	s_and_b64 exec, exec, s[10:11]
	s_cbranch_execnz .LBB49_15
.LBB49_10:
	s_endpgm
.LBB49_11:
                                        ; implicit-def: $vgpr36_vgpr37
                                        ; implicit-def: $vgpr40_vgpr41
	s_cbranch_execz .LBB49_9
; %bb.12:
	s_load_dwordx2 s[2:3], s[0:1], 0x0
	s_waitcnt lgkmcnt(0)
	v_cmp_gt_i64_e32 vcc, s[2:3], v[2:3]
	s_and_saveexec_b64 s[2:3], vcc
; %bb.13:
	s_mov_b32 s9, 0
	s_or_b64 s[10:11], s[10:11], exec
; %bb.14:
	s_or_b64 exec, exec, s[2:3]
	v_mov_b64_e32 v[40:41], s[8:9]
	v_mov_b64_e32 v[36:37], v[2:3]
	s_and_b64 exec, exec, s[10:11]
	s_cbranch_execz .LBB49_10
.LBB49_15:
	s_load_dwordx8 s[4:11], s[0:1], 0x28
	v_lshlrev_b64 v[2:3], 3, v[36:37]
	v_and_b32_e32 v38, 63, v0
	v_mov_b32_e32 v39, 0
	s_waitcnt lgkmcnt(0)
	v_lshl_add_u64 v[4:5], s[4:5], 0, v[2:3]
	s_cmp_eq_u64 s[6:7], 0
	v_lshl_add_u64 v[2:3], s[6:7], 0, v[2:3]
	global_load_dwordx2 v[56:57], v[4:5], off
	v_lshl_add_u64 v[4:5], v[4:5], 0, 8
	s_cselect_b64 vcc, -1, 0
	v_cndmask_b32_e32 v3, v3, v5, vcc
	v_cndmask_b32_e32 v2, v2, v4, vcc
	global_load_dwordx2 v[2:3], v[2:3], off
	s_load_dword s2, s[0:1], 0x8
	s_load_dwordx2 s[12:13], s[0:1], 0x48
	s_waitcnt lgkmcnt(0)
	s_cmp_eq_u32 s2, 1
	s_waitcnt vmcnt(1)
	v_sub_co_u32_e32 v0, vcc, v56, v40
	s_nop 1
	v_subb_co_u32_e32 v1, vcc, v57, v41, vcc
	v_lshl_add_u64 v[44:45], v[0:1], 0, v[38:39]
	s_waitcnt vmcnt(0)
	v_sub_co_u32_e32 v46, vcc, v2, v40
	v_lshlrev_b64 v[0:1], 7, v[44:45]
	s_nop 0
	v_subb_co_u32_e32 v47, vcc, v3, v41, vcc
	v_lshl_add_u64 v[48:49], s[10:11], 0, v[0:1]
	v_cmp_lt_i64_e64 s[2:3], v[44:45], v[46:47]
	s_cbranch_scc1 .LBB49_27
; %bb.16:
	v_mov_b64_e32 v[42:43], 0
	v_mov_b64_e32 v[50:51], 0
	;; [unrolled: 1-line block ×4, first 2 shown]
	s_and_saveexec_b64 s[10:11], s[2:3]
	s_cbranch_execz .LBB49_26
; %bb.17:
	v_or_b32_e32 v0, 64, v38
	v_sub_co_u32_e32 v0, vcc, v0, v40
	v_not_b32_e32 v3, v57
	s_nop 0
	v_subb_co_u32_e32 v1, vcc, 0, v41, vcc
	v_lshl_add_u64 v[0:1], v[0:1], 0, v[56:57]
	v_cmp_gt_i64_e32 vcc, v[0:1], v[46:47]
	v_not_b32_e32 v2, v56
	s_mov_b64 s[4:5], 0xc0
	v_cndmask_b32_e32 v1, v47, v1, vcc
	v_cndmask_b32_e32 v0, v46, v0, vcc
	v_sub_co_u32_e32 v4, vcc, v40, v38
	v_mov_b64_e32 v[54:55], 0
	s_nop 0
	v_subbrev_co_u32_e32 v5, vcc, 0, v41, vcc
	v_lshl_add_u64 v[2:3], v[4:5], 0, v[2:3]
	v_lshl_add_u64 v[0:1], v[2:3], 0, v[0:1]
	v_and_b32_e32 v2, 0xc0, v0
	v_mov_b32_e32 v3, 0
	v_cmp_ne_u64_e32 vcc, s[4:5], v[2:3]
	v_mov_b64_e32 v[52:53], 0
	v_mov_b64_e32 v[50:51], 0
	;; [unrolled: 1-line block ×5, first 2 shown]
	s_and_saveexec_b64 s[4:5], vcc
	s_cbranch_execz .LBB49_21
; %bb.18:
	v_lshrrev_b32_e32 v2, 6, v0
	v_add_u32_e32 v2, 1, v2
	v_and_b32_e32 v4, 3, v2
	v_sub_co_u32_e32 v4, vcc, 0, v4
	v_lshl_add_u64 v[2:3], v[44:45], 3, s[8:9]
	s_nop 0
	v_subb_co_u32_e64 v5, s[14:15], 0, 0, vcc
	s_mov_b64 s[6:7], 0
	v_mov_b64_e32 v[42:43], 0
	s_mov_b64 s[14:15], 0x2000
	s_mov_b64 s[16:17], 0x200
	v_mov_b64_e32 v[60:61], v[48:49]
	v_mov_b64_e32 v[58:59], v[44:45]
	v_mov_b64_e32 v[50:51], 0
	v_mov_b64_e32 v[52:53], 0
	v_mov_b64_e32 v[54:55], 0
.LBB49_19:                              ; =>This Inner Loop Header: Depth=1
	global_load_dwordx2 v[30:31], v[2:3], off
	global_load_dwordx4 v[6:9], v[60:61], off offset:48
	global_load_dwordx4 v[10:13], v[60:61], off offset:32
	;; [unrolled: 1-line block ×3, first 2 shown]
	global_load_dwordx4 v[18:21], v[60:61], off
	global_load_dwordx4 v[22:25], v[60:61], off offset:112
	global_load_dwordx4 v[26:29], v[60:61], off offset:96
	;; [unrolled: 1-line block ×4, first 2 shown]
	v_lshl_add_u64 v[4:5], v[4:5], 0, 1
	v_lshl_add_u64 v[60:61], v[60:61], 0, s[14:15]
	;; [unrolled: 1-line block ×4, first 2 shown]
	s_waitcnt vmcnt(8)
	v_sub_co_u32_e32 v30, vcc, v30, v40
	s_nop 1
	v_subb_co_u32_e32 v31, vcc, v31, v41, vcc
	v_lshlrev_b64 v[30:31], 5, v[30:31]
	v_lshl_add_u64 v[30:31], s[12:13], 0, v[30:31]
	global_load_dwordx4 v[70:73], v[30:31], off
	global_load_dwordx4 v[74:77], v[30:31], off offset:16
	v_cmp_eq_u64_e32 vcc, 0, v[4:5]
	s_or_b64 s[6:7], vcc, s[6:7]
	s_waitcnt vmcnt(1)
	v_fmac_f64_e32 v[54:55], v[18:19], v[70:71]
	v_fmac_f64_e32 v[52:53], v[10:11], v[70:71]
	;; [unrolled: 1-line block ×8, first 2 shown]
	s_waitcnt vmcnt(0)
	v_fmac_f64_e32 v[54:55], v[14:15], v[74:75]
	v_fmac_f64_e32 v[52:53], v[6:7], v[74:75]
	;; [unrolled: 1-line block ×8, first 2 shown]
	s_andn2_b64 exec, exec, s[6:7]
	s_cbranch_execnz .LBB49_19
; %bb.20:
	s_or_b64 exec, exec, s[6:7]
.LBB49_21:
	s_or_b64 exec, exec, s[4:5]
	s_mov_b64 s[4:5], 0xbf
	v_cmp_lt_u64_e32 vcc, s[4:5], v[0:1]
	s_and_saveexec_b64 s[14:15], vcc
	s_cbranch_execz .LBB49_25
; %bb.22:
	v_lshl_add_u64 v[0:1], v[58:59], 3, s[8:9]
	s_mov_b64 s[4:5], 0x400
	v_lshl_add_u64 v[62:63], v[0:1], 0, s[4:5]
	s_mov_b64 s[16:17], 0
	s_mov_b64 s[18:19], 0x2000
	s_movk_i32 s30, 0x2000
	s_mov_b64 s[20:21], 0x4000
	s_movk_i32 s31, 0x4000
	;; [unrolled: 2-line block ×3, first 2 shown]
	s_mov_b64 s[24:25], 0x100
	s_mov_b64 s[26:27], 0x800
	;; [unrolled: 1-line block ×3, first 2 shown]
.LBB49_23:                              ; =>This Inner Loop Header: Depth=1
	global_load_dwordx2 v[68:69], v[62:63], off offset:-1024
	global_load_dwordx4 v[0:3], v[60:61], off offset:48
	global_load_dwordx4 v[8:11], v[60:61], off offset:32
	;; [unrolled: 1-line block ×3, first 2 shown]
	global_load_dwordx4 v[20:23], v[60:61], off
	global_load_dwordx4 v[12:15], v[60:61], off offset:112
	global_load_dwordx4 v[24:27], v[60:61], off offset:96
	;; [unrolled: 1-line block ×4, first 2 shown]
	v_add_co_u32_e32 v70, vcc, s30, v60
	v_add_co_u32_e64 v64, s[4:5], s31, v60
	v_add_co_u32_e64 v74, s[6:7], s33, v60
	v_addc_co_u32_e32 v71, vcc, 0, v61, vcc
	v_addc_co_u32_e64 v65, vcc, 0, v61, s[4:5]
	v_addc_co_u32_e64 v75, vcc, 0, v61, s[6:7]
	v_lshl_add_u64 v[92:93], v[60:61], 0, s[18:19]
	global_load_dwordx2 v[98:99], v[62:63], off offset:-512
	global_load_dwordx2 v[66:67], v[62:63], off
	global_load_dwordx2 v[72:73], v[62:63], off offset:512
	global_load_dwordx4 v[76:79], v[92:93], off offset:48
	global_load_dwordx4 v[80:83], v[92:93], off offset:32
	v_lshl_add_u64 v[96:97], v[60:61], 0, s[20:21]
	v_lshl_add_u64 v[100:101], v[60:61], 0, s[22:23]
	;; [unrolled: 1-line block ×5, first 2 shown]
	s_waitcnt vmcnt(13)
	v_sub_co_u32_e32 v68, vcc, v68, v40
	s_nop 1
	v_subb_co_u32_e32 v69, vcc, v69, v41, vcc
	v_lshlrev_b64 v[68:69], 5, v[68:69]
	v_lshl_add_u64 v[68:69], s[12:13], 0, v[68:69]
	global_load_dwordx4 v[84:87], v[68:69], off
	s_waitcnt vmcnt(0)
	v_fmac_f64_e32 v[54:55], v[20:21], v[84:85]
	v_fmac_f64_e32 v[52:53], v[8:9], v[84:85]
	;; [unrolled: 1-line block ×5, first 2 shown]
	global_load_dwordx4 v[20:23], v[92:93], off offset:16
	v_fmac_f64_e32 v[52:53], v[10:11], v[86:87]
	global_load_dwordx4 v[8:11], v[92:93], off offset:112
	v_fmac_f64_e32 v[50:51], v[30:31], v[86:87]
	;; [unrolled: 2-line block ×3, first 2 shown]
	global_load_dwordx4 v[24:27], v[92:93], off offset:80
	global_load_dwordx4 v[84:87], v[92:93], off offset:64
	;; [unrolled: 1-line block ×3, first 2 shown]
	v_sub_co_u32_e32 v68, vcc, v98, v40
	global_load_dwordx4 v[92:95], v[96:97], off offset:32
	s_nop 0
	v_subb_co_u32_e32 v69, vcc, v99, v41, vcc
	v_lshlrev_b64 v[68:69], 5, v[68:69]
	v_lshl_add_u64 v[98:99], s[12:13], 0, v[68:69]
	s_waitcnt vmcnt(1)
	v_fmac_f64_e32 v[54:55], v[4:5], v[88:89]
	v_fmac_f64_e32 v[52:53], v[0:1], v[88:89]
	;; [unrolled: 1-line block ×6, first 2 shown]
	global_load_dwordx4 v[0:3], v[96:97], off offset:16
	v_fmac_f64_e32 v[50:51], v[18:19], v[90:91]
	global_load_dwordx4 v[4:7], v[96:97], off offset:112
	v_fmac_f64_e32 v[42:43], v[14:15], v[90:91]
	global_load_dwordx4 v[12:15], v[96:97], off offset:96
	global_load_dwordx4 v[16:19], v[70:71], off
	s_nop 0
	global_load_dwordx4 v[68:71], v[98:99], off
	s_waitcnt vmcnt(0)
	v_fmac_f64_e32 v[54:55], v[16:17], v[68:69]
	v_fmac_f64_e32 v[52:53], v[80:81], v[68:69]
	;; [unrolled: 1-line block ×5, first 2 shown]
	global_load_dwordx4 v[16:19], v[96:97], off offset:80
	v_fmac_f64_e32 v[52:53], v[82:83], v[70:71]
	global_load_dwordx4 v[80:83], v[96:97], off offset:48
	v_fmac_f64_e32 v[50:51], v[86:87], v[70:71]
	;; [unrolled: 2-line block ×3, first 2 shown]
	global_load_dwordx4 v[28:31], v[100:101], off offset:48
	global_load_dwordx4 v[68:71], v[100:101], off offset:32
	;; [unrolled: 1-line block ×3, first 2 shown]
	s_waitcnt vmcnt(0)
	v_fmac_f64_e32 v[54:55], v[20:21], v[88:89]
	v_fmac_f64_e32 v[42:43], v[8:9], v[88:89]
	;; [unrolled: 1-line block ×3, first 2 shown]
	global_load_dwordx4 v[20:23], v[100:101], off offset:16
	v_fmac_f64_e32 v[42:43], v[10:11], v[90:91]
	global_load_dwordx4 v[8:11], v[64:65], off
	v_sub_co_u32_e32 v64, vcc, v66, v40
	v_fmac_f64_e32 v[52:53], v[76:77], v[88:89]
	s_nop 0
	v_subb_co_u32_e32 v65, vcc, v67, v41, vcc
	v_lshlrev_b64 v[64:65], 5, v[64:65]
	v_lshl_add_u64 v[96:97], s[12:13], 0, v[64:65]
	global_load_dwordx4 v[64:67], v[96:97], off
	v_sub_co_u32_e32 v72, vcc, v72, v40
	v_fmac_f64_e32 v[52:53], v[78:79], v[90:91]
	s_nop 0
	v_subb_co_u32_e32 v73, vcc, v73, v41, vcc
	v_fmac_f64_e32 v[50:51], v[24:25], v[88:89]
	v_lshlrev_b64 v[72:73], 5, v[72:73]
	global_load_dwordx4 v[76:79], v[100:101], off offset:96
	v_fmac_f64_e32 v[50:51], v[26:27], v[90:91]
	global_load_dwordx4 v[24:27], v[100:101], off offset:80
	v_lshl_add_u64 v[98:99], s[12:13], 0, v[72:73]
	v_cmp_ge_i64_e32 vcc, v[58:59], v[46:47]
	s_or_b64 s[16:17], vcc, s[16:17]
	s_waitcnt vmcnt(2)
	v_fmac_f64_e32 v[54:55], v[8:9], v[64:65]
	v_fmac_f64_e32 v[52:53], v[92:93], v[64:65]
	;; [unrolled: 1-line block ×3, first 2 shown]
	global_load_dwordx4 v[8:11], v[100:101], off offset:64
	global_load_dwordx4 v[88:91], v[100:101], off offset:112
	v_fmac_f64_e32 v[52:53], v[94:95], v[66:67]
	global_load_dwordx4 v[92:95], v[74:75], off
	v_fmac_f64_e32 v[50:51], v[84:85], v[64:65]
	global_load_dwordx4 v[72:75], v[96:97], off offset:16
	v_fmac_f64_e32 v[50:51], v[86:87], v[66:67]
	global_load_dwordx4 v[84:87], v[98:99], off
	v_fmac_f64_e32 v[42:43], v[12:13], v[64:65]
	v_fmac_f64_e32 v[42:43], v[14:15], v[66:67]
	global_load_dwordx4 v[12:15], v[98:99], off offset:16
	s_waitcnt vmcnt(2)
	v_fmac_f64_e32 v[54:55], v[0:1], v[72:73]
	v_fmac_f64_e32 v[52:53], v[80:81], v[72:73]
	v_fmac_f64_e32 v[50:51], v[16:17], v[72:73]
	v_fmac_f64_e32 v[42:43], v[4:5], v[72:73]
	v_fmac_f64_e32 v[54:55], v[2:3], v[74:75]
	v_fmac_f64_e32 v[52:53], v[82:83], v[74:75]
	v_fmac_f64_e32 v[50:51], v[18:19], v[74:75]
	v_fmac_f64_e32 v[42:43], v[6:7], v[74:75]
	s_waitcnt vmcnt(1)
	v_fmac_f64_e32 v[54:55], v[92:93], v[84:85]
	v_fmac_f64_e32 v[52:53], v[68:69], v[84:85]
	v_fmac_f64_e32 v[50:51], v[8:9], v[84:85]
	v_fmac_f64_e32 v[42:43], v[76:77], v[84:85]
	v_fmac_f64_e32 v[54:55], v[94:95], v[86:87]
	v_fmac_f64_e32 v[52:53], v[70:71], v[86:87]
	v_fmac_f64_e32 v[50:51], v[10:11], v[86:87]
	v_fmac_f64_e32 v[42:43], v[78:79], v[86:87]
	;; [unrolled: 9-line block ×3, first 2 shown]
	s_andn2_b64 exec, exec, s[16:17]
	s_cbranch_execnz .LBB49_23
; %bb.24:
	s_or_b64 exec, exec, s[16:17]
.LBB49_25:
	s_or_b64 exec, exec, s[14:15]
.LBB49_26:
	s_or_b64 exec, exec, s[10:11]
	s_cbranch_execz .LBB49_28
	s_branch .LBB49_39
.LBB49_27:
                                        ; implicit-def: $vgpr42_vgpr43
                                        ; implicit-def: $vgpr50_vgpr51
                                        ; implicit-def: $vgpr52_vgpr53
                                        ; implicit-def: $vgpr54_vgpr55
.LBB49_28:
	v_mov_b64_e32 v[42:43], 0
	v_mov_b64_e32 v[50:51], 0
	;; [unrolled: 1-line block ×4, first 2 shown]
	s_and_saveexec_b64 s[4:5], s[2:3]
	s_cbranch_execz .LBB49_38
; %bb.29:
	v_or_b32_e32 v0, 64, v38
	v_sub_co_u32_e32 v0, vcc, v0, v40
	v_not_b32_e32 v3, v57
	s_nop 0
	v_subb_co_u32_e32 v1, vcc, 0, v41, vcc
	v_lshl_add_u64 v[0:1], v[0:1], 0, v[56:57]
	v_cmp_gt_i64_e32 vcc, v[0:1], v[46:47]
	v_not_b32_e32 v2, v56
	s_mov_b64 s[2:3], 0xc0
	v_cndmask_b32_e32 v1, v47, v1, vcc
	v_cndmask_b32_e32 v0, v46, v0, vcc
	v_sub_co_u32_e32 v4, vcc, v40, v38
	v_mov_b64_e32 v[54:55], 0
	s_nop 0
	v_subbrev_co_u32_e32 v5, vcc, 0, v41, vcc
	v_lshl_add_u64 v[2:3], v[4:5], 0, v[2:3]
	v_lshl_add_u64 v[0:1], v[2:3], 0, v[0:1]
	v_and_b32_e32 v2, 0xc0, v0
	v_mov_b32_e32 v3, 0
	v_cmp_ne_u64_e32 vcc, s[2:3], v[2:3]
	v_mov_b64_e32 v[52:53], 0
	v_mov_b64_e32 v[50:51], 0
	v_mov_b64_e32 v[42:43], 0
	s_and_saveexec_b64 s[2:3], vcc
	s_cbranch_execz .LBB49_33
; %bb.30:
	v_lshrrev_b32_e32 v2, 6, v0
	v_add_u32_e32 v2, 1, v2
	v_and_b32_e32 v4, 3, v2
	v_sub_co_u32_e32 v4, vcc, 0, v4
	v_lshl_add_u64 v[2:3], v[44:45], 3, s[8:9]
	s_nop 0
	v_subb_co_u32_e64 v5, s[10:11], 0, 0, vcc
	s_mov_b64 s[6:7], 0
	v_mov_b64_e32 v[42:43], 0
	s_mov_b64 s[10:11], 0x2000
	s_mov_b64 s[14:15], 0x200
	v_mov_b64_e32 v[50:51], 0
	v_mov_b64_e32 v[52:53], 0
	v_mov_b64_e32 v[54:55], 0
.LBB49_31:                              ; =>This Inner Loop Header: Depth=1
	global_load_dwordx2 v[30:31], v[2:3], off
	global_load_dwordx4 v[6:9], v[48:49], off offset:48
	global_load_dwordx4 v[10:13], v[48:49], off offset:32
	;; [unrolled: 1-line block ×3, first 2 shown]
	global_load_dwordx4 v[18:21], v[48:49], off
	global_load_dwordx4 v[22:25], v[48:49], off offset:80
	global_load_dwordx4 v[26:29], v[48:49], off offset:64
	v_lshl_add_u64 v[4:5], v[4:5], 0, 1
	v_lshl_add_u64 v[44:45], v[44:45], 0, 64
	;; [unrolled: 1-line block ×3, first 2 shown]
	s_waitcnt vmcnt(6)
	v_sub_co_u32_e32 v30, vcc, v30, v40
	s_nop 1
	v_subb_co_u32_e32 v31, vcc, v31, v41, vcc
	v_lshlrev_b64 v[30:31], 5, v[30:31]
	v_lshl_add_u64 v[30:31], s[12:13], 0, v[30:31]
	global_load_dwordx4 v[56:59], v[30:31], off
	global_load_dwordx4 v[60:63], v[30:31], off offset:16
	global_load_dwordx4 v[64:67], v[48:49], off offset:96
	;; [unrolled: 1-line block ×3, first 2 shown]
	v_cmp_eq_u64_e32 vcc, 0, v[4:5]
	v_lshl_add_u64 v[48:49], v[48:49], 0, s[10:11]
	s_or_b64 s[6:7], vcc, s[6:7]
	s_waitcnt vmcnt(3)
	v_fmac_f64_e32 v[54:55], v[18:19], v[56:57]
	v_fmac_f64_e32 v[52:53], v[20:21], v[56:57]
	;; [unrolled: 1-line block ×8, first 2 shown]
	s_waitcnt vmcnt(2)
	v_fmac_f64_e32 v[54:55], v[26:27], v[60:61]
	v_fmac_f64_e32 v[52:53], v[28:29], v[60:61]
	;; [unrolled: 1-line block ×4, first 2 shown]
	s_waitcnt vmcnt(1)
	v_fmac_f64_e32 v[54:55], v[64:65], v[62:63]
	v_fmac_f64_e32 v[52:53], v[66:67], v[62:63]
	s_waitcnt vmcnt(0)
	v_fmac_f64_e32 v[50:51], v[68:69], v[62:63]
	v_fmac_f64_e32 v[42:43], v[70:71], v[62:63]
	s_andn2_b64 exec, exec, s[6:7]
	s_cbranch_execnz .LBB49_31
; %bb.32:
	s_or_b64 exec, exec, s[6:7]
.LBB49_33:
	s_or_b64 exec, exec, s[2:3]
	s_mov_b64 s[2:3], 0xbf
	v_cmp_lt_u64_e32 vcc, s[2:3], v[0:1]
	s_and_saveexec_b64 s[2:3], vcc
	s_cbranch_execz .LBB49_37
; %bb.34:
	v_lshl_add_u64 v[0:1], v[44:45], 3, s[8:9]
	s_mov_b64 s[6:7], 0x400
	v_lshl_add_u64 v[56:57], v[0:1], 0, s[6:7]
	s_mov_b64 s[6:7], 0
	s_mov_b64 s[8:9], 0x2000
	s_movk_i32 s22, 0x2000
	s_mov_b64 s[10:11], 0x4000
	s_movk_i32 s23, 0x4000
	;; [unrolled: 2-line block ×3, first 2 shown]
	s_mov_b64 s[16:17], 0x100
	s_mov_b64 s[18:19], 0x800
	;; [unrolled: 1-line block ×3, first 2 shown]
.LBB49_35:                              ; =>This Inner Loop Header: Depth=1
	global_load_dwordx2 v[58:59], v[56:57], off offset:-1024
	global_load_dwordx4 v[0:3], v[48:49], off offset:48
	global_load_dwordx4 v[4:7], v[48:49], off offset:32
	;; [unrolled: 1-line block ×3, first 2 shown]
	global_load_dwordx4 v[12:15], v[48:49], off
	global_load_dwordx4 v[16:19], v[48:49], off offset:112
	global_load_dwordx4 v[20:23], v[48:49], off offset:96
	;; [unrolled: 1-line block ×4, first 2 shown]
	v_add_co_u32_e32 v60, vcc, s22, v48
	global_load_dwordx2 v[76:77], v[56:57], off offset:-512
	global_load_dwordx2 v[82:83], v[56:57], off
	global_load_dwordx2 v[84:85], v[56:57], off offset:512
	v_addc_co_u32_e32 v61, vcc, 0, v49, vcc
	v_add_co_u32_e32 v74, vcc, s23, v48
	v_lshl_add_u64 v[72:73], v[48:49], 0, s[8:9]
	s_nop 0
	v_addc_co_u32_e32 v75, vcc, 0, v49, vcc
	v_add_co_u32_e32 v88, vcc, s24, v48
	global_load_dwordx4 v[60:63], v[60:61], off
	s_nop 0
	v_addc_co_u32_e32 v89, vcc, 0, v49, vcc
	v_lshl_add_u64 v[80:81], v[48:49], 0, s[10:11]
	v_lshl_add_u64 v[86:87], v[48:49], 0, s[14:15]
	;; [unrolled: 1-line block ×5, first 2 shown]
	s_waitcnt vmcnt(12)
	v_sub_co_u32_e32 v58, vcc, v58, v40
	s_nop 1
	v_subb_co_u32_e32 v59, vcc, v59, v41, vcc
	v_lshlrev_b64 v[58:59], 5, v[58:59]
	v_lshl_add_u64 v[58:59], s[12:13], 0, v[58:59]
	global_load_dwordx4 v[64:67], v[58:59], off
	s_waitcnt vmcnt(0)
	v_fmac_f64_e32 v[54:55], v[12:13], v[64:65]
	v_fmac_f64_e32 v[52:53], v[14:15], v[64:65]
	;; [unrolled: 1-line block ×4, first 2 shown]
	global_load_dwordx4 v[12:15], v[72:73], off offset:32
	global_load_dwordx4 v[8:11], v[72:73], off offset:16
	v_fmac_f64_e32 v[54:55], v[4:5], v[66:67]
	v_fmac_f64_e32 v[52:53], v[6:7], v[66:67]
	global_load_dwordx4 v[4:7], v[72:73], off offset:112
	v_fmac_f64_e32 v[50:51], v[0:1], v[66:67]
	v_fmac_f64_e32 v[42:43], v[2:3], v[66:67]
	global_load_dwordx4 v[0:3], v[72:73], off offset:96
	global_load_dwordx4 v[64:67], v[58:59], off offset:16
	v_sub_co_u32_e32 v58, vcc, v76, v40
	s_waitcnt vmcnt(0)
	v_fmac_f64_e32 v[54:55], v[28:29], v[64:65]
	v_subb_co_u32_e32 v59, vcc, v77, v41, vcc
	v_lshlrev_b64 v[58:59], 5, v[58:59]
	v_fmac_f64_e32 v[52:53], v[30:31], v[64:65]
	v_fmac_f64_e32 v[50:51], v[24:25], v[64:65]
	;; [unrolled: 1-line block ×3, first 2 shown]
	v_lshl_add_u64 v[76:77], s[12:13], 0, v[58:59]
	global_load_dwordx4 v[28:31], v[72:73], off offset:80
	global_load_dwordx4 v[24:27], v[72:73], off offset:48
	;; [unrolled: 1-line block ×3, first 2 shown]
	v_fmac_f64_e32 v[54:55], v[20:21], v[66:67]
	v_fmac_f64_e32 v[52:53], v[22:23], v[66:67]
	;; [unrolled: 1-line block ×4, first 2 shown]
	global_load_dwordx4 v[64:67], v[76:77], off
	global_load_dwordx4 v[20:23], v[74:75], off
	global_load_dwordx4 v[16:19], v[80:81], off offset:48
	s_waitcnt vmcnt(2)
	v_fmac_f64_e32 v[54:55], v[60:61], v[64:65]
	v_fmac_f64_e32 v[52:53], v[62:63], v[64:65]
	v_fmac_f64_e32 v[50:51], v[8:9], v[64:65]
	v_fmac_f64_e32 v[42:43], v[10:11], v[64:65]
	global_load_dwordx4 v[58:61], v[80:81], off offset:32
	global_load_dwordx4 v[8:11], v[80:81], off offset:16
	v_fmac_f64_e32 v[54:55], v[12:13], v[66:67]
	v_fmac_f64_e32 v[52:53], v[14:15], v[66:67]
	global_load_dwordx4 v[12:15], v[80:81], off offset:112
	v_fmac_f64_e32 v[50:51], v[24:25], v[66:67]
	v_fmac_f64_e32 v[42:43], v[26:27], v[66:67]
	global_load_dwordx4 v[24:27], v[80:81], off offset:96
	global_load_dwordx4 v[62:65], v[80:81], off offset:80
	;; [unrolled: 1-line block ×3, first 2 shown]
	s_waitcnt vmcnt(0)
	v_fmac_f64_e32 v[52:53], v[70:71], v[72:73]
	v_sub_co_u32_e32 v70, vcc, v82, v40
	v_fmac_f64_e32 v[54:55], v[68:69], v[72:73]
	v_fmac_f64_e32 v[50:51], v[28:29], v[72:73]
	;; [unrolled: 1-line block ×3, first 2 shown]
	v_subb_co_u32_e32 v71, vcc, v83, v41, vcc
	v_fmac_f64_e32 v[54:55], v[0:1], v[74:75]
	v_fmac_f64_e32 v[52:53], v[2:3], v[74:75]
	;; [unrolled: 1-line block ×4, first 2 shown]
	v_sub_co_u32_e32 v74, vcc, v84, v40
	v_lshlrev_b64 v[70:71], 5, v[70:71]
	s_nop 0
	v_subb_co_u32_e32 v75, vcc, v85, v41, vcc
	v_lshl_add_u64 v[84:85], s[12:13], 0, v[70:71]
	global_load_dwordx4 v[66:69], v[80:81], off offset:64
	global_load_dwordx4 v[76:79], v[88:89], off
	global_load_dwordx4 v[70:73], v[84:85], off
	global_load_dwordx4 v[28:31], v[86:87], off offset:48
	global_load_dwordx4 v[0:3], v[86:87], off offset:32
	;; [unrolled: 1-line block ×3, first 2 shown]
	v_cmp_ge_i64_e32 vcc, v[44:45], v[46:47]
	s_or_b64 s[6:7], vcc, s[6:7]
	s_waitcnt vmcnt(3)
	v_fmac_f64_e32 v[54:55], v[20:21], v[70:71]
	v_fmac_f64_e32 v[52:53], v[22:23], v[70:71]
	;; [unrolled: 1-line block ×4, first 2 shown]
	v_lshlrev_b64 v[70:71], 5, v[74:75]
	global_load_dwordx4 v[20:23], v[86:87], off offset:96
	global_load_dwordx4 v[8:11], v[86:87], off offset:80
	v_fmac_f64_e32 v[54:55], v[58:59], v[72:73]
	v_fmac_f64_e32 v[52:53], v[60:61], v[72:73]
	global_load_dwordx4 v[58:61], v[86:87], off offset:64
	v_lshl_add_u64 v[74:75], s[12:13], 0, v[70:71]
	v_fmac_f64_e32 v[50:51], v[16:17], v[72:73]
	v_fmac_f64_e32 v[42:43], v[18:19], v[72:73]
	global_load_dwordx4 v[16:19], v[84:85], off offset:16
	global_load_dwordx4 v[70:73], v[74:75], off
	global_load_dwordx4 v[80:83], v[74:75], off offset:16
	s_waitcnt vmcnt(2)
	v_fmac_f64_e32 v[54:55], v[66:67], v[16:17]
	v_fmac_f64_e32 v[52:53], v[68:69], v[16:17]
	global_load_dwordx4 v[66:69], v[86:87], off offset:112
	v_fmac_f64_e32 v[50:51], v[62:63], v[16:17]
	v_fmac_f64_e32 v[42:43], v[64:65], v[16:17]
	;; [unrolled: 1-line block ×6, first 2 shown]
	s_waitcnt vmcnt(2)
	v_fmac_f64_e32 v[54:55], v[76:77], v[70:71]
	v_fmac_f64_e32 v[52:53], v[78:79], v[70:71]
	v_fmac_f64_e32 v[50:51], v[4:5], v[70:71]
	v_fmac_f64_e32 v[42:43], v[6:7], v[70:71]
	v_fmac_f64_e32 v[54:55], v[0:1], v[72:73]
	v_fmac_f64_e32 v[52:53], v[2:3], v[72:73]
	v_fmac_f64_e32 v[50:51], v[28:29], v[72:73]
	v_fmac_f64_e32 v[42:43], v[30:31], v[72:73]
	s_waitcnt vmcnt(1)
	v_fmac_f64_e32 v[54:55], v[58:59], v[80:81]
	v_fmac_f64_e32 v[52:53], v[60:61], v[80:81]
	;; [unrolled: 1-line block ×6, first 2 shown]
	s_waitcnt vmcnt(0)
	v_fmac_f64_e32 v[50:51], v[66:67], v[82:83]
	v_fmac_f64_e32 v[42:43], v[68:69], v[82:83]
	s_andn2_b64 exec, exec, s[6:7]
	s_cbranch_execnz .LBB49_35
; %bb.36:
	s_or_b64 exec, exec, s[6:7]
.LBB49_37:
	s_or_b64 exec, exec, s[2:3]
.LBB49_38:
	s_or_b64 exec, exec, s[4:5]
.LBB49_39:
	v_mov_b32_dpp v0, v54 row_shr:1 row_mask:0xf bank_mask:0xf
	v_mov_b32_dpp v1, v55 row_shr:1 row_mask:0xf bank_mask:0xf
	v_mov_b32_dpp v4, v52 row_shr:1 row_mask:0xf bank_mask:0xf
	v_mov_b32_dpp v5, v53 row_shr:1 row_mask:0xf bank_mask:0xf
	v_mov_b32_dpp v8, v50 row_shr:1 row_mask:0xf bank_mask:0xf
	v_mov_b32_dpp v9, v51 row_shr:1 row_mask:0xf bank_mask:0xf
	v_mov_b32_dpp v12, v42 row_shr:1 row_mask:0xf bank_mask:0xf
	v_mov_b32_dpp v13, v43 row_shr:1 row_mask:0xf bank_mask:0xf
	v_add_f64 v[0:1], v[54:55], v[0:1]
	v_add_f64 v[4:5], v[52:53], v[4:5]
	v_add_f64 v[8:9], v[50:51], v[8:9]
	v_add_f64 v[12:13], v[42:43], v[12:13]
	v_mov_b32_dpp v2, v0 row_shr:2 row_mask:0xf bank_mask:0xf
	v_mov_b32_dpp v3, v1 row_shr:2 row_mask:0xf bank_mask:0xf
	v_mov_b32_dpp v6, v4 row_shr:2 row_mask:0xf bank_mask:0xf
	v_mov_b32_dpp v7, v5 row_shr:2 row_mask:0xf bank_mask:0xf
	v_mov_b32_dpp v10, v8 row_shr:2 row_mask:0xf bank_mask:0xf
	v_mov_b32_dpp v11, v9 row_shr:2 row_mask:0xf bank_mask:0xf
	v_mov_b32_dpp v14, v12 row_shr:2 row_mask:0xf bank_mask:0xf
	v_mov_b32_dpp v15, v13 row_shr:2 row_mask:0xf bank_mask:0xf
	v_add_f64 v[0:1], v[0:1], v[2:3]
	v_add_f64 v[4:5], v[4:5], v[6:7]
	v_add_f64 v[8:9], v[8:9], v[10:11]
	v_add_f64 v[12:13], v[12:13], v[14:15]
	;; [unrolled: 12-line block ×4, first 2 shown]
	v_mov_b32_dpp v2, v0 row_bcast:15 row_mask:0xa bank_mask:0xf
	v_mov_b32_dpp v3, v1 row_bcast:15 row_mask:0xa bank_mask:0xf
	;; [unrolled: 1-line block ×8, first 2 shown]
	v_add_f64 v[0:1], v[0:1], v[2:3]
	v_add_f64 v[4:5], v[4:5], v[6:7]
	;; [unrolled: 1-line block ×4, first 2 shown]
	v_mov_b32_dpp v2, v0 row_bcast:31 row_mask:0xc bank_mask:0xf
	v_mov_b32_dpp v3, v1 row_bcast:31 row_mask:0xc bank_mask:0xf
	;; [unrolled: 1-line block ×8, first 2 shown]
	v_cmp_eq_u32_e32 vcc, 63, v38
	s_and_b64 exec, exec, vcc
	s_cbranch_execz .LBB49_10
; %bb.40:
	s_load_dwordx2 s[0:1], s[0:1], 0x58
	v_add_f64 v[0:1], v[0:1], v[2:3]
	v_add_f64 v[2:3], v[4:5], v[6:7]
	;; [unrolled: 1-line block ×4, first 2 shown]
	v_cmp_eq_f64_e32 vcc, 0, v[32:33]
	v_mul_f64 v[4:5], v[34:35], v[0:1]
	v_mul_f64 v[6:7], v[34:35], v[2:3]
	;; [unrolled: 1-line block ×4, first 2 shown]
	v_lshlrev_b64 v[8:9], 5, v[36:37]
	s_and_saveexec_b64 s[2:3], vcc
	s_xor_b64 s[2:3], exec, s[2:3]
	s_cbranch_execz .LBB49_42
; %bb.41:
	s_waitcnt lgkmcnt(0)
	v_lshl_add_u64 v[8:9], s[0:1], 0, v[8:9]
	global_store_dwordx4 v[8:9], v[4:7], off
	global_store_dwordx4 v[8:9], v[0:3], off offset:16
                                        ; implicit-def: $vgpr8_vgpr9
                                        ; implicit-def: $vgpr32_vgpr33
                                        ; implicit-def: $vgpr4_vgpr5
                                        ; implicit-def: $vgpr0_vgpr1
.LBB49_42:
	s_andn2_saveexec_b64 s[2:3], s[2:3]
	s_cbranch_execz .LBB49_10
; %bb.43:
	s_waitcnt lgkmcnt(0)
	v_lshl_add_u64 v[16:17], s[0:1], 0, v[8:9]
	global_load_dwordx4 v[8:11], v[16:17], off
	global_load_dwordx4 v[12:15], v[16:17], off offset:16
	s_waitcnt vmcnt(1)
	v_fmac_f64_e32 v[4:5], v[32:33], v[8:9]
	v_fmac_f64_e32 v[6:7], v[32:33], v[10:11]
	s_waitcnt vmcnt(0)
	v_fmac_f64_e32 v[0:1], v[32:33], v[12:13]
	v_fmac_f64_e32 v[2:3], v[32:33], v[14:15]
	global_store_dwordx4 v[16:17], v[4:7], off
	global_store_dwordx4 v[16:17], v[0:3], off offset:16
	s_endpgm
	.section	.rodata,"a",@progbits
	.p2align	6, 0x0
	.amdhsa_kernel _ZN9rocsparseL18bsrxmvn_4x4_kernelILj128ELj64EdlldddEEvT3_20rocsparse_direction_NS_24const_host_device_scalarIT1_EES1_PKS1_PKT2_SA_S7_PKT4_PKT5_S5_PT6_21rocsparse_index_base_b
		.amdhsa_group_segment_fixed_size 0
		.amdhsa_private_segment_fixed_size 0
		.amdhsa_kernarg_size 104
		.amdhsa_user_sgpr_count 2
		.amdhsa_user_sgpr_dispatch_ptr 0
		.amdhsa_user_sgpr_queue_ptr 0
		.amdhsa_user_sgpr_kernarg_segment_ptr 1
		.amdhsa_user_sgpr_dispatch_id 0
		.amdhsa_user_sgpr_kernarg_preload_length 0
		.amdhsa_user_sgpr_kernarg_preload_offset 0
		.amdhsa_user_sgpr_private_segment_size 0
		.amdhsa_uses_dynamic_stack 0
		.amdhsa_enable_private_segment 0
		.amdhsa_system_sgpr_workgroup_id_x 1
		.amdhsa_system_sgpr_workgroup_id_y 0
		.amdhsa_system_sgpr_workgroup_id_z 0
		.amdhsa_system_sgpr_workgroup_info 0
		.amdhsa_system_vgpr_workitem_id 0
		.amdhsa_next_free_vgpr 102
		.amdhsa_next_free_sgpr 34
		.amdhsa_accum_offset 104
		.amdhsa_reserve_vcc 1
		.amdhsa_float_round_mode_32 0
		.amdhsa_float_round_mode_16_64 0
		.amdhsa_float_denorm_mode_32 3
		.amdhsa_float_denorm_mode_16_64 3
		.amdhsa_dx10_clamp 1
		.amdhsa_ieee_mode 1
		.amdhsa_fp16_overflow 0
		.amdhsa_tg_split 0
		.amdhsa_exception_fp_ieee_invalid_op 0
		.amdhsa_exception_fp_denorm_src 0
		.amdhsa_exception_fp_ieee_div_zero 0
		.amdhsa_exception_fp_ieee_overflow 0
		.amdhsa_exception_fp_ieee_underflow 0
		.amdhsa_exception_fp_ieee_inexact 0
		.amdhsa_exception_int_div_zero 0
	.end_amdhsa_kernel
	.section	.text._ZN9rocsparseL18bsrxmvn_4x4_kernelILj128ELj64EdlldddEEvT3_20rocsparse_direction_NS_24const_host_device_scalarIT1_EES1_PKS1_PKT2_SA_S7_PKT4_PKT5_S5_PT6_21rocsparse_index_base_b,"axG",@progbits,_ZN9rocsparseL18bsrxmvn_4x4_kernelILj128ELj64EdlldddEEvT3_20rocsparse_direction_NS_24const_host_device_scalarIT1_EES1_PKS1_PKT2_SA_S7_PKT4_PKT5_S5_PT6_21rocsparse_index_base_b,comdat
.Lfunc_end49:
	.size	_ZN9rocsparseL18bsrxmvn_4x4_kernelILj128ELj64EdlldddEEvT3_20rocsparse_direction_NS_24const_host_device_scalarIT1_EES1_PKS1_PKT2_SA_S7_PKT4_PKT5_S5_PT6_21rocsparse_index_base_b, .Lfunc_end49-_ZN9rocsparseL18bsrxmvn_4x4_kernelILj128ELj64EdlldddEEvT3_20rocsparse_direction_NS_24const_host_device_scalarIT1_EES1_PKS1_PKT2_SA_S7_PKT4_PKT5_S5_PT6_21rocsparse_index_base_b
                                        ; -- End function
	.set _ZN9rocsparseL18bsrxmvn_4x4_kernelILj128ELj64EdlldddEEvT3_20rocsparse_direction_NS_24const_host_device_scalarIT1_EES1_PKS1_PKT2_SA_S7_PKT4_PKT5_S5_PT6_21rocsparse_index_base_b.num_vgpr, 102
	.set _ZN9rocsparseL18bsrxmvn_4x4_kernelILj128ELj64EdlldddEEvT3_20rocsparse_direction_NS_24const_host_device_scalarIT1_EES1_PKS1_PKT2_SA_S7_PKT4_PKT5_S5_PT6_21rocsparse_index_base_b.num_agpr, 0
	.set _ZN9rocsparseL18bsrxmvn_4x4_kernelILj128ELj64EdlldddEEvT3_20rocsparse_direction_NS_24const_host_device_scalarIT1_EES1_PKS1_PKT2_SA_S7_PKT4_PKT5_S5_PT6_21rocsparse_index_base_b.numbered_sgpr, 34
	.set _ZN9rocsparseL18bsrxmvn_4x4_kernelILj128ELj64EdlldddEEvT3_20rocsparse_direction_NS_24const_host_device_scalarIT1_EES1_PKS1_PKT2_SA_S7_PKT4_PKT5_S5_PT6_21rocsparse_index_base_b.num_named_barrier, 0
	.set _ZN9rocsparseL18bsrxmvn_4x4_kernelILj128ELj64EdlldddEEvT3_20rocsparse_direction_NS_24const_host_device_scalarIT1_EES1_PKS1_PKT2_SA_S7_PKT4_PKT5_S5_PT6_21rocsparse_index_base_b.private_seg_size, 0
	.set _ZN9rocsparseL18bsrxmvn_4x4_kernelILj128ELj64EdlldddEEvT3_20rocsparse_direction_NS_24const_host_device_scalarIT1_EES1_PKS1_PKT2_SA_S7_PKT4_PKT5_S5_PT6_21rocsparse_index_base_b.uses_vcc, 1
	.set _ZN9rocsparseL18bsrxmvn_4x4_kernelILj128ELj64EdlldddEEvT3_20rocsparse_direction_NS_24const_host_device_scalarIT1_EES1_PKS1_PKT2_SA_S7_PKT4_PKT5_S5_PT6_21rocsparse_index_base_b.uses_flat_scratch, 0
	.set _ZN9rocsparseL18bsrxmvn_4x4_kernelILj128ELj64EdlldddEEvT3_20rocsparse_direction_NS_24const_host_device_scalarIT1_EES1_PKS1_PKT2_SA_S7_PKT4_PKT5_S5_PT6_21rocsparse_index_base_b.has_dyn_sized_stack, 0
	.set _ZN9rocsparseL18bsrxmvn_4x4_kernelILj128ELj64EdlldddEEvT3_20rocsparse_direction_NS_24const_host_device_scalarIT1_EES1_PKS1_PKT2_SA_S7_PKT4_PKT5_S5_PT6_21rocsparse_index_base_b.has_recursion, 0
	.set _ZN9rocsparseL18bsrxmvn_4x4_kernelILj128ELj64EdlldddEEvT3_20rocsparse_direction_NS_24const_host_device_scalarIT1_EES1_PKS1_PKT2_SA_S7_PKT4_PKT5_S5_PT6_21rocsparse_index_base_b.has_indirect_call, 0
	.section	.AMDGPU.csdata,"",@progbits
; Kernel info:
; codeLenInByte = 4140
; TotalNumSgprs: 40
; NumVgprs: 102
; NumAgprs: 0
; TotalNumVgprs: 102
; ScratchSize: 0
; MemoryBound: 1
; FloatMode: 240
; IeeeMode: 1
; LDSByteSize: 0 bytes/workgroup (compile time only)
; SGPRBlocks: 4
; VGPRBlocks: 12
; NumSGPRsForWavesPerEU: 40
; NumVGPRsForWavesPerEU: 102
; AccumOffset: 104
; Occupancy: 4
; WaveLimiterHint : 1
; COMPUTE_PGM_RSRC2:SCRATCH_EN: 0
; COMPUTE_PGM_RSRC2:USER_SGPR: 2
; COMPUTE_PGM_RSRC2:TRAP_HANDLER: 0
; COMPUTE_PGM_RSRC2:TGID_X_EN: 1
; COMPUTE_PGM_RSRC2:TGID_Y_EN: 0
; COMPUTE_PGM_RSRC2:TGID_Z_EN: 0
; COMPUTE_PGM_RSRC2:TIDIG_COMP_CNT: 0
; COMPUTE_PGM_RSRC3_GFX90A:ACCUM_OFFSET: 25
; COMPUTE_PGM_RSRC3_GFX90A:TG_SPLIT: 0
	.section	.text._ZN9rocsparseL18bsrxmvn_4x4_kernelILj128ELj4E21rocsparse_complex_numIfEllS2_S2_S2_EEvT3_20rocsparse_direction_NS_24const_host_device_scalarIT1_EES3_PKS3_PKT2_SC_S9_PKT4_PKT5_S7_PT6_21rocsparse_index_base_b,"axG",@progbits,_ZN9rocsparseL18bsrxmvn_4x4_kernelILj128ELj4E21rocsparse_complex_numIfEllS2_S2_S2_EEvT3_20rocsparse_direction_NS_24const_host_device_scalarIT1_EES3_PKS3_PKT2_SC_S9_PKT4_PKT5_S7_PT6_21rocsparse_index_base_b,comdat
	.globl	_ZN9rocsparseL18bsrxmvn_4x4_kernelILj128ELj4E21rocsparse_complex_numIfEllS2_S2_S2_EEvT3_20rocsparse_direction_NS_24const_host_device_scalarIT1_EES3_PKS3_PKT2_SC_S9_PKT4_PKT5_S7_PT6_21rocsparse_index_base_b ; -- Begin function _ZN9rocsparseL18bsrxmvn_4x4_kernelILj128ELj4E21rocsparse_complex_numIfEllS2_S2_S2_EEvT3_20rocsparse_direction_NS_24const_host_device_scalarIT1_EES3_PKS3_PKT2_SC_S9_PKT4_PKT5_S7_PT6_21rocsparse_index_base_b
	.p2align	8
	.type	_ZN9rocsparseL18bsrxmvn_4x4_kernelILj128ELj4E21rocsparse_complex_numIfEllS2_S2_S2_EEvT3_20rocsparse_direction_NS_24const_host_device_scalarIT1_EES3_PKS3_PKT2_SC_S9_PKT4_PKT5_S7_PT6_21rocsparse_index_base_b,@function
_ZN9rocsparseL18bsrxmvn_4x4_kernelILj128ELj4E21rocsparse_complex_numIfEllS2_S2_S2_EEvT3_20rocsparse_direction_NS_24const_host_device_scalarIT1_EES3_PKS3_PKT2_SC_S9_PKT4_PKT5_S7_PT6_21rocsparse_index_base_b: ; @_ZN9rocsparseL18bsrxmvn_4x4_kernelILj128ELj4E21rocsparse_complex_numIfEllS2_S2_S2_EEvT3_20rocsparse_direction_NS_24const_host_device_scalarIT1_EES3_PKS3_PKT2_SC_S9_PKT4_PKT5_S7_PT6_21rocsparse_index_base_b
; %bb.0:
	s_load_dwordx4 s[8:11], s[0:1], 0x10
	s_load_dwordx2 s[12:13], s[0:1], 0x60
	s_add_u32 s3, s0, 16
	s_addc_u32 s6, s1, 0
	s_load_dwordx2 s[4:5], s[0:1], 0x50
	s_add_u32 s7, s0, 0x50
	s_addc_u32 s14, s1, 0
	s_waitcnt lgkmcnt(0)
	s_bitcmp1_b32 s13, 0
	s_cselect_b32 s3, s3, s8
	s_cselect_b32 s6, s6, s9
	v_mov_b32_e32 v2, s3
	s_cselect_b32 s3, s14, s5
	s_cselect_b32 s4, s7, s4
	v_mov_b32_e32 v3, s6
	v_mov_b32_e32 v4, s4
	;; [unrolled: 1-line block ×3, first 2 shown]
	flat_load_dwordx2 v[60:61], v[2:3]
	flat_load_dwordx2 v[62:63], v[4:5]
	s_waitcnt vmcnt(0) lgkmcnt(0)
	v_cmp_neq_f32_e32 vcc, 0, v60
	v_cmp_neq_f32_e64 s[4:5], 0, v61
	v_cmp_neq_f32_e64 s[8:9], 1.0, v62
	v_cmp_neq_f32_e64 s[6:7], 0, v63
	s_or_b64 s[4:5], vcc, s[4:5]
	s_or_b64 s[8:9], s[8:9], s[6:7]
	s_or_b64 s[4:5], s[4:5], s[8:9]
	s_and_saveexec_b64 s[8:9], s[4:5]
	s_cbranch_execz .LBB50_6
; %bb.1:
	s_load_dwordx2 s[4:5], s[0:1], 0x20
	v_lshrrev_b32_e32 v1, 2, v0
	v_lshl_or_b32 v2, s2, 5, v1
	v_mov_b32_e32 v3, 0
	s_mov_b64 s[2:3], 0
	s_waitcnt lgkmcnt(0)
	s_cmp_lg_u64 s[4:5], 0
	s_cbranch_scc0 .LBB50_7
; %bb.2:
	v_cmp_gt_i64_e32 vcc, s[10:11], v[2:3]
                                        ; implicit-def: $vgpr64_vgpr65
                                        ; implicit-def: $vgpr66_vgpr67
	s_and_saveexec_b64 s[8:9], vcc
	s_xor_b64 s[8:9], exec, s[8:9]
	s_cbranch_execz .LBB50_4
; %bb.3:
	v_lshl_add_u64 v[4:5], v[2:3], 3, s[4:5]
	global_load_dwordx2 v[4:5], v[4:5], off
	s_mov_b32 s13, 0
	s_mov_b64 s[2:3], exec
	v_mov_b64_e32 v[66:67], s[12:13]
	s_waitcnt vmcnt(0)
	v_subrev_co_u32_e32 v64, vcc, s12, v4
	s_nop 1
	v_subbrev_co_u32_e32 v65, vcc, 0, v5, vcc
.LBB50_4:
	s_or_b64 exec, exec, s[8:9]
.LBB50_5:
	s_and_b64 exec, exec, s[2:3]
	s_cbranch_execnz .LBB50_11
.LBB50_6:
	s_endpgm
.LBB50_7:
                                        ; implicit-def: $vgpr64_vgpr65
                                        ; implicit-def: $vgpr66_vgpr67
	s_cbranch_execz .LBB50_5
; %bb.8:
	s_load_dwordx2 s[4:5], s[0:1], 0x0
	s_waitcnt lgkmcnt(0)
	v_cmp_gt_i64_e32 vcc, s[4:5], v[2:3]
	s_and_saveexec_b64 s[4:5], vcc
; %bb.9:
	s_mov_b32 s13, 0
	s_or_b64 s[2:3], s[2:3], exec
; %bb.10:
	s_or_b64 exec, exec, s[4:5]
	v_mov_b64_e32 v[66:67], s[12:13]
	v_mov_b64_e32 v[64:65], v[2:3]
	s_and_b64 exec, exec, s[2:3]
	s_cbranch_execz .LBB50_6
.LBB50_11:
	s_load_dwordx8 s[8:15], s[0:1], 0x28
	v_lshlrev_b64 v[2:3], 3, v[64:65]
	v_and_b32_e32 v68, 3, v0
	v_mov_b32_e32 v69, 0
	s_waitcnt lgkmcnt(0)
	v_lshl_add_u64 v[4:5], s[8:9], 0, v[2:3]
	s_cmp_eq_u64 s[10:11], 0
	v_lshl_add_u64 v[2:3], s[10:11], 0, v[2:3]
	global_load_dwordx2 v[36:37], v[4:5], off
	v_lshl_add_u64 v[4:5], v[4:5], 0, 8
	s_cselect_b64 vcc, -1, 0
	v_cndmask_b32_e32 v3, v3, v5, vcc
	v_cndmask_b32_e32 v2, v2, v4, vcc
	global_load_dwordx2 v[2:3], v[2:3], off
	s_load_dword s4, s[0:1], 0x8
	s_load_dwordx2 s[2:3], s[0:1], 0x48
	s_waitcnt lgkmcnt(0)
	s_cmp_eq_u32 s4, 1
	s_waitcnt vmcnt(1)
	v_sub_co_u32_e32 v0, vcc, v36, v66
	s_nop 1
	v_subb_co_u32_e32 v1, vcc, v37, v67, vcc
	v_lshl_add_u64 v[70:71], v[0:1], 0, v[68:69]
	s_waitcnt vmcnt(0)
	v_sub_co_u32_e32 v72, vcc, v2, v66
	v_lshlrev_b64 v[0:1], 7, v[70:71]
	s_nop 0
	v_subb_co_u32_e32 v73, vcc, v3, v67, vcc
	v_lshl_add_u64 v[74:75], s[14:15], 0, v[0:1]
	v_cmp_lt_i64_e64 s[4:5], v[70:71], v[72:73]
	s_cbranch_scc1 .LBB50_23
; %bb.12:
	v_mov_b32_e32 v76, v69
	v_mov_b32_e32 v59, v69
	;; [unrolled: 1-line block ×7, first 2 shown]
	s_and_saveexec_b64 s[8:9], s[4:5]
	s_cbranch_execz .LBB50_22
; %bb.13:
	v_or_b32_e32 v0, 4, v68
	v_sub_co_u32_e32 v0, vcc, v0, v66
	v_not_b32_e32 v3, v37
	s_nop 0
	v_subb_co_u32_e32 v1, vcc, 0, v67, vcc
	v_lshl_add_u64 v[0:1], v[0:1], 0, v[36:37]
	v_cmp_gt_i64_e32 vcc, v[0:1], v[72:73]
	v_not_b32_e32 v2, v36
	v_mov_b32_e32 v57, 0
	v_cndmask_b32_e32 v1, v73, v1, vcc
	v_cndmask_b32_e32 v0, v72, v0, vcc
	v_sub_co_u32_e32 v4, vcc, v66, v68
	v_mov_b32_e32 v79, v57
	s_nop 0
	v_subbrev_co_u32_e32 v5, vcc, 0, v67, vcc
	v_lshl_add_u64 v[2:3], v[4:5], 0, v[2:3]
	v_lshl_add_u64 v[0:1], v[2:3], 0, v[0:1]
	v_and_b32_e32 v56, 12, v0
	v_cmp_ne_u64_e32 vcc, 12, v[56:57]
	v_mov_b32_e32 v56, v57
	v_mov_b32_e32 v78, v57
	;; [unrolled: 1-line block ×6, first 2 shown]
	v_mov_b64_e32 v[38:39], v[74:75]
	v_mov_b64_e32 v[40:41], v[70:71]
	s_and_saveexec_b64 s[10:11], vcc
	s_cbranch_execz .LBB50_17
; %bb.14:
	v_lshrrev_b32_e32 v2, 2, v0
	v_add_u32_e32 v2, 1, v2
	v_and_b32_e32 v4, 3, v2
	v_sub_co_u32_e32 v4, vcc, 0, v4
	v_mov_b32_e32 v56, 0
	s_nop 0
	v_subb_co_u32_e64 v5, s[16:17], 0, 0, vcc
	v_lshl_add_u64 v[2:3], v[70:71], 3, s[12:13]
	s_mov_b64 s[14:15], 0
	s_mov_b64 s[16:17], 0x200
	v_mov_b64_e32 v[40:41], v[70:71]
	v_mov_b64_e32 v[38:39], v[74:75]
	v_mov_b32_e32 v57, v56
	v_mov_b32_e32 v78, v56
	;; [unrolled: 1-line block ×7, first 2 shown]
.LBB50_15:                              ; =>This Inner Loop Header: Depth=1
	global_load_dwordx2 v[34:35], v[2:3], off
	global_load_dwordx4 v[6:9], v[38:39], off
	global_load_dwordx4 v[10:13], v[38:39], off offset:16
	global_load_dwordx4 v[14:17], v[38:39], off offset:32
	global_load_dwordx4 v[18:21], v[38:39], off offset:48
	global_load_dwordx4 v[22:25], v[38:39], off offset:80
	global_load_dwordx4 v[26:29], v[38:39], off offset:64
	global_load_dwordx4 v[30:33], v[38:39], off offset:112
	global_load_dwordx4 v[42:45], v[38:39], off offset:96
	v_lshl_add_u64 v[4:5], v[4:5], 0, 1
	v_lshl_add_u64 v[38:39], v[38:39], 0, s[16:17]
	;; [unrolled: 1-line block ×4, first 2 shown]
	s_waitcnt vmcnt(8)
	v_sub_co_u32_e32 v34, vcc, v34, v66
	s_nop 1
	v_subb_co_u32_e32 v35, vcc, v35, v67, vcc
	v_lshlrev_b64 v[34:35], 5, v[34:35]
	v_lshl_add_u64 v[34:35], s[2:3], 0, v[34:35]
	global_load_dwordx4 v[46:49], v[34:35], off
	global_load_dwordx4 v[50:53], v[34:35], off offset:16
	s_waitcnt vmcnt(9)
	v_xor_b32_e32 v34, 0x80000000, v9
	v_mov_b32_e32 v35, v8
	s_waitcnt vmcnt(7)
	v_xor_b32_e32 v80, 0x80000000, v17
	v_mov_b32_e32 v81, v16
	;; [unrolled: 3-line block ×4, first 2 shown]
	v_cmp_eq_u64_e32 vcc, 0, v[4:5]
	v_xor_b32_e32 v54, 0x80000000, v13
	v_mov_b32_e32 v55, v12
	v_xor_b32_e32 v82, 0x80000000, v21
	v_mov_b32_e32 v83, v20
	;; [unrolled: 2-line block ×4, first 2 shown]
	s_or_b64 s[14:15], vcc, s[14:15]
	s_waitcnt vmcnt(1)
	v_pk_fma_f32 v[76:77], v[6:7], v[46:47], v[76:77] op_sel_hi:[1,0,1]
	v_pk_fma_f32 v[56:57], v[14:15], v[46:47], v[56:57] op_sel_hi:[1,0,1]
	v_pk_fma_f32 v[78:79], v[26:27], v[46:47], v[78:79] op_sel_hi:[1,0,1]
	v_pk_fma_f32 v[58:59], v[42:43], v[46:47], v[58:59] op_sel_hi:[1,0,1]
	v_pk_fma_f32 v[6:7], v[6:7], v[46:47], v[76:77] op_sel:[1,1,0] op_sel_hi:[0,1,1] neg_lo:[1,0,0]
	v_pk_fma_f32 v[14:15], v[14:15], v[46:47], v[56:57] op_sel:[1,1,0] op_sel_hi:[0,1,1] neg_lo:[1,0,0]
	;; [unrolled: 1-line block ×4, first 2 shown]
	v_mov_b32_e32 v92, v49
	v_pk_fma_f32 v[6:7], v[8:9], v[48:49], v[6:7] op_sel_hi:[1,0,1]
	v_pk_fma_f32 v[8:9], v[16:17], v[48:49], v[14:15] op_sel_hi:[1,0,1]
	;; [unrolled: 1-line block ×8, first 2 shown]
	s_waitcnt vmcnt(0)
	v_pk_fma_f32 v[6:7], v[10:11], v[50:51], v[6:7] op_sel_hi:[1,0,1]
	v_pk_fma_f32 v[8:9], v[18:19], v[50:51], v[8:9] op_sel_hi:[1,0,1]
	;; [unrolled: 1-line block ×4, first 2 shown]
	v_pk_fma_f32 v[6:7], v[10:11], v[50:51], v[6:7] op_sel:[1,1,0] op_sel_hi:[0,1,1] neg_lo:[1,0,0]
	v_pk_fma_f32 v[8:9], v[18:19], v[50:51], v[8:9] op_sel:[1,1,0] op_sel_hi:[0,1,1] neg_lo:[1,0,0]
	;; [unrolled: 1-line block ×4, first 2 shown]
	v_mov_b32_e32 v94, v53
	v_pk_fma_f32 v[6:7], v[12:13], v[52:53], v[6:7] op_sel_hi:[1,0,1]
	v_pk_fma_f32 v[8:9], v[20:21], v[52:53], v[8:9] op_sel_hi:[1,0,1]
	;; [unrolled: 1-line block ×8, first 2 shown]
	s_andn2_b64 exec, exec, s[14:15]
	s_cbranch_execnz .LBB50_15
; %bb.16:
	s_or_b64 exec, exec, s[14:15]
.LBB50_17:
	s_or_b64 exec, exec, s[10:11]
	v_cmp_lt_u64_e32 vcc, 11, v[0:1]
	s_and_saveexec_b64 s[10:11], vcc
	s_cbranch_execz .LBB50_21
; %bb.18:
	v_lshl_add_u64 v[0:1], v[40:41], 3, s[12:13]
	v_lshl_add_u64 v[42:43], v[0:1], 0, 64
	s_mov_b64 s[14:15], 0
	s_mov_b64 s[16:17], 0x80
	;; [unrolled: 1-line block ×3, first 2 shown]
.LBB50_19:                              ; =>This Inner Loop Header: Depth=1
	global_load_dwordx2 v[0:1], v[42:43], off offset:-64
	v_lshl_add_u64 v[40:41], v[40:41], 0, 16
	s_waitcnt vmcnt(0)
	v_sub_co_u32_e32 v0, vcc, v0, v66
	s_nop 1
	v_subb_co_u32_e32 v1, vcc, v1, v67, vcc
	v_lshlrev_b64 v[0:1], 5, v[0:1]
	v_lshl_add_u64 v[4:5], s[2:3], 0, v[0:1]
	global_load_dwordx4 v[0:3], v[4:5], off offset:16
	global_load_dwordx4 v[16:19], v[4:5], off
	global_load_dwordx2 v[6:7], v[42:43], off offset:-32
	s_waitcnt vmcnt(2)
	v_mov_b32_e32 v84, v3
	s_waitcnt vmcnt(1)
	v_mov_b32_e32 v34, v19
	s_waitcnt vmcnt(0)
	v_sub_co_u32_e32 v4, vcc, v6, v66
	s_nop 1
	v_subb_co_u32_e32 v5, vcc, v7, v67, vcc
	v_lshlrev_b64 v[4:5], 5, v[4:5]
	v_lshl_add_u64 v[28:29], s[2:3], 0, v[4:5]
	global_load_dwordx4 v[4:7], v[28:29], off offset:16
	global_load_dwordx4 v[8:11], v[28:29], off
	global_load_dwordx4 v[20:23], v[38:39], off offset:48
	global_load_dwordx4 v[30:33], v[38:39], off offset:32
	;; [unrolled: 1-line block ×3, first 2 shown]
	global_load_dwordx4 v[24:27], v[38:39], off
	s_waitcnt vmcnt(0)
	v_pk_fma_f32 v[28:29], v[24:25], v[16:17], v[76:77] op_sel_hi:[1,0,1]
	s_nop 0
	v_pk_fma_f32 v[24:25], v[24:25], v[16:17], v[28:29] op_sel:[1,1,0] op_sel_hi:[0,1,1] neg_lo:[1,0,0]
	v_xor_b32_e32 v28, 0x80000000, v27
	v_pk_fma_f32 v[24:25], v[26:27], v[18:19], v[24:25] op_sel_hi:[1,0,1]
	v_mov_b32_e32 v29, v26
	v_pk_fma_f32 v[24:25], v[28:29], v[34:35], v[24:25] op_sel_hi:[1,0,1]
	s_nop 0
	v_pk_fma_f32 v[24:25], v[12:13], v[0:1], v[24:25] op_sel_hi:[1,0,1]
	s_nop 0
	v_pk_fma_f32 v[12:13], v[12:13], v[0:1], v[24:25] op_sel:[1,1,0] op_sel_hi:[0,1,1] neg_lo:[1,0,0]
	v_xor_b32_e32 v24, 0x80000000, v15
	v_pk_fma_f32 v[12:13], v[14:15], v[2:3], v[12:13] op_sel_hi:[1,0,1]
	v_mov_b32_e32 v25, v14
	v_pk_fma_f32 v[24:25], v[24:25], v[84:85], v[12:13] op_sel_hi:[1,0,1]
	global_load_dwordx4 v[12:15], v[38:39], off offset:560
	global_load_dwordx4 v[26:29], v[38:39], off offset:544
	;; [unrolled: 1-line block ×4, first 2 shown]
	s_waitcnt vmcnt(0)
	v_pk_fma_f32 v[24:25], v[48:49], v[8:9], v[24:25] op_sel_hi:[1,0,1]
	s_nop 0
	v_pk_fma_f32 v[48:49], v[48:49], v[8:9], v[24:25] op_sel:[1,1,0] op_sel_hi:[0,1,1] neg_lo:[1,0,0]
	v_pk_fma_f32 v[24:25], v[30:31], v[16:17], v[56:57] op_sel_hi:[1,0,1]
	s_nop 0
	v_pk_fma_f32 v[24:25], v[30:31], v[16:17], v[24:25] op_sel:[1,1,0] op_sel_hi:[0,1,1] neg_lo:[1,0,0]
	v_xor_b32_e32 v30, 0x80000000, v33
	v_pk_fma_f32 v[24:25], v[32:33], v[18:19], v[24:25] op_sel_hi:[1,0,1]
	v_mov_b32_e32 v31, v32
	v_pk_fma_f32 v[24:25], v[30:31], v[34:35], v[24:25] op_sel_hi:[1,0,1]
	s_nop 0
	v_pk_fma_f32 v[24:25], v[20:21], v[0:1], v[24:25] op_sel_hi:[1,0,1]
	s_nop 0
	v_pk_fma_f32 v[20:21], v[20:21], v[0:1], v[24:25] op_sel:[1,1,0] op_sel_hi:[0,1,1] neg_lo:[1,0,0]
	v_xor_b32_e32 v24, 0x80000000, v23
	v_pk_fma_f32 v[20:21], v[22:23], v[2:3], v[20:21] op_sel_hi:[1,0,1]
	v_mov_b32_e32 v25, v22
	v_pk_fma_f32 v[20:21], v[24:25], v[84:85], v[20:21] op_sel_hi:[1,0,1]
	s_nop 0
	v_pk_fma_f32 v[20:21], v[26:27], v[8:9], v[20:21] op_sel_hi:[1,0,1]
	s_nop 0
	v_pk_fma_f32 v[56:57], v[26:27], v[8:9], v[20:21] op_sel:[1,1,0] op_sel_hi:[0,1,1] neg_lo:[1,0,0]
	global_load_dwordx4 v[30:33], v[38:39], off offset:112
	global_load_dwordx4 v[52:55], v[38:39], off offset:96
	;; [unrolled: 1-line block ×4, first 2 shown]
	s_waitcnt vmcnt(2)
	v_pk_fma_f32 v[58:59], v[52:53], v[16:17], v[58:59] op_sel_hi:[1,0,1]
	s_waitcnt vmcnt(0)
	v_pk_fma_f32 v[76:77], v[24:25], v[16:17], v[78:79] op_sel_hi:[1,0,1]
	s_nop 0
	v_pk_fma_f32 v[24:25], v[24:25], v[16:17], v[76:77] op_sel:[1,1,0] op_sel_hi:[0,1,1] neg_lo:[1,0,0]
	v_xor_b32_e32 v76, 0x80000000, v27
	v_pk_fma_f32 v[24:25], v[26:27], v[18:19], v[24:25] op_sel_hi:[1,0,1]
	v_mov_b32_e32 v77, v26
	v_pk_fma_f32 v[24:25], v[76:77], v[34:35], v[24:25] op_sel_hi:[1,0,1]
	v_pk_fma_f32 v[16:17], v[52:53], v[16:17], v[58:59] op_sel:[1,1,0] op_sel_hi:[0,1,1] neg_lo:[1,0,0]
	v_pk_fma_f32 v[24:25], v[20:21], v[0:1], v[24:25] op_sel_hi:[1,0,1]
	v_xor_b32_e32 v52, 0x80000000, v55
	v_pk_fma_f32 v[20:21], v[20:21], v[0:1], v[24:25] op_sel:[1,1,0] op_sel_hi:[0,1,1] neg_lo:[1,0,0]
	v_xor_b32_e32 v24, 0x80000000, v23
	v_pk_fma_f32 v[20:21], v[22:23], v[2:3], v[20:21] op_sel_hi:[1,0,1]
	v_mov_b32_e32 v25, v22
	v_pk_fma_f32 v[86:87], v[24:25], v[84:85], v[20:21] op_sel_hi:[1,0,1]
	global_load_dwordx4 v[20:23], v[38:39], off offset:624
	global_load_dwordx4 v[24:27], v[38:39], off offset:608
	;; [unrolled: 1-line block ×4, first 2 shown]
	v_pk_fma_f32 v[16:17], v[54:55], v[18:19], v[16:17] op_sel_hi:[1,0,1]
	v_mov_b32_e32 v53, v54
	v_pk_fma_f32 v[16:17], v[52:53], v[34:35], v[16:17] op_sel_hi:[1,0,1]
	v_pk_fma_f32 v[18:19], v[50:51], v[10:11], v[48:49] op_sel_hi:[1,0,1]
	;; [unrolled: 1-line block ×3, first 2 shown]
	s_waitcnt vmcnt(0)
	v_pk_fma_f32 v[86:87], v[80:81], v[8:9], v[86:87] op_sel_hi:[1,0,1]
	v_pk_fma_f32 v[0:1], v[30:31], v[0:1], v[16:17] op_sel:[1,1,0] op_sel_hi:[0,1,1] neg_lo:[1,0,0]
	v_xor_b32_e32 v16, 0x80000000, v33
	v_pk_fma_f32 v[0:1], v[32:33], v[2:3], v[0:1] op_sel_hi:[1,0,1]
	v_mov_b32_e32 v17, v32
	v_pk_fma_f32 v[0:1], v[16:17], v[84:85], v[0:1] op_sel_hi:[1,0,1]
	v_pk_fma_f32 v[80:81], v[80:81], v[8:9], v[86:87] op_sel:[1,1,0] op_sel_hi:[0,1,1] neg_lo:[1,0,0]
	v_pk_fma_f32 v[0:1], v[24:25], v[8:9], v[0:1] op_sel_hi:[1,0,1]
	v_mov_b32_e32 v84, v11
	v_pk_fma_f32 v[8:9], v[24:25], v[8:9], v[0:1] op_sel:[1,1,0] op_sel_hi:[0,1,1] neg_lo:[1,0,0]
	global_load_dwordx2 v[0:1], v[42:43], off
	v_mov_b32_e32 v86, v7
	v_pk_fma_f32 v[8:9], v[26:27], v[10:11], v[8:9] op_sel_hi:[1,0,1]
	s_waitcnt vmcnt(0)
	v_sub_co_u32_e32 v0, vcc, v0, v66
	s_nop 1
	v_subb_co_u32_e32 v1, vcc, v1, v67, vcc
	v_lshlrev_b64 v[0:1], 5, v[0:1]
	v_lshl_add_u64 v[16:17], s[2:3], 0, v[0:1]
	global_load_dwordx4 v[0:3], v[16:17], off offset:16
	global_load_dwordx4 v[32:35], v[16:17], off
	v_xor_b32_e32 v16, 0x80000000, v51
	v_mov_b32_e32 v17, v50
	v_pk_fma_f32 v[16:17], v[16:17], v[84:85], v[18:19] op_sel_hi:[1,0,1]
	v_xor_b32_e32 v18, 0x80000000, v47
	v_pk_fma_f32 v[16:17], v[44:45], v[4:5], v[16:17] op_sel_hi:[1,0,1]
	v_mov_b32_e32 v19, v46
	v_pk_fma_f32 v[16:17], v[44:45], v[4:5], v[16:17] op_sel:[1,1,0] op_sel_hi:[0,1,1] neg_lo:[1,0,0]
	v_pk_fma_f32 v[16:17], v[46:47], v[6:7], v[16:17] op_sel_hi:[1,0,1]
	s_waitcnt vmcnt(0)
	v_mov_b32_e32 v88, v35
	v_pk_fma_f32 v[24:25], v[18:19], v[86:87], v[16:17] op_sel_hi:[1,0,1]
	global_load_dwordx4 v[16:19], v[38:39], off offset:1072
	global_load_dwordx4 v[44:47], v[38:39], off offset:1056
	;; [unrolled: 1-line block ×4, first 2 shown]
	s_waitcnt vmcnt(1)
	v_xor_b32_e32 v90, 0x80000000, v49
	s_waitcnt vmcnt(0)
	v_pk_fma_f32 v[24:25], v[52:53], v[32:33], v[24:25] op_sel_hi:[1,0,1]
	v_xor_b32_e32 v30, 0x80000000, v55
	v_pk_fma_f32 v[24:25], v[52:53], v[32:33], v[24:25] op_sel:[1,1,0] op_sel_hi:[0,1,1] neg_lo:[1,0,0]
	v_pk_fma_f32 v[24:25], v[54:55], v[34:35], v[24:25] op_sel_hi:[1,0,1]
	v_mov_b32_e32 v31, v54
	v_pk_fma_f32 v[24:25], v[30:31], v[88:89], v[24:25] op_sel_hi:[1,0,1]
	v_pk_fma_f32 v[30:31], v[28:29], v[10:11], v[56:57] op_sel_hi:[1,0,1]
	;; [unrolled: 1-line block ×3, first 2 shown]
	v_xor_b32_e32 v24, 0x80000000, v29
	v_mov_b32_e32 v25, v28
	v_pk_fma_f32 v[24:25], v[24:25], v[84:85], v[30:31] op_sel_hi:[1,0,1]
	v_mov_b32_e32 v91, v48
	v_pk_fma_f32 v[24:25], v[12:13], v[4:5], v[24:25] op_sel_hi:[1,0,1]
	s_nop 0
	v_pk_fma_f32 v[12:13], v[12:13], v[4:5], v[24:25] op_sel:[1,1,0] op_sel_hi:[0,1,1] neg_lo:[1,0,0]
	v_xor_b32_e32 v24, 0x80000000, v15
	v_pk_fma_f32 v[12:13], v[14:15], v[6:7], v[12:13] op_sel_hi:[1,0,1]
	v_mov_b32_e32 v25, v14
	v_pk_fma_f32 v[12:13], v[24:25], v[86:87], v[12:13] op_sel_hi:[1,0,1]
	v_xor_b32_e32 v14, 0x80000000, v47
	v_pk_fma_f32 v[12:13], v[44:45], v[32:33], v[12:13] op_sel_hi:[1,0,1]
	v_mov_b32_e32 v15, v46
	v_pk_fma_f32 v[12:13], v[44:45], v[32:33], v[12:13] op_sel:[1,1,0] op_sel_hi:[0,1,1] neg_lo:[1,0,0]
	v_pk_fma_f32 v[12:13], v[46:47], v[34:35], v[12:13] op_sel_hi:[1,0,1]
	v_xor_b32_e32 v24, 0x80000000, v17
	v_pk_fma_f32 v[12:13], v[14:15], v[88:89], v[12:13] op_sel_hi:[1,0,1]
	v_pk_fma_f32 v[14:15], v[82:83], v[10:11], v[80:81] op_sel_hi:[1,0,1]
	;; [unrolled: 1-line block ×3, first 2 shown]
	v_xor_b32_e32 v12, 0x80000000, v83
	v_mov_b32_e32 v13, v82
	v_pk_fma_f32 v[12:13], v[12:13], v[84:85], v[14:15] op_sel_hi:[1,0,1]
	v_xor_b32_e32 v14, 0x80000000, v79
	v_pk_fma_f32 v[12:13], v[76:77], v[4:5], v[12:13] op_sel_hi:[1,0,1]
	v_mov_b32_e32 v15, v78
	v_pk_fma_f32 v[12:13], v[76:77], v[4:5], v[12:13] op_sel:[1,1,0] op_sel_hi:[0,1,1] neg_lo:[1,0,0]
	v_pk_fma_f32 v[12:13], v[78:79], v[6:7], v[12:13] op_sel_hi:[1,0,1]
	v_mov_b32_e32 v25, v16
	v_pk_fma_f32 v[46:47], v[14:15], v[86:87], v[12:13] op_sel_hi:[1,0,1]
	global_load_dwordx4 v[12:15], v[38:39], off offset:1136
	global_load_dwordx4 v[52:55], v[38:39], off offset:1120
	;; [unrolled: 1-line block ×4, first 2 shown]
	v_pk_fma_f32 v[16:17], v[24:25], v[0:1], v[44:45] op_sel:[0,1,0]
	v_xor_b32_e32 v24, 0x80000000, v19
	v_pk_fma_f32 v[16:17], v[18:19], v[2:3], v[16:17] op_sel_hi:[1,0,1]
	v_mov_b32_e32 v25, v18
	s_waitcnt vmcnt(0)
	v_pk_fma_f32 v[46:47], v[56:57], v[32:33], v[46:47] op_sel_hi:[1,0,1]
	s_nop 0
	v_pk_fma_f32 v[46:47], v[56:57], v[32:33], v[46:47] op_sel:[1,1,0] op_sel_hi:[0,1,1] neg_lo:[1,0,0]
	v_xor_b32_e32 v56, 0x80000000, v59
	v_pk_fma_f32 v[46:47], v[58:59], v[34:35], v[46:47] op_sel_hi:[1,0,1]
	v_mov_b32_e32 v57, v58
	v_pk_fma_f32 v[46:47], v[56:57], v[88:89], v[46:47] op_sel_hi:[1,0,1]
	v_xor_b32_e32 v58, 0x80000000, v29
	v_pk_fma_f32 v[78:79], v[28:29], v[0:1], v[46:47] op_sel_hi:[1,0,1]
	v_xor_b32_e32 v46, 0x80000000, v27
	v_mov_b32_e32 v47, v26
	v_pk_fma_f32 v[8:9], v[46:47], v[84:85], v[8:9] op_sel_hi:[1,0,1]
	v_mov_b32_e32 v59, v28
	v_pk_fma_f32 v[8:9], v[20:21], v[4:5], v[8:9] op_sel_hi:[1,0,1]
	s_nop 0
	v_pk_fma_f32 v[4:5], v[20:21], v[4:5], v[8:9] op_sel:[1,1,0] op_sel_hi:[0,1,1] neg_lo:[1,0,0]
	v_xor_b32_e32 v8, 0x80000000, v23
	v_pk_fma_f32 v[4:5], v[22:23], v[6:7], v[4:5] op_sel_hi:[1,0,1]
	v_mov_b32_e32 v9, v22
	v_pk_fma_f32 v[4:5], v[8:9], v[86:87], v[4:5] op_sel_hi:[1,0,1]
	v_xor_b32_e32 v6, 0x80000000, v55
	v_pk_fma_f32 v[4:5], v[52:53], v[32:33], v[4:5] op_sel_hi:[1,0,1]
	v_mov_b32_e32 v7, v54
	v_pk_fma_f32 v[4:5], v[52:53], v[32:33], v[4:5] op_sel:[1,1,0] op_sel_hi:[0,1,1] neg_lo:[1,0,0]
	v_pk_fma_f32 v[4:5], v[54:55], v[34:35], v[4:5] op_sel_hi:[1,0,1]
	v_xor_b32_e32 v32, 0x80000000, v51
	v_pk_fma_f32 v[4:5], v[6:7], v[88:89], v[4:5] op_sel_hi:[1,0,1]
	v_mov_b32_e32 v33, v50
	v_pk_fma_f32 v[22:23], v[12:13], v[0:1], v[4:5] op_sel_hi:[1,0,1]
	global_load_dwordx2 v[4:5], v[42:43], off offset:32
	v_xor_b32_e32 v20, 0x80000000, v13
	v_mov_b32_e32 v21, v12
	v_xor_b32_e32 v12, 0x80000000, v15
	v_mov_b32_e32 v13, v14
	v_lshl_add_u64 v[42:43], v[42:43], 0, s[16:17]
	s_waitcnt vmcnt(0)
	v_sub_co_u32_e32 v4, vcc, v4, v66
	s_nop 1
	v_subb_co_u32_e32 v5, vcc, v5, v67, vcc
	v_lshlrev_b64 v[4:5], 5, v[4:5]
	v_lshl_add_u64 v[26:27], s[2:3], 0, v[4:5]
	global_load_dwordx4 v[4:7], v[26:27], off offset:16
	global_load_dwordx4 v[8:11], v[26:27], off
	v_pk_fma_f32 v[26:27], v[90:91], v[0:1], v[92:93] op_sel:[0,1,0]
	v_cmp_ge_i64_e32 vcc, v[40:41], v[72:73]
	v_pk_fma_f32 v[34:35], v[50:51], v[2:3], v[26:27] op_sel_hi:[1,0,1]
	v_mov_b32_e32 v26, v3
	v_pk_fma_f32 v[76:77], v[32:33], v[26:27], v[34:35] op_sel_hi:[1,0,1]
	global_load_dwordx4 v[32:35], v[38:39], off offset:1584
	global_load_dwordx4 v[46:49], v[38:39], off offset:1568
	;; [unrolled: 1-line block ×4, first 2 shown]
	v_pk_fma_f32 v[16:17], v[24:25], v[26:27], v[16:17] op_sel_hi:[1,0,1]
	s_or_b64 s[14:15], vcc, s[14:15]
	s_waitcnt vmcnt(4)
	v_mov_b32_e32 v80, v11
	s_waitcnt vmcnt(2)
	v_pk_fma_f32 v[16:17], v[46:47], v[8:9], v[16:17] op_sel_hi:[1,0,1]
	s_nop 0
	v_pk_fma_f32 v[16:17], v[46:47], v[8:9], v[16:17] op_sel:[1,1,0] op_sel_hi:[0,1,1] neg_lo:[1,0,0]
	s_waitcnt vmcnt(0)
	v_pk_fma_f32 v[76:77], v[54:55], v[8:9], v[76:77] op_sel_hi:[1,0,1]
	v_xor_b32_e32 v18, 0x80000000, v49
	v_pk_fma_f32 v[54:55], v[54:55], v[8:9], v[76:77] op_sel:[1,1,0] op_sel_hi:[0,1,1] neg_lo:[1,0,0]
	v_xor_b32_e32 v76, 0x80000000, v57
	v_pk_fma_f32 v[54:55], v[56:57], v[10:11], v[54:55] op_sel_hi:[1,0,1]
	v_mov_b32_e32 v77, v56
	v_pk_fma_f32 v[16:17], v[48:49], v[10:11], v[16:17] op_sel_hi:[1,0,1]
	v_mov_b32_e32 v19, v48
	v_pk_fma_f32 v[54:55], v[76:77], v[80:81], v[54:55] op_sel_hi:[1,0,1]
	v_pk_fma_f32 v[16:17], v[18:19], v[80:81], v[16:17] op_sel_hi:[1,0,1]
	;; [unrolled: 1-line block ×4, first 2 shown]
	v_pk_fma_f32 v[50:51], v[50:51], v[4:5], v[54:55] op_sel:[1,1,0] op_sel_hi:[0,1,1] neg_lo:[1,0,0]
	v_pk_fma_f32 v[16:17], v[32:33], v[4:5], v[16:17] op_sel:[1,1,0] op_sel_hi:[0,1,1] neg_lo:[1,0,0]
	v_pk_fma_f32 v[50:51], v[52:53], v[6:7], v[50:51] op_sel_hi:[1,0,1]
	v_mov_b32_e32 v55, v52
	v_mov_b32_e32 v52, v7
	v_xor_b32_e32 v18, 0x80000000, v35
	v_pk_fma_f32 v[16:17], v[34:35], v[6:7], v[16:17] op_sel_hi:[1,0,1]
	v_mov_b32_e32 v19, v34
	v_pk_fma_f32 v[56:57], v[18:19], v[52:53], v[16:17] op_sel_hi:[1,0,1]
	v_pk_fma_f32 v[16:17], v[58:59], v[0:1], v[78:79] op_sel:[0,1,0]
	v_xor_b32_e32 v18, 0x80000000, v31
	v_pk_fma_f32 v[16:17], v[30:31], v[2:3], v[16:17] op_sel_hi:[1,0,1]
	v_mov_b32_e32 v19, v30
	v_pk_fma_f32 v[24:25], v[18:19], v[26:27], v[16:17] op_sel_hi:[1,0,1]
	global_load_dwordx4 v[16:19], v[38:39], off offset:1648
	global_load_dwordx4 v[28:31], v[38:39], off offset:1632
	;; [unrolled: 1-line block ×4, first 2 shown]
	v_pk_fma_f32 v[0:1], v[20:21], v[0:1], v[22:23] op_sel:[0,1,0]
	v_xor_b32_e32 v54, 0x80000000, v53
	v_pk_fma_f32 v[0:1], v[14:15], v[2:3], v[0:1] op_sel_hi:[1,0,1]
	v_pk_fma_f32 v[76:77], v[54:55], v[52:53], v[50:51] op_sel_hi:[1,0,1]
	;; [unrolled: 1-line block ×3, first 2 shown]
	v_lshl_add_u64 v[38:39], v[38:39], 0, s[18:19]
	s_waitcnt vmcnt(2)
	v_pk_fma_f32 v[0:1], v[28:29], v[8:9], v[0:1] op_sel_hi:[1,0,1]
	s_nop 0
	v_pk_fma_f32 v[0:1], v[28:29], v[8:9], v[0:1] op_sel:[1,1,0] op_sel_hi:[0,1,1] neg_lo:[1,0,0]
	s_waitcnt vmcnt(0)
	v_pk_fma_f32 v[24:25], v[44:45], v[8:9], v[24:25] op_sel_hi:[1,0,1]
	v_xor_b32_e32 v2, 0x80000000, v31
	v_pk_fma_f32 v[24:25], v[44:45], v[8:9], v[24:25] op_sel:[1,1,0] op_sel_hi:[0,1,1] neg_lo:[1,0,0]
	v_xor_b32_e32 v44, 0x80000000, v47
	v_pk_fma_f32 v[24:25], v[46:47], v[10:11], v[24:25] op_sel_hi:[1,0,1]
	v_mov_b32_e32 v45, v46
	v_pk_fma_f32 v[0:1], v[30:31], v[10:11], v[0:1] op_sel_hi:[1,0,1]
	v_mov_b32_e32 v3, v30
	v_pk_fma_f32 v[24:25], v[44:45], v[80:81], v[24:25] op_sel_hi:[1,0,1]
	v_pk_fma_f32 v[0:1], v[2:3], v[80:81], v[0:1] op_sel_hi:[1,0,1]
	;; [unrolled: 1-line block ×4, first 2 shown]
	v_pk_fma_f32 v[24:25], v[32:33], v[4:5], v[24:25] op_sel:[1,1,0] op_sel_hi:[0,1,1] neg_lo:[1,0,0]
	v_pk_fma_f32 v[0:1], v[16:17], v[4:5], v[0:1] op_sel:[1,1,0] op_sel_hi:[0,1,1] neg_lo:[1,0,0]
	v_xor_b32_e32 v32, 0x80000000, v35
	v_pk_fma_f32 v[24:25], v[34:35], v[6:7], v[24:25] op_sel_hi:[1,0,1]
	v_mov_b32_e32 v33, v34
	v_xor_b32_e32 v2, 0x80000000, v19
	v_pk_fma_f32 v[0:1], v[18:19], v[6:7], v[0:1] op_sel_hi:[1,0,1]
	v_mov_b32_e32 v3, v18
	v_pk_fma_f32 v[78:79], v[32:33], v[52:53], v[24:25] op_sel_hi:[1,0,1]
	v_pk_fma_f32 v[58:59], v[2:3], v[52:53], v[0:1] op_sel_hi:[1,0,1]
	s_andn2_b64 exec, exec, s[14:15]
	s_cbranch_execnz .LBB50_19
; %bb.20:
	s_or_b64 exec, exec, s[14:15]
.LBB50_21:
	s_or_b64 exec, exec, s[10:11]
	v_mov_b32_e32 v69, v77
.LBB50_22:
	s_or_b64 exec, exec, s[8:9]
	s_cbranch_execz .LBB50_24
	s_branch .LBB50_35
.LBB50_23:
                                        ; implicit-def: $vgpr76
                                        ; implicit-def: $vgpr59
                                        ; implicit-def: $vgpr79
                                        ; implicit-def: $vgpr57
.LBB50_24:
	v_mov_b32_e32 v69, 0
	v_mov_b32_e32 v76, 0
	;; [unrolled: 1-line block ×8, first 2 shown]
	s_and_saveexec_b64 s[8:9], s[4:5]
	s_cbranch_execz .LBB50_34
; %bb.25:
	v_or_b32_e32 v0, 4, v68
	v_sub_co_u32_e32 v0, vcc, v0, v66
	v_not_b32_e32 v3, v37
	s_nop 0
	v_subb_co_u32_e32 v1, vcc, 0, v67, vcc
	v_lshl_add_u64 v[0:1], v[0:1], 0, v[36:37]
	v_cmp_gt_i64_e32 vcc, v[0:1], v[72:73]
	v_not_b32_e32 v2, v36
	v_mov_b32_e32 v57, 0
	v_cndmask_b32_e32 v1, v73, v1, vcc
	v_cndmask_b32_e32 v0, v72, v0, vcc
	v_sub_co_u32_e32 v4, vcc, v66, v68
	v_mov_b32_e32 v79, v57
	s_nop 0
	v_subbrev_co_u32_e32 v5, vcc, 0, v67, vcc
	v_lshl_add_u64 v[2:3], v[4:5], 0, v[2:3]
	v_lshl_add_u64 v[0:1], v[2:3], 0, v[0:1]
	v_and_b32_e32 v56, 12, v0
	v_cmp_ne_u64_e32 vcc, 12, v[56:57]
	v_mov_b32_e32 v56, v57
	v_mov_b32_e32 v78, v57
	;; [unrolled: 1-line block ×6, first 2 shown]
	s_and_saveexec_b64 s[4:5], vcc
	s_cbranch_execz .LBB50_29
; %bb.26:
	v_lshrrev_b32_e32 v2, 2, v0
	v_add_u32_e32 v2, 1, v2
	v_and_b32_e32 v4, 3, v2
	v_sub_co_u32_e32 v4, vcc, 0, v4
	v_mov_b32_e32 v56, 0
	s_nop 0
	v_subb_co_u32_e64 v5, s[14:15], 0, 0, vcc
	v_lshl_add_u64 v[2:3], v[70:71], 3, s[12:13]
	s_mov_b64 s[10:11], 0
	s_mov_b64 s[14:15], 0x200
	v_mov_b32_e32 v57, v56
	v_mov_b32_e32 v78, v56
	;; [unrolled: 1-line block ×7, first 2 shown]
.LBB50_27:                              ; =>This Inner Loop Header: Depth=1
	global_load_dwordx2 v[34:35], v[2:3], off
	global_load_dwordx4 v[6:9], v[74:75], off offset:16
	global_load_dwordx4 v[10:13], v[74:75], off
	global_load_dwordx4 v[14:17], v[74:75], off offset:48
	global_load_dwordx4 v[18:21], v[74:75], off offset:32
	global_load_dwordx4 v[22:25], v[74:75], off offset:80
	global_load_dwordx4 v[26:29], v[74:75], off offset:64
	global_load_dwordx4 v[30:33], v[74:75], off offset:96
	v_lshl_add_u64 v[4:5], v[4:5], 0, 1
	v_lshl_add_u64 v[70:71], v[70:71], 0, 4
	;; [unrolled: 1-line block ×3, first 2 shown]
	s_waitcnt vmcnt(7)
	v_sub_co_u32_e32 v34, vcc, v34, v66
	s_nop 1
	v_subb_co_u32_e32 v35, vcc, v35, v67, vcc
	v_lshlrev_b64 v[34:35], 5, v[34:35]
	v_lshl_add_u64 v[46:47], s[2:3], 0, v[34:35]
	global_load_dwordx4 v[34:37], v[46:47], off offset:16
	global_load_dwordx4 v[38:41], v[46:47], off
	global_load_dwordx4 v[42:45], v[74:75], off offset:112
	s_waitcnt vmcnt(8)
	v_xor_b32_e32 v46, 0x80000000, v13
	v_mov_b32_e32 v47, v12
	v_xor_b32_e32 v54, 0x80000000, v9
	v_mov_b32_e32 v55, v8
	s_waitcnt vmcnt(6)
	v_xor_b32_e32 v48, 0x80000000, v21
	v_mov_b32_e32 v49, v20
	v_xor_b32_e32 v80, 0x80000000, v17
	v_mov_b32_e32 v81, v16
	;; [unrolled: 5-line block ×3, first 2 shown]
	v_cmp_eq_u64_e32 vcc, 0, v[4:5]
	s_waitcnt vmcnt(3)
	v_xor_b32_e32 v52, 0x80000000, v33
	v_mov_b32_e32 v53, v32
	v_lshl_add_u64 v[74:75], v[74:75], 0, s[14:15]
	s_or_b64 s[10:11], vcc, s[10:11]
	s_waitcnt vmcnt(2)
	v_mov_b32_e32 v88, v37
	s_waitcnt vmcnt(1)
	v_pk_fma_f32 v[76:77], v[10:11], v[38:39], v[76:77] op_sel_hi:[1,0,1]
	v_pk_fma_f32 v[12:13], v[12:13], v[38:39], v[56:57] op_sel_hi:[1,0,1]
	;; [unrolled: 1-line block ×4, first 2 shown]
	v_pk_fma_f32 v[10:11], v[10:11], v[38:39], v[76:77] op_sel:[1,1,0] op_sel_hi:[0,1,1] neg_lo:[1,0,0]
	v_pk_fma_f32 v[12:13], v[46:47], v[38:39], v[12:13] op_sel:[0,1,0]
	v_pk_fma_f32 v[6:7], v[6:7], v[38:39], v[56:57] op_sel:[1,1,0] op_sel_hi:[0,1,1] neg_lo:[1,0,0]
	v_pk_fma_f32 v[8:9], v[54:55], v[38:39], v[8:9] op_sel:[0,1,0]
	v_mov_b32_e32 v86, v41
	v_pk_fma_f32 v[10:11], v[18:19], v[40:41], v[10:11] op_sel_hi:[1,0,1]
	v_pk_fma_f32 v[12:13], v[20:21], v[40:41], v[12:13] op_sel_hi:[1,0,1]
	;; [unrolled: 1-line block ×4, first 2 shown]
	v_pk_fma_f32 v[10:11], v[18:19], v[86:87], v[10:11] op_sel:[1,0,0] op_sel_hi:[0,0,1] neg_lo:[1,0,0]
	v_pk_fma_f32 v[12:13], v[48:49], v[86:87], v[12:13] op_sel_hi:[1,0,1]
	v_pk_fma_f32 v[6:7], v[14:15], v[86:87], v[6:7] op_sel:[1,0,0] op_sel_hi:[0,0,1] neg_lo:[1,0,0]
	v_pk_fma_f32 v[8:9], v[80:81], v[86:87], v[8:9] op_sel_hi:[1,0,1]
	v_pk_fma_f32 v[10:11], v[26:27], v[34:35], v[10:11] op_sel_hi:[1,0,1]
	;; [unrolled: 1-line block ×5, first 2 shown]
	v_pk_fma_f32 v[10:11], v[26:27], v[34:35], v[10:11] op_sel:[1,1,0] op_sel_hi:[0,1,1] neg_lo:[1,0,0]
	v_pk_fma_f32 v[12:13], v[50:51], v[34:35], v[12:13] op_sel:[0,1,0]
	v_pk_fma_f32 v[6:7], v[22:23], v[34:35], v[6:7] op_sel:[1,1,0] op_sel_hi:[0,1,1] neg_lo:[1,0,0]
	v_pk_fma_f32 v[8:9], v[82:83], v[34:35], v[8:9] op_sel:[0,1,0]
	s_waitcnt vmcnt(0)
	v_xor_b32_e32 v84, 0x80000000, v45
	v_mov_b32_e32 v85, v44
	v_pk_fma_f32 v[10:11], v[30:31], v[36:37], v[10:11] op_sel_hi:[1,0,1]
	v_pk_fma_f32 v[12:13], v[32:33], v[36:37], v[12:13] op_sel_hi:[1,0,1]
	;; [unrolled: 1-line block ×4, first 2 shown]
	v_pk_fma_f32 v[76:77], v[30:31], v[88:89], v[10:11] op_sel:[1,0,0] op_sel_hi:[0,0,1] neg_lo:[1,0,0]
	v_pk_fma_f32 v[56:57], v[52:53], v[88:89], v[12:13] op_sel_hi:[1,0,1]
	v_pk_fma_f32 v[78:79], v[42:43], v[88:89], v[6:7] op_sel:[1,0,0] op_sel_hi:[0,0,1] neg_lo:[1,0,0]
	v_pk_fma_f32 v[58:59], v[84:85], v[88:89], v[8:9] op_sel_hi:[1,0,1]
	s_andn2_b64 exec, exec, s[10:11]
	s_cbranch_execnz .LBB50_27
; %bb.28:
	s_or_b64 exec, exec, s[10:11]
.LBB50_29:
	s_or_b64 exec, exec, s[4:5]
	v_cmp_lt_u64_e32 vcc, 11, v[0:1]
	s_and_saveexec_b64 s[4:5], vcc
	s_cbranch_execz .LBB50_33
; %bb.30:
	v_lshl_add_u64 v[0:1], v[70:71], 3, s[12:13]
	v_lshl_add_u64 v[80:81], v[0:1], 0, 64
	s_mov_b64 s[10:11], 0
	s_mov_b64 s[12:13], 0x80
	;; [unrolled: 1-line block ×3, first 2 shown]
.LBB50_31:                              ; =>This Inner Loop Header: Depth=1
	global_load_dwordx4 v[44:47], v[74:75], off
	global_load_dwordx2 v[86:87], v[80:81], off offset:-64
	global_load_dwordx4 v[16:19], v[74:75], off offset:16
	global_load_dwordx4 v[12:15], v[74:75], off offset:48
	;; [unrolled: 1-line block ×13, first 2 shown]
	global_load_dwordx2 v[98:99], v[80:81], off offset:-32
	global_load_dwordx2 v[84:85], v[80:81], off
	global_load_dwordx2 v[82:83], v[80:81], off offset:32
	v_lshl_add_u64 v[70:71], v[70:71], 0, 16
	v_lshl_add_u64 v[80:81], v[80:81], 0, s[12:13]
	s_waitcnt vmcnt(17)
	v_xor_b32_e32 v100, 0x80000000, v47
	s_waitcnt vmcnt(16)
	v_sub_co_u32_e32 v86, vcc, v86, v66
	v_mov_b32_e32 v101, v46
	s_nop 0
	v_subb_co_u32_e32 v87, vcc, v87, v67, vcc
	v_lshlrev_b64 v[86:87], 5, v[86:87]
	v_lshl_add_u64 v[94:95], s[2:3], 0, v[86:87]
	global_load_dwordx4 v[86:89], v[94:95], off
	global_load_dwordx4 v[90:93], v[94:95], off offset:16
	s_waitcnt vmcnt(16)
	v_xor_b32_e32 v102, 0x80000000, v15
	v_mov_b32_e32 v103, v14
	global_load_dwordx4 v[94:97], v[74:75], off offset:592
	s_waitcnt vmcnt(2)
	v_pk_fma_f32 v[76:77], v[44:45], v[86:87], v[76:77] op_sel_hi:[1,0,1]
	v_pk_fma_f32 v[46:47], v[46:47], v[86:87], v[56:57] op_sel_hi:[1,0,1]
	v_pk_fma_f32 v[44:45], v[44:45], v[86:87], v[76:77] op_sel:[1,1,0] op_sel_hi:[0,1,1] neg_lo:[1,0,0]
	v_xor_b32_e32 v56, 0x80000000, v19
	v_mov_b32_e32 v57, v18
	v_pk_fma_f32 v[76:77], v[16:17], v[86:87], v[78:79] op_sel_hi:[1,0,1]
	v_pk_fma_f32 v[18:19], v[18:19], v[86:87], v[58:59] op_sel_hi:[1,0,1]
	v_pk_fma_f32 v[58:59], v[16:17], v[86:87], v[76:77] op_sel:[1,1,0] op_sel_hi:[0,1,1] neg_lo:[1,0,0]
	v_pk_fma_f32 v[46:47], v[100:101], v[86:87], v[46:47] op_sel:[0,1,0]
	v_pk_fma_f32 v[56:57], v[56:57], v[86:87], v[18:19] op_sel:[0,1,0]
	v_pk_fma_f32 v[44:45], v[28:29], v[88:89], v[44:45] op_sel_hi:[1,0,1]
	v_pk_fma_f32 v[46:47], v[30:31], v[88:89], v[46:47] op_sel_hi:[1,0,1]
	;; [unrolled: 1-line block ×4, first 2 shown]
	v_mov_b32_e32 v86, v89
	v_xor_b32_e32 v88, 0x80000000, v31
	v_mov_b32_e32 v89, v30
	v_pk_fma_f32 v[100:101], v[28:29], v[86:87], v[44:45] op_sel:[1,0,0] op_sel_hi:[0,0,1] neg_lo:[1,0,0]
	v_pk_fma_f32 v[12:13], v[12:13], v[86:87], v[58:59] op_sel:[1,0,0] op_sel_hi:[0,0,1] neg_lo:[1,0,0]
	v_pk_fma_f32 v[14:15], v[88:89], v[86:87], v[46:47] op_sel_hi:[1,0,1]
	v_pk_fma_f32 v[56:57], v[102:103], v[86:87], v[56:57] op_sel_hi:[1,0,1]
	v_xor_b32_e32 v58, 0x80000000, v51
	v_mov_b32_e32 v59, v50
	s_waitcnt vmcnt(1)
	v_pk_fma_f32 v[86:87], v[48:49], v[90:91], v[100:101] op_sel_hi:[1,0,1]
	v_pk_fma_f32 v[14:15], v[50:51], v[90:91], v[14:15] op_sel_hi:[1,0,1]
	v_xor_b32_e32 v88, 0x80000000, v11
	v_mov_b32_e32 v89, v10
	v_pk_fma_f32 v[12:13], v[8:9], v[90:91], v[12:13] op_sel_hi:[1,0,1]
	v_pk_fma_f32 v[56:57], v[10:11], v[90:91], v[56:57] op_sel_hi:[1,0,1]
	v_pk_fma_f32 v[86:87], v[48:49], v[90:91], v[86:87] op_sel:[1,1,0] op_sel_hi:[0,1,1] neg_lo:[1,0,0]
	v_pk_fma_f32 v[100:101], v[8:9], v[90:91], v[12:13] op_sel:[1,1,0] op_sel_hi:[0,1,1] neg_lo:[1,0,0]
	v_pk_fma_f32 v[58:59], v[58:59], v[90:91], v[14:15] op_sel:[0,1,0]
	v_pk_fma_f32 v[56:57], v[88:89], v[90:91], v[56:57] op_sel:[0,1,0]
	v_pk_fma_f32 v[86:87], v[52:53], v[92:93], v[86:87] op_sel_hi:[1,0,1]
	v_pk_fma_f32 v[58:59], v[54:55], v[92:93], v[58:59] op_sel_hi:[1,0,1]
	;; [unrolled: 1-line block ×4, first 2 shown]
	v_mov_b32_e32 v90, v93
	v_mov_b32_e32 v93, v54
	v_sub_co_u32_e32 v54, vcc, v98, v66
	v_xor_b32_e32 v92, 0x80000000, v55
	s_nop 0
	v_subb_co_u32_e32 v55, vcc, v99, v67, vcc
	v_lshlrev_b64 v[54:55], 5, v[54:55]
	v_pk_fma_f32 v[100:101], v[52:53], v[90:91], v[86:87] op_sel:[1,0,0] op_sel_hi:[0,0,1] neg_lo:[1,0,0]
	v_xor_b32_e32 v52, 0x80000000, v43
	v_mov_b32_e32 v53, v42
	v_lshl_add_u64 v[104:105], s[2:3], 0, v[54:55]
	global_load_dwordx4 v[76:79], v[74:75], off offset:576
	global_load_dwordx4 v[16:19], v[74:75], off offset:1072
	;; [unrolled: 1-line block ×7, first 2 shown]
	v_pk_fma_f32 v[102:103], v[40:41], v[90:91], v[88:89] op_sel:[1,0,0] op_sel_hi:[0,0,1] neg_lo:[1,0,0]
	global_load_dwordx4 v[40:43], v[74:75], off offset:1104
	v_pk_fma_f32 v[56:57], v[52:53], v[90:91], v[56:57] op_sel_hi:[1,0,1]
	global_load_dwordx4 v[52:55], v[104:105], off
	global_load_dwordx4 v[86:89], v[104:105], off offset:16
	v_pk_fma_f32 v[58:59], v[92:93], v[90:91], v[58:59] op_sel_hi:[1,0,1]
	v_xor_b32_e32 v98, 0x80000000, v39
	v_mov_b32_e32 v99, v38
	v_sub_co_u32_e32 v84, vcc, v84, v66
	s_waitcnt vmcnt(1)
	v_pk_fma_f32 v[90:91], v[36:37], v[52:53], v[100:101] op_sel_hi:[1,0,1]
	v_pk_fma_f32 v[38:39], v[38:39], v[52:53], v[58:59] op_sel_hi:[1,0,1]
	v_pk_fma_f32 v[36:37], v[36:37], v[52:53], v[90:91] op_sel:[1,1,0] op_sel_hi:[0,1,1] neg_lo:[1,0,0]
	v_xor_b32_e32 v90, 0x80000000, v35
	v_mov_b32_e32 v91, v34
	v_pk_fma_f32 v[58:59], v[32:33], v[52:53], v[102:103] op_sel_hi:[1,0,1]
	v_pk_fma_f32 v[92:93], v[34:35], v[52:53], v[56:57] op_sel_hi:[1,0,1]
	v_pk_fma_f32 v[100:101], v[32:33], v[52:53], v[58:59] op_sel:[1,1,0] op_sel_hi:[0,1,1] neg_lo:[1,0,0]
	v_pk_fma_f32 v[38:39], v[98:99], v[52:53], v[38:39] op_sel:[0,1,0]
	v_pk_fma_f32 v[52:53], v[90:91], v[52:53], v[92:93] op_sel:[0,1,0]
	v_pk_fma_f32 v[36:37], v[24:25], v[54:55], v[36:37] op_sel_hi:[1,0,1]
	v_pk_fma_f32 v[38:39], v[26:27], v[54:55], v[38:39] op_sel_hi:[1,0,1]
	;; [unrolled: 1-line block ×4, first 2 shown]
	v_mov_b32_e32 v54, v55
	v_xor_b32_e32 v90, 0x80000000, v27
	v_mov_b32_e32 v91, v26
	v_pk_fma_f32 v[36:37], v[24:25], v[54:55], v[36:37] op_sel:[1,0,0] op_sel_hi:[0,0,1] neg_lo:[1,0,0]
	v_xor_b32_e32 v98, 0x80000000, v23
	v_mov_b32_e32 v99, v22
	v_pk_fma_f32 v[92:93], v[20:21], v[54:55], v[92:93] op_sel:[1,0,0] op_sel_hi:[0,0,1] neg_lo:[1,0,0]
	v_pk_fma_f32 v[38:39], v[90:91], v[54:55], v[38:39] op_sel_hi:[1,0,1]
	v_pk_fma_f32 v[90:91], v[98:99], v[54:55], v[52:53] op_sel_hi:[1,0,1]
	s_waitcnt vmcnt(0)
	v_pk_fma_f32 v[36:37], v[76:77], v[86:87], v[36:37] op_sel_hi:[1,0,1]
	v_xor_b32_e32 v98, 0x80000000, v79
	v_mov_b32_e32 v99, v78
	v_pk_fma_f32 v[78:79], v[78:79], v[86:87], v[38:39] op_sel_hi:[1,0,1]
	v_pk_fma_f32 v[100:101], v[76:77], v[86:87], v[36:37] op_sel:[1,1,0] op_sel_hi:[0,1,1] neg_lo:[1,0,0]
	v_xor_b32_e32 v102, 0x80000000, v97
	v_mov_b32_e32 v103, v96
	v_pk_fma_f32 v[76:77], v[94:95], v[86:87], v[92:93] op_sel_hi:[1,0,1]
	v_pk_fma_f32 v[90:91], v[96:97], v[86:87], v[90:91] op_sel_hi:[1,0,1]
	v_pk_fma_f32 v[98:99], v[98:99], v[86:87], v[78:79] op_sel:[0,1,0]
	v_pk_fma_f32 v[92:93], v[94:95], v[86:87], v[76:77] op_sel:[1,1,0] op_sel_hi:[0,1,1] neg_lo:[1,0,0]
	v_pk_fma_f32 v[86:87], v[102:103], v[86:87], v[90:91] op_sel:[0,1,0]
	v_pk_fma_f32 v[94:95], v[4:5], v[88:89], v[100:101] op_sel_hi:[1,0,1]
	v_pk_fma_f32 v[96:97], v[6:7], v[88:89], v[98:99] op_sel_hi:[1,0,1]
	;; [unrolled: 1-line block ×4, first 2 shown]
	v_mov_b32_e32 v88, v89
	v_subb_co_u32_e32 v85, vcc, v85, v67, vcc
	v_pk_fma_f32 v[92:93], v[0:1], v[88:89], v[92:93] op_sel:[1,0,0] op_sel_hi:[0,0,1] neg_lo:[1,0,0]
	v_lshlrev_b64 v[0:1], 5, v[84:85]
	v_lshl_add_u64 v[84:85], s[2:3], 0, v[0:1]
	v_xor_b32_e32 v98, 0x80000000, v3
	v_mov_b32_e32 v99, v2
	global_load_dwordx4 v[0:3], v[84:85], off
	v_xor_b32_e32 v90, 0x80000000, v7
	v_mov_b32_e32 v91, v6
	v_cmp_ge_i64_e32 vcc, v[70:71], v[72:73]
	global_load_dwordx4 v[56:59], v[74:75], off offset:1088
	global_load_dwordx4 v[52:55], v[74:75], off offset:1536
	v_pk_fma_f32 v[94:95], v[4:5], v[88:89], v[94:95] op_sel:[1,0,0] op_sel_hi:[0,0,1] neg_lo:[1,0,0]
	v_pk_fma_f32 v[90:91], v[90:91], v[88:89], v[96:97] op_sel_hi:[1,0,1]
	v_pk_fma_f32 v[88:89], v[98:99], v[88:89], v[86:87] op_sel_hi:[1,0,1]
	global_load_dwordx4 v[84:87], v[84:85], off offset:16
	s_or_b64 s[10:11], vcc, s[10:11]
	v_sub_co_u32_e32 v82, vcc, v82, v66
	v_xor_b32_e32 v96, 0x80000000, v47
	s_nop 0
	v_subb_co_u32_e32 v83, vcc, v83, v67, vcc
	v_mov_b32_e32 v97, v46
	v_xor_b32_e32 v100, 0x80000000, v51
	v_mov_b32_e32 v101, v50
	global_load_dwordx4 v[24:27], v[74:75], off offset:1568
	global_load_dwordx4 v[20:23], v[74:75], off offset:1552
	;; [unrolled: 1-line block ×5, first 2 shown]
	v_xor_b32_e32 v98, 0x80000000, v19
	v_mov_b32_e32 v99, v18
	global_load_dwordx4 v[36:39], v[74:75], off offset:1648
	s_waitcnt vmcnt(9)
	v_pk_fma_f32 v[92:93], v[44:45], v[0:1], v[92:93] op_sel_hi:[1,0,1]
	v_pk_fma_f32 v[46:47], v[46:47], v[0:1], v[88:89] op_sel_hi:[1,0,1]
	v_pk_fma_f32 v[88:89], v[44:45], v[0:1], v[92:93] op_sel:[1,1,0] op_sel_hi:[0,1,1] neg_lo:[1,0,0]
	v_lshlrev_b64 v[44:45], 5, v[82:83]
	v_pk_fma_f32 v[94:95], v[48:49], v[0:1], v[94:95] op_sel_hi:[1,0,1]
	v_pk_fma_f32 v[90:91], v[50:51], v[0:1], v[90:91] op_sel_hi:[1,0,1]
	v_lshl_add_u64 v[82:83], s[2:3], 0, v[44:45]
	v_pk_fma_f32 v[94:95], v[48:49], v[0:1], v[94:95] op_sel:[1,1,0] op_sel_hi:[0,1,1] neg_lo:[1,0,0]
	v_pk_fma_f32 v[90:91], v[100:101], v[0:1], v[90:91] op_sel:[0,1,0]
	v_pk_fma_f32 v[0:1], v[96:97], v[0:1], v[46:47] op_sel:[0,1,0]
	global_load_dwordx4 v[44:47], v[82:83], off
	global_load_dwordx4 v[48:51], v[74:75], off offset:1600
	v_xor_b32_e32 v92, 0x80000000, v31
	v_mov_b32_e32 v93, v30
	v_pk_fma_f32 v[94:95], v[28:29], v[2:3], v[94:95] op_sel_hi:[1,0,1]
	v_pk_fma_f32 v[30:31], v[30:31], v[2:3], v[90:91] op_sel_hi:[1,0,1]
	;; [unrolled: 1-line block ×4, first 2 shown]
	v_mov_b32_e32 v90, v3
	global_load_dwordx4 v[0:3], v[82:83], off offset:16
	v_pk_fma_f32 v[28:29], v[28:29], v[90:91], v[94:95] op_sel:[1,0,0] op_sel_hi:[0,0,1] neg_lo:[1,0,0]
	v_pk_fma_f32 v[16:17], v[16:17], v[90:91], v[88:89] op_sel:[1,0,0] op_sel_hi:[0,0,1] neg_lo:[1,0,0]
	v_pk_fma_f32 v[30:31], v[92:93], v[90:91], v[30:31] op_sel_hi:[1,0,1]
	v_pk_fma_f32 v[18:19], v[98:99], v[90:91], v[18:19] op_sel_hi:[1,0,1]
	s_waitcnt vmcnt(11)
	v_xor_b32_e32 v82, 0x80000000, v57
	v_xor_b32_e32 v94, 0x80000000, v59
	;; [unrolled: 1-line block ×3, first 2 shown]
	v_mov_b32_e32 v83, v56
	v_mov_b32_e32 v95, v58
	v_xor_b32_e32 v96, 0x80000000, v43
	v_mov_b32_e32 v89, v40
	v_mov_b32_e32 v97, v42
	s_waitcnt vmcnt(9)
	v_pk_fma_f32 v[28:29], v[56:57], v[84:85], v[28:29] op_sel_hi:[1,0,1]
	v_pk_fma_f32 v[30:31], v[58:59], v[84:85], v[30:31] op_sel_hi:[1,0,1]
	;; [unrolled: 1-line block ×4, first 2 shown]
	v_pk_fma_f32 v[28:29], v[82:83], v[84:85], v[28:29] op_sel:[0,1,0]
	v_pk_fma_f32 v[30:31], v[94:95], v[84:85], v[30:31] op_sel:[0,1,0]
	;; [unrolled: 1-line block ×4, first 2 shown]
	v_xor_b32_e32 v92, 0x80000000, v15
	v_mov_b32_e32 v93, v14
	v_xor_b32_e32 v40, 0x80000000, v11
	v_mov_b32_e32 v41, v10
	v_mov_b32_e32 v84, v87
	v_pk_fma_f32 v[28:29], v[12:13], v[86:87], v[28:29] op_sel_hi:[1,0,1]
	v_pk_fma_f32 v[14:15], v[14:15], v[86:87], v[30:31] op_sel_hi:[1,0,1]
	;; [unrolled: 1-line block ×4, first 2 shown]
	v_pk_fma_f32 v[12:13], v[12:13], v[84:85], v[28:29] op_sel:[1,0,0] op_sel_hi:[0,0,1] neg_lo:[1,0,0]
	v_pk_fma_f32 v[8:9], v[8:9], v[84:85], v[16:17] op_sel:[1,0,0] op_sel_hi:[0,0,1] neg_lo:[1,0,0]
	v_pk_fma_f32 v[14:15], v[92:93], v[84:85], v[14:15] op_sel_hi:[1,0,1]
	v_pk_fma_f32 v[10:11], v[40:41], v[84:85], v[10:11] op_sel_hi:[1,0,1]
	v_xor_b32_e32 v90, 0x80000000, v55
	v_mov_b32_e32 v91, v54
	s_waitcnt vmcnt(7)
	v_xor_b32_e32 v42, 0x80000000, v23
	v_mov_b32_e32 v43, v22
	v_xor_b32_e32 v98, 0x80000000, v27
	v_mov_b32_e32 v99, v26
	s_waitcnt vmcnt(6)
	v_xor_b32_e32 v82, 0x80000000, v35
	v_mov_b32_e32 v83, v34
	s_waitcnt vmcnt(4)
	v_xor_b32_e32 v94, 0x80000000, v7
	v_mov_b32_e32 v95, v6
	v_xor_b32_e32 v58, 0x80000000, v79
	v_mov_b32_e32 v59, v78
	s_waitcnt vmcnt(3)
	v_xor_b32_e32 v88, 0x80000000, v39
	v_mov_b32_e32 v89, v38
	v_lshl_add_u64 v[74:75], v[74:75], 0, s[14:15]
	s_waitcnt vmcnt(2)
	v_pk_fma_f32 v[12:13], v[52:53], v[44:45], v[12:13] op_sel_hi:[1,0,1]
	v_pk_fma_f32 v[14:15], v[54:55], v[44:45], v[14:15] op_sel_hi:[1,0,1]
	;; [unrolled: 1-line block ×4, first 2 shown]
	v_pk_fma_f32 v[12:13], v[52:53], v[44:45], v[12:13] op_sel:[1,1,0] op_sel_hi:[0,1,1] neg_lo:[1,0,0]
	v_pk_fma_f32 v[14:15], v[90:91], v[44:45], v[14:15] op_sel:[0,1,0]
	v_pk_fma_f32 v[8:9], v[20:21], v[44:45], v[8:9] op_sel:[1,1,0] op_sel_hi:[0,1,1] neg_lo:[1,0,0]
	v_pk_fma_f32 v[10:11], v[42:43], v[44:45], v[10:11] op_sel:[0,1,0]
	v_mov_b32_e32 v18, v47
	v_pk_fma_f32 v[12:13], v[24:25], v[46:47], v[12:13] op_sel_hi:[1,0,1]
	v_pk_fma_f32 v[14:15], v[26:27], v[46:47], v[14:15] op_sel_hi:[1,0,1]
	;; [unrolled: 1-line block ×4, first 2 shown]
	v_pk_fma_f32 v[12:13], v[24:25], v[18:19], v[12:13] op_sel:[1,0,0] op_sel_hi:[0,0,1] neg_lo:[1,0,0]
	v_pk_fma_f32 v[14:15], v[98:99], v[18:19], v[14:15] op_sel_hi:[1,0,1]
	v_pk_fma_f32 v[8:9], v[32:33], v[18:19], v[8:9] op_sel:[1,0,0] op_sel_hi:[0,0,1] neg_lo:[1,0,0]
	v_pk_fma_f32 v[10:11], v[82:83], v[18:19], v[10:11] op_sel_hi:[1,0,1]
	s_waitcnt vmcnt(1)
	v_xor_b32_e32 v56, 0x80000000, v51
	v_mov_b32_e32 v57, v50
	s_waitcnt vmcnt(0)
	v_pk_fma_f32 v[12:13], v[48:49], v[0:1], v[12:13] op_sel_hi:[1,0,1]
	v_pk_fma_f32 v[14:15], v[50:51], v[0:1], v[14:15] op_sel_hi:[1,0,1]
	;; [unrolled: 1-line block ×4, first 2 shown]
	v_pk_fma_f32 v[10:11], v[48:49], v[0:1], v[12:13] op_sel:[1,1,0] op_sel_hi:[0,1,1] neg_lo:[1,0,0]
	v_pk_fma_f32 v[12:13], v[56:57], v[0:1], v[14:15] op_sel:[0,1,0]
	v_pk_fma_f32 v[4:5], v[4:5], v[0:1], v[8:9] op_sel:[1,1,0] op_sel_hi:[0,1,1] neg_lo:[1,0,0]
	v_pk_fma_f32 v[0:1], v[94:95], v[0:1], v[6:7] op_sel:[0,1,0]
	v_mov_b32_e32 v30, v3
	v_pk_fma_f32 v[6:7], v[76:77], v[2:3], v[10:11] op_sel_hi:[1,0,1]
	v_pk_fma_f32 v[8:9], v[78:79], v[2:3], v[12:13] op_sel_hi:[1,0,1]
	;; [unrolled: 1-line block ×4, first 2 shown]
	v_pk_fma_f32 v[76:77], v[76:77], v[30:31], v[6:7] op_sel:[1,0,0] op_sel_hi:[0,0,1] neg_lo:[1,0,0]
	v_pk_fma_f32 v[56:57], v[58:59], v[30:31], v[8:9] op_sel_hi:[1,0,1]
	v_pk_fma_f32 v[78:79], v[36:37], v[30:31], v[4:5] op_sel:[1,0,0] op_sel_hi:[0,0,1] neg_lo:[1,0,0]
	v_pk_fma_f32 v[58:59], v[88:89], v[30:31], v[0:1] op_sel_hi:[1,0,1]
	s_andn2_b64 exec, exec, s[10:11]
	s_cbranch_execnz .LBB50_31
; %bb.32:
	s_or_b64 exec, exec, s[10:11]
.LBB50_33:
	s_or_b64 exec, exec, s[4:5]
	v_mov_b32_e32 v69, v77
.LBB50_34:
	s_or_b64 exec, exec, s[8:9]
.LBB50_35:
	v_mov_b32_dpp v6, v57 row_shr:1 row_mask:0xf bank_mask:0xf
	v_add_f32_e32 v7, v57, v6
	v_mov_b32_dpp v0, v76 row_shr:1 row_mask:0xf bank_mask:0xf
	v_mov_b32_dpp v6, v78 row_shr:1 row_mask:0xf bank_mask:0xf
	v_add_f32_e32 v9, v78, v6
	v_mov_b32_dpp v2, v69 row_shr:1 row_mask:0xf bank_mask:0xf
	;; [unrolled: 3-line block ×3, first 2 shown]
	v_mov_b32_dpp v6, v58 row_shr:1 row_mask:0xf bank_mask:0xf
	v_add_f32_e32 v15, v58, v6
	v_add_f32_e32 v0, v76, v0
	v_mov_b32_dpp v6, v59 row_shr:1 row_mask:0xf bank_mask:0xf
	v_add_f32_e32 v2, v69, v2
	v_add_f32_e32 v4, v56, v4
	;; [unrolled: 1-line block ×3, first 2 shown]
	v_mov_b32_dpp v1, v0 row_shr:2 row_mask:0xf bank_mask:0xf
	v_mov_b32_dpp v3, v2 row_shr:2 row_mask:0xf bank_mask:0xf
	;; [unrolled: 1-line block ×8, first 2 shown]
	v_cmp_eq_u32_e32 vcc, 3, v68
	s_and_b64 exec, exec, vcc
	s_cbranch_execz .LBB50_6
; %bb.36:
	s_load_dwordx2 s[0:1], s[0:1], 0x58
	v_cmp_eq_f32_e32 vcc, 0, v62
	s_xor_b64 s[2:3], s[6:7], -1
	v_add_f32_e32 v6, v0, v1
	v_add_f32_e32 v14, v2, v3
	;; [unrolled: 1-line block ×8, first 2 shown]
	s_and_b64 s[2:3], vcc, s[2:3]
	v_lshlrev_b64 v[16:17], 5, v[64:65]
	s_and_saveexec_b64 s[4:5], s[2:3]
	s_xor_b64 s[2:3], exec, s[4:5]
	s_cbranch_execz .LBB50_38
; %bb.37:
	v_xor_b32_e32 v18, 0x80000000, v61
	v_mov_b32_e32 v19, v60
	v_pk_mul_f32 v[14:15], v[14:15], v[18:19] op_sel_hi:[0,1]
	v_pk_fma_f32 v[14:15], v[60:61], v[6:7], v[14:15] op_sel_hi:[1,0,1]
	v_pk_mul_f32 v[6:7], v[12:13], v[18:19] op_sel_hi:[0,1]
	s_waitcnt lgkmcnt(0)
	v_lshl_add_u64 v[20:21], s[0:1], 0, v[16:17]
	v_pk_fma_f32 v[16:17], v[60:61], v[4:5], v[6:7] op_sel_hi:[1,0,1]
	v_pk_mul_f32 v[4:5], v[10:11], v[18:19] op_sel_hi:[0,1]
	v_pk_fma_f32 v[2:3], v[60:61], v[2:3], v[4:5] op_sel_hi:[1,0,1]
	v_pk_mul_f32 v[4:5], v[8:9], v[18:19] op_sel_hi:[0,1]
	v_pk_fma_f32 v[4:5], v[60:61], v[0:1], v[4:5] op_sel_hi:[1,0,1]
	global_store_dwordx4 v[20:21], v[14:17], off
	global_store_dwordx4 v[20:21], v[2:5], off offset:16
                                        ; implicit-def: $vgpr6
                                        ; implicit-def: $vgpr14
                                        ; implicit-def: $vgpr4
                                        ; implicit-def: $vgpr12
                                        ; implicit-def: $vgpr2
                                        ; implicit-def: $vgpr10
                                        ; implicit-def: $vgpr0
                                        ; implicit-def: $vgpr8
                                        ; implicit-def: $vgpr60_vgpr61
                                        ; implicit-def: $vgpr62_vgpr63
                                        ; implicit-def: $vgpr16_vgpr17
.LBB50_38:
	s_andn2_saveexec_b64 s[2:3], s[2:3]
	s_cbranch_execz .LBB50_6
; %bb.39:
	s_waitcnt lgkmcnt(0)
	v_lshl_add_u64 v[24:25], s[0:1], 0, v[16:17]
	global_load_dwordx4 v[16:19], v[24:25], off
	global_load_dwordx4 v[20:23], v[24:25], off offset:16
	v_xor_b32_e32 v26, 0x80000000, v61
	v_mov_b32_e32 v27, v60
	v_pk_mul_f32 v[14:15], v[14:15], v[26:27] op_sel_hi:[0,1]
	v_pk_mul_f32 v[12:13], v[12:13], v[26:27] op_sel_hi:[0,1]
	;; [unrolled: 1-line block ×4, first 2 shown]
	v_pk_fma_f32 v[6:7], v[60:61], v[6:7], v[14:15] op_sel_hi:[1,0,1]
	v_pk_fma_f32 v[4:5], v[60:61], v[4:5], v[12:13] op_sel_hi:[1,0,1]
	v_xor_b32_e32 v28, 0x80000000, v63
	v_mov_b32_e32 v29, v62
	v_pk_fma_f32 v[2:3], v[60:61], v[2:3], v[10:11] op_sel_hi:[1,0,1]
	v_pk_fma_f32 v[0:1], v[60:61], v[0:1], v[8:9] op_sel_hi:[1,0,1]
	s_waitcnt vmcnt(1)
	v_pk_fma_f32 v[6:7], v[62:63], v[16:17], v[6:7] op_sel_hi:[1,0,1]
	v_pk_fma_f32 v[4:5], v[62:63], v[18:19], v[4:5] op_sel_hi:[1,0,1]
	v_mov_b32_e32 v8, v19
	s_waitcnt vmcnt(0)
	v_pk_fma_f32 v[10:11], v[62:63], v[20:21], v[2:3] op_sel_hi:[1,0,1]
	v_pk_fma_f32 v[12:13], v[62:63], v[22:23], v[0:1] op_sel_hi:[1,0,1]
	v_mov_b32_e32 v14, v23
	v_pk_fma_f32 v[0:1], v[28:29], v[16:17], v[6:7] op_sel:[0,1,0]
	v_pk_fma_f32 v[2:3], v[28:29], v[8:9], v[4:5] op_sel_hi:[1,0,1]
	v_pk_fma_f32 v[4:5], v[28:29], v[20:21], v[10:11] op_sel:[0,1,0]
	v_pk_fma_f32 v[6:7], v[28:29], v[14:15], v[12:13] op_sel_hi:[1,0,1]
	global_store_dwordx4 v[24:25], v[0:3], off
	global_store_dwordx4 v[24:25], v[4:7], off offset:16
	s_endpgm
	.section	.rodata,"a",@progbits
	.p2align	6, 0x0
	.amdhsa_kernel _ZN9rocsparseL18bsrxmvn_4x4_kernelILj128ELj4E21rocsparse_complex_numIfEllS2_S2_S2_EEvT3_20rocsparse_direction_NS_24const_host_device_scalarIT1_EES3_PKS3_PKT2_SC_S9_PKT4_PKT5_S7_PT6_21rocsparse_index_base_b
		.amdhsa_group_segment_fixed_size 0
		.amdhsa_private_segment_fixed_size 0
		.amdhsa_kernarg_size 104
		.amdhsa_user_sgpr_count 2
		.amdhsa_user_sgpr_dispatch_ptr 0
		.amdhsa_user_sgpr_queue_ptr 0
		.amdhsa_user_sgpr_kernarg_segment_ptr 1
		.amdhsa_user_sgpr_dispatch_id 0
		.amdhsa_user_sgpr_kernarg_preload_length 0
		.amdhsa_user_sgpr_kernarg_preload_offset 0
		.amdhsa_user_sgpr_private_segment_size 0
		.amdhsa_uses_dynamic_stack 0
		.amdhsa_enable_private_segment 0
		.amdhsa_system_sgpr_workgroup_id_x 1
		.amdhsa_system_sgpr_workgroup_id_y 0
		.amdhsa_system_sgpr_workgroup_id_z 0
		.amdhsa_system_sgpr_workgroup_info 0
		.amdhsa_system_vgpr_workitem_id 0
		.amdhsa_next_free_vgpr 106
		.amdhsa_next_free_sgpr 20
		.amdhsa_accum_offset 108
		.amdhsa_reserve_vcc 1
		.amdhsa_float_round_mode_32 0
		.amdhsa_float_round_mode_16_64 0
		.amdhsa_float_denorm_mode_32 3
		.amdhsa_float_denorm_mode_16_64 3
		.amdhsa_dx10_clamp 1
		.amdhsa_ieee_mode 1
		.amdhsa_fp16_overflow 0
		.amdhsa_tg_split 0
		.amdhsa_exception_fp_ieee_invalid_op 0
		.amdhsa_exception_fp_denorm_src 0
		.amdhsa_exception_fp_ieee_div_zero 0
		.amdhsa_exception_fp_ieee_overflow 0
		.amdhsa_exception_fp_ieee_underflow 0
		.amdhsa_exception_fp_ieee_inexact 0
		.amdhsa_exception_int_div_zero 0
	.end_amdhsa_kernel
	.section	.text._ZN9rocsparseL18bsrxmvn_4x4_kernelILj128ELj4E21rocsparse_complex_numIfEllS2_S2_S2_EEvT3_20rocsparse_direction_NS_24const_host_device_scalarIT1_EES3_PKS3_PKT2_SC_S9_PKT4_PKT5_S7_PT6_21rocsparse_index_base_b,"axG",@progbits,_ZN9rocsparseL18bsrxmvn_4x4_kernelILj128ELj4E21rocsparse_complex_numIfEllS2_S2_S2_EEvT3_20rocsparse_direction_NS_24const_host_device_scalarIT1_EES3_PKS3_PKT2_SC_S9_PKT4_PKT5_S7_PT6_21rocsparse_index_base_b,comdat
.Lfunc_end50:
	.size	_ZN9rocsparseL18bsrxmvn_4x4_kernelILj128ELj4E21rocsparse_complex_numIfEllS2_S2_S2_EEvT3_20rocsparse_direction_NS_24const_host_device_scalarIT1_EES3_PKS3_PKT2_SC_S9_PKT4_PKT5_S7_PT6_21rocsparse_index_base_b, .Lfunc_end50-_ZN9rocsparseL18bsrxmvn_4x4_kernelILj128ELj4E21rocsparse_complex_numIfEllS2_S2_S2_EEvT3_20rocsparse_direction_NS_24const_host_device_scalarIT1_EES3_PKS3_PKT2_SC_S9_PKT4_PKT5_S7_PT6_21rocsparse_index_base_b
                                        ; -- End function
	.set _ZN9rocsparseL18bsrxmvn_4x4_kernelILj128ELj4E21rocsparse_complex_numIfEllS2_S2_S2_EEvT3_20rocsparse_direction_NS_24const_host_device_scalarIT1_EES3_PKS3_PKT2_SC_S9_PKT4_PKT5_S7_PT6_21rocsparse_index_base_b.num_vgpr, 106
	.set _ZN9rocsparseL18bsrxmvn_4x4_kernelILj128ELj4E21rocsparse_complex_numIfEllS2_S2_S2_EEvT3_20rocsparse_direction_NS_24const_host_device_scalarIT1_EES3_PKS3_PKT2_SC_S9_PKT4_PKT5_S7_PT6_21rocsparse_index_base_b.num_agpr, 0
	.set _ZN9rocsparseL18bsrxmvn_4x4_kernelILj128ELj4E21rocsparse_complex_numIfEllS2_S2_S2_EEvT3_20rocsparse_direction_NS_24const_host_device_scalarIT1_EES3_PKS3_PKT2_SC_S9_PKT4_PKT5_S7_PT6_21rocsparse_index_base_b.numbered_sgpr, 20
	.set _ZN9rocsparseL18bsrxmvn_4x4_kernelILj128ELj4E21rocsparse_complex_numIfEllS2_S2_S2_EEvT3_20rocsparse_direction_NS_24const_host_device_scalarIT1_EES3_PKS3_PKT2_SC_S9_PKT4_PKT5_S7_PT6_21rocsparse_index_base_b.num_named_barrier, 0
	.set _ZN9rocsparseL18bsrxmvn_4x4_kernelILj128ELj4E21rocsparse_complex_numIfEllS2_S2_S2_EEvT3_20rocsparse_direction_NS_24const_host_device_scalarIT1_EES3_PKS3_PKT2_SC_S9_PKT4_PKT5_S7_PT6_21rocsparse_index_base_b.private_seg_size, 0
	.set _ZN9rocsparseL18bsrxmvn_4x4_kernelILj128ELj4E21rocsparse_complex_numIfEllS2_S2_S2_EEvT3_20rocsparse_direction_NS_24const_host_device_scalarIT1_EES3_PKS3_PKT2_SC_S9_PKT4_PKT5_S7_PT6_21rocsparse_index_base_b.uses_vcc, 1
	.set _ZN9rocsparseL18bsrxmvn_4x4_kernelILj128ELj4E21rocsparse_complex_numIfEllS2_S2_S2_EEvT3_20rocsparse_direction_NS_24const_host_device_scalarIT1_EES3_PKS3_PKT2_SC_S9_PKT4_PKT5_S7_PT6_21rocsparse_index_base_b.uses_flat_scratch, 0
	.set _ZN9rocsparseL18bsrxmvn_4x4_kernelILj128ELj4E21rocsparse_complex_numIfEllS2_S2_S2_EEvT3_20rocsparse_direction_NS_24const_host_device_scalarIT1_EES3_PKS3_PKT2_SC_S9_PKT4_PKT5_S7_PT6_21rocsparse_index_base_b.has_dyn_sized_stack, 0
	.set _ZN9rocsparseL18bsrxmvn_4x4_kernelILj128ELj4E21rocsparse_complex_numIfEllS2_S2_S2_EEvT3_20rocsparse_direction_NS_24const_host_device_scalarIT1_EES3_PKS3_PKT2_SC_S9_PKT4_PKT5_S7_PT6_21rocsparse_index_base_b.has_recursion, 0
	.set _ZN9rocsparseL18bsrxmvn_4x4_kernelILj128ELj4E21rocsparse_complex_numIfEllS2_S2_S2_EEvT3_20rocsparse_direction_NS_24const_host_device_scalarIT1_EES3_PKS3_PKT2_SC_S9_PKT4_PKT5_S7_PT6_21rocsparse_index_base_b.has_indirect_call, 0
	.section	.AMDGPU.csdata,"",@progbits
; Kernel info:
; codeLenInByte = 6984
; TotalNumSgprs: 26
; NumVgprs: 106
; NumAgprs: 0
; TotalNumVgprs: 106
; ScratchSize: 0
; MemoryBound: 0
; FloatMode: 240
; IeeeMode: 1
; LDSByteSize: 0 bytes/workgroup (compile time only)
; SGPRBlocks: 3
; VGPRBlocks: 13
; NumSGPRsForWavesPerEU: 26
; NumVGPRsForWavesPerEU: 106
; AccumOffset: 108
; Occupancy: 4
; WaveLimiterHint : 1
; COMPUTE_PGM_RSRC2:SCRATCH_EN: 0
; COMPUTE_PGM_RSRC2:USER_SGPR: 2
; COMPUTE_PGM_RSRC2:TRAP_HANDLER: 0
; COMPUTE_PGM_RSRC2:TGID_X_EN: 1
; COMPUTE_PGM_RSRC2:TGID_Y_EN: 0
; COMPUTE_PGM_RSRC2:TGID_Z_EN: 0
; COMPUTE_PGM_RSRC2:TIDIG_COMP_CNT: 0
; COMPUTE_PGM_RSRC3_GFX90A:ACCUM_OFFSET: 26
; COMPUTE_PGM_RSRC3_GFX90A:TG_SPLIT: 0
	.section	.text._ZN9rocsparseL18bsrxmvn_4x4_kernelILj128ELj8E21rocsparse_complex_numIfEllS2_S2_S2_EEvT3_20rocsparse_direction_NS_24const_host_device_scalarIT1_EES3_PKS3_PKT2_SC_S9_PKT4_PKT5_S7_PT6_21rocsparse_index_base_b,"axG",@progbits,_ZN9rocsparseL18bsrxmvn_4x4_kernelILj128ELj8E21rocsparse_complex_numIfEllS2_S2_S2_EEvT3_20rocsparse_direction_NS_24const_host_device_scalarIT1_EES3_PKS3_PKT2_SC_S9_PKT4_PKT5_S7_PT6_21rocsparse_index_base_b,comdat
	.globl	_ZN9rocsparseL18bsrxmvn_4x4_kernelILj128ELj8E21rocsparse_complex_numIfEllS2_S2_S2_EEvT3_20rocsparse_direction_NS_24const_host_device_scalarIT1_EES3_PKS3_PKT2_SC_S9_PKT4_PKT5_S7_PT6_21rocsparse_index_base_b ; -- Begin function _ZN9rocsparseL18bsrxmvn_4x4_kernelILj128ELj8E21rocsparse_complex_numIfEllS2_S2_S2_EEvT3_20rocsparse_direction_NS_24const_host_device_scalarIT1_EES3_PKS3_PKT2_SC_S9_PKT4_PKT5_S7_PT6_21rocsparse_index_base_b
	.p2align	8
	.type	_ZN9rocsparseL18bsrxmvn_4x4_kernelILj128ELj8E21rocsparse_complex_numIfEllS2_S2_S2_EEvT3_20rocsparse_direction_NS_24const_host_device_scalarIT1_EES3_PKS3_PKT2_SC_S9_PKT4_PKT5_S7_PT6_21rocsparse_index_base_b,@function
_ZN9rocsparseL18bsrxmvn_4x4_kernelILj128ELj8E21rocsparse_complex_numIfEllS2_S2_S2_EEvT3_20rocsparse_direction_NS_24const_host_device_scalarIT1_EES3_PKS3_PKT2_SC_S9_PKT4_PKT5_S7_PT6_21rocsparse_index_base_b: ; @_ZN9rocsparseL18bsrxmvn_4x4_kernelILj128ELj8E21rocsparse_complex_numIfEllS2_S2_S2_EEvT3_20rocsparse_direction_NS_24const_host_device_scalarIT1_EES3_PKS3_PKT2_SC_S9_PKT4_PKT5_S7_PT6_21rocsparse_index_base_b
; %bb.0:
	s_load_dwordx4 s[8:11], s[0:1], 0x10
	s_load_dwordx2 s[12:13], s[0:1], 0x60
	s_add_u32 s3, s0, 16
	s_addc_u32 s6, s1, 0
	s_load_dwordx2 s[4:5], s[0:1], 0x50
	s_add_u32 s7, s0, 0x50
	s_addc_u32 s14, s1, 0
	s_waitcnt lgkmcnt(0)
	s_bitcmp1_b32 s13, 0
	s_cselect_b32 s3, s3, s8
	s_cselect_b32 s6, s6, s9
	v_mov_b32_e32 v2, s3
	s_cselect_b32 s3, s14, s5
	s_cselect_b32 s4, s7, s4
	v_mov_b32_e32 v3, s6
	v_mov_b32_e32 v4, s4
	;; [unrolled: 1-line block ×3, first 2 shown]
	flat_load_dwordx2 v[60:61], v[2:3]
	flat_load_dwordx2 v[62:63], v[4:5]
	s_waitcnt vmcnt(0) lgkmcnt(0)
	v_cmp_neq_f32_e32 vcc, 0, v60
	v_cmp_neq_f32_e64 s[4:5], 0, v61
	v_cmp_neq_f32_e64 s[8:9], 1.0, v62
	v_cmp_neq_f32_e64 s[6:7], 0, v63
	s_or_b64 s[4:5], vcc, s[4:5]
	s_or_b64 s[8:9], s[8:9], s[6:7]
	s_or_b64 s[4:5], s[4:5], s[8:9]
	s_and_saveexec_b64 s[8:9], s[4:5]
	s_cbranch_execz .LBB51_6
; %bb.1:
	s_load_dwordx2 s[4:5], s[0:1], 0x20
	v_lshrrev_b32_e32 v1, 3, v0
	v_lshl_or_b32 v2, s2, 4, v1
	v_mov_b32_e32 v3, 0
	s_mov_b64 s[2:3], 0
	s_waitcnt lgkmcnt(0)
	s_cmp_lg_u64 s[4:5], 0
	s_cbranch_scc0 .LBB51_7
; %bb.2:
	v_cmp_gt_i64_e32 vcc, s[10:11], v[2:3]
                                        ; implicit-def: $vgpr64_vgpr65
                                        ; implicit-def: $vgpr68_vgpr69
	s_and_saveexec_b64 s[8:9], vcc
	s_xor_b64 s[8:9], exec, s[8:9]
	s_cbranch_execz .LBB51_4
; %bb.3:
	v_lshl_add_u64 v[4:5], v[2:3], 3, s[4:5]
	global_load_dwordx2 v[4:5], v[4:5], off
	s_mov_b32 s13, 0
	s_mov_b64 s[2:3], exec
	v_mov_b64_e32 v[68:69], s[12:13]
	s_waitcnt vmcnt(0)
	v_subrev_co_u32_e32 v64, vcc, s12, v4
	s_nop 1
	v_subbrev_co_u32_e32 v65, vcc, 0, v5, vcc
.LBB51_4:
	s_or_b64 exec, exec, s[8:9]
.LBB51_5:
	s_and_b64 exec, exec, s[2:3]
	s_cbranch_execnz .LBB51_11
.LBB51_6:
	s_endpgm
.LBB51_7:
                                        ; implicit-def: $vgpr64_vgpr65
                                        ; implicit-def: $vgpr68_vgpr69
	s_cbranch_execz .LBB51_5
; %bb.8:
	s_load_dwordx2 s[4:5], s[0:1], 0x0
	s_waitcnt lgkmcnt(0)
	v_cmp_gt_i64_e32 vcc, s[4:5], v[2:3]
	s_and_saveexec_b64 s[4:5], vcc
; %bb.9:
	s_mov_b32 s13, 0
	s_or_b64 s[2:3], s[2:3], exec
; %bb.10:
	s_or_b64 exec, exec, s[4:5]
	v_mov_b64_e32 v[68:69], s[12:13]
	v_mov_b64_e32 v[64:65], v[2:3]
	s_and_b64 exec, exec, s[2:3]
	s_cbranch_execz .LBB51_6
.LBB51_11:
	s_load_dwordx8 s[8:15], s[0:1], 0x28
	v_lshlrev_b64 v[2:3], 3, v[64:65]
	v_and_b32_e32 v66, 7, v0
	v_mov_b32_e32 v67, 0
	s_waitcnt lgkmcnt(0)
	v_lshl_add_u64 v[4:5], s[8:9], 0, v[2:3]
	s_cmp_eq_u64 s[10:11], 0
	v_lshl_add_u64 v[2:3], s[10:11], 0, v[2:3]
	global_load_dwordx2 v[36:37], v[4:5], off
	v_lshl_add_u64 v[4:5], v[4:5], 0, 8
	s_cselect_b64 vcc, -1, 0
	v_cndmask_b32_e32 v3, v3, v5, vcc
	v_cndmask_b32_e32 v2, v2, v4, vcc
	global_load_dwordx2 v[2:3], v[2:3], off
	s_load_dword s4, s[0:1], 0x8
	s_load_dwordx2 s[2:3], s[0:1], 0x48
	s_waitcnt lgkmcnt(0)
	s_cmp_eq_u32 s4, 1
	s_waitcnt vmcnt(1)
	v_sub_co_u32_e32 v0, vcc, v36, v68
	s_nop 1
	v_subb_co_u32_e32 v1, vcc, v37, v69, vcc
	v_lshl_add_u64 v[70:71], v[0:1], 0, v[66:67]
	s_waitcnt vmcnt(0)
	v_sub_co_u32_e32 v72, vcc, v2, v68
	v_lshlrev_b64 v[0:1], 7, v[70:71]
	s_nop 0
	v_subb_co_u32_e32 v73, vcc, v3, v69, vcc
	v_lshl_add_u64 v[74:75], s[14:15], 0, v[0:1]
	v_cmp_lt_i64_e64 s[4:5], v[70:71], v[72:73]
	s_cbranch_scc1 .LBB51_23
; %bb.12:
	v_mov_b32_e32 v76, v67
	v_mov_b32_e32 v59, v67
	;; [unrolled: 1-line block ×7, first 2 shown]
	s_and_saveexec_b64 s[8:9], s[4:5]
	s_cbranch_execz .LBB51_22
; %bb.13:
	v_or_b32_e32 v0, 8, v66
	v_sub_co_u32_e32 v0, vcc, v0, v68
	v_not_b32_e32 v3, v37
	s_nop 0
	v_subb_co_u32_e32 v1, vcc, 0, v69, vcc
	v_lshl_add_u64 v[0:1], v[0:1], 0, v[36:37]
	v_cmp_gt_i64_e32 vcc, v[0:1], v[72:73]
	v_not_b32_e32 v2, v36
	v_mov_b32_e32 v57, 0
	v_cndmask_b32_e32 v1, v73, v1, vcc
	v_cndmask_b32_e32 v0, v72, v0, vcc
	v_sub_co_u32_e32 v4, vcc, v68, v66
	v_mov_b32_e32 v79, v57
	s_nop 0
	v_subbrev_co_u32_e32 v5, vcc, 0, v69, vcc
	v_lshl_add_u64 v[2:3], v[4:5], 0, v[2:3]
	v_lshl_add_u64 v[0:1], v[2:3], 0, v[0:1]
	v_and_b32_e32 v56, 24, v0
	v_cmp_ne_u64_e32 vcc, 24, v[56:57]
	v_mov_b32_e32 v56, v57
	v_mov_b32_e32 v78, v57
	;; [unrolled: 1-line block ×6, first 2 shown]
	v_mov_b64_e32 v[38:39], v[74:75]
	v_mov_b64_e32 v[40:41], v[70:71]
	s_and_saveexec_b64 s[10:11], vcc
	s_cbranch_execz .LBB51_17
; %bb.14:
	v_lshrrev_b32_e32 v2, 3, v0
	v_add_u32_e32 v2, 1, v2
	v_and_b32_e32 v4, 3, v2
	v_sub_co_u32_e32 v4, vcc, 0, v4
	v_mov_b32_e32 v56, 0
	s_nop 0
	v_subb_co_u32_e64 v5, s[16:17], 0, 0, vcc
	v_lshl_add_u64 v[2:3], v[70:71], 3, s[12:13]
	s_mov_b64 s[14:15], 0
	s_mov_b64 s[16:17], 0x400
	v_mov_b64_e32 v[40:41], v[70:71]
	v_mov_b64_e32 v[38:39], v[74:75]
	v_mov_b32_e32 v57, v56
	v_mov_b32_e32 v78, v56
	;; [unrolled: 1-line block ×7, first 2 shown]
.LBB51_15:                              ; =>This Inner Loop Header: Depth=1
	global_load_dwordx2 v[34:35], v[2:3], off
	global_load_dwordx4 v[6:9], v[38:39], off
	global_load_dwordx4 v[10:13], v[38:39], off offset:16
	global_load_dwordx4 v[14:17], v[38:39], off offset:32
	;; [unrolled: 1-line block ×7, first 2 shown]
	v_lshl_add_u64 v[4:5], v[4:5], 0, 1
	v_lshl_add_u64 v[38:39], v[38:39], 0, s[16:17]
	;; [unrolled: 1-line block ×4, first 2 shown]
	s_waitcnt vmcnt(8)
	v_sub_co_u32_e32 v34, vcc, v34, v68
	s_nop 1
	v_subb_co_u32_e32 v35, vcc, v35, v69, vcc
	v_lshlrev_b64 v[34:35], 5, v[34:35]
	v_lshl_add_u64 v[34:35], s[2:3], 0, v[34:35]
	global_load_dwordx4 v[46:49], v[34:35], off
	global_load_dwordx4 v[50:53], v[34:35], off offset:16
	s_waitcnt vmcnt(9)
	v_xor_b32_e32 v34, 0x80000000, v9
	v_mov_b32_e32 v35, v8
	s_waitcnt vmcnt(7)
	v_xor_b32_e32 v80, 0x80000000, v17
	v_mov_b32_e32 v81, v16
	;; [unrolled: 3-line block ×4, first 2 shown]
	v_cmp_eq_u64_e32 vcc, 0, v[4:5]
	v_xor_b32_e32 v54, 0x80000000, v13
	v_mov_b32_e32 v55, v12
	v_xor_b32_e32 v82, 0x80000000, v21
	v_mov_b32_e32 v83, v20
	;; [unrolled: 2-line block ×4, first 2 shown]
	s_or_b64 s[14:15], vcc, s[14:15]
	s_waitcnt vmcnt(1)
	v_pk_fma_f32 v[76:77], v[6:7], v[46:47], v[76:77] op_sel_hi:[1,0,1]
	v_pk_fma_f32 v[56:57], v[14:15], v[46:47], v[56:57] op_sel_hi:[1,0,1]
	;; [unrolled: 1-line block ×4, first 2 shown]
	v_pk_fma_f32 v[6:7], v[6:7], v[46:47], v[76:77] op_sel:[1,1,0] op_sel_hi:[0,1,1] neg_lo:[1,0,0]
	v_pk_fma_f32 v[14:15], v[14:15], v[46:47], v[56:57] op_sel:[1,1,0] op_sel_hi:[0,1,1] neg_lo:[1,0,0]
	;; [unrolled: 1-line block ×4, first 2 shown]
	v_mov_b32_e32 v92, v49
	v_pk_fma_f32 v[6:7], v[8:9], v[48:49], v[6:7] op_sel_hi:[1,0,1]
	v_pk_fma_f32 v[8:9], v[16:17], v[48:49], v[14:15] op_sel_hi:[1,0,1]
	;; [unrolled: 1-line block ×8, first 2 shown]
	s_waitcnt vmcnt(0)
	v_pk_fma_f32 v[6:7], v[10:11], v[50:51], v[6:7] op_sel_hi:[1,0,1]
	v_pk_fma_f32 v[8:9], v[18:19], v[50:51], v[8:9] op_sel_hi:[1,0,1]
	;; [unrolled: 1-line block ×4, first 2 shown]
	v_pk_fma_f32 v[6:7], v[10:11], v[50:51], v[6:7] op_sel:[1,1,0] op_sel_hi:[0,1,1] neg_lo:[1,0,0]
	v_pk_fma_f32 v[8:9], v[18:19], v[50:51], v[8:9] op_sel:[1,1,0] op_sel_hi:[0,1,1] neg_lo:[1,0,0]
	;; [unrolled: 1-line block ×4, first 2 shown]
	v_mov_b32_e32 v94, v53
	v_pk_fma_f32 v[6:7], v[12:13], v[52:53], v[6:7] op_sel_hi:[1,0,1]
	v_pk_fma_f32 v[8:9], v[20:21], v[52:53], v[8:9] op_sel_hi:[1,0,1]
	;; [unrolled: 1-line block ×8, first 2 shown]
	s_andn2_b64 exec, exec, s[14:15]
	s_cbranch_execnz .LBB51_15
; %bb.16:
	s_or_b64 exec, exec, s[14:15]
.LBB51_17:
	s_or_b64 exec, exec, s[10:11]
	v_cmp_lt_u64_e32 vcc, 23, v[0:1]
	s_and_saveexec_b64 s[10:11], vcc
	s_cbranch_execz .LBB51_21
; %bb.18:
	v_lshl_add_u64 v[0:1], v[40:41], 3, s[12:13]
	s_mov_b64 s[14:15], 0x80
	v_lshl_add_u64 v[42:43], v[0:1], 0, s[14:15]
	s_mov_b64 s[14:15], 0
	s_mov_b64 s[16:17], 0x100
	;; [unrolled: 1-line block ×3, first 2 shown]
.LBB51_19:                              ; =>This Inner Loop Header: Depth=1
	global_load_dwordx2 v[0:1], v[42:43], off offset:-128
	v_lshl_add_u64 v[40:41], v[40:41], 0, 32
	s_waitcnt vmcnt(0)
	v_sub_co_u32_e32 v0, vcc, v0, v68
	s_nop 1
	v_subb_co_u32_e32 v1, vcc, v1, v69, vcc
	v_lshlrev_b64 v[0:1], 5, v[0:1]
	v_lshl_add_u64 v[4:5], s[2:3], 0, v[0:1]
	global_load_dwordx4 v[0:3], v[4:5], off offset:16
	global_load_dwordx4 v[16:19], v[4:5], off
	global_load_dwordx2 v[6:7], v[42:43], off offset:-64
	s_waitcnt vmcnt(2)
	v_mov_b32_e32 v84, v3
	s_waitcnt vmcnt(1)
	v_mov_b32_e32 v34, v19
	s_waitcnt vmcnt(0)
	v_sub_co_u32_e32 v4, vcc, v6, v68
	s_nop 1
	v_subb_co_u32_e32 v5, vcc, v7, v69, vcc
	v_lshlrev_b64 v[4:5], 5, v[4:5]
	v_lshl_add_u64 v[28:29], s[2:3], 0, v[4:5]
	global_load_dwordx4 v[4:7], v[28:29], off offset:16
	global_load_dwordx4 v[8:11], v[28:29], off
	global_load_dwordx4 v[20:23], v[38:39], off offset:48
	global_load_dwordx4 v[30:33], v[38:39], off offset:32
	;; [unrolled: 1-line block ×3, first 2 shown]
	global_load_dwordx4 v[24:27], v[38:39], off
	s_waitcnt vmcnt(0)
	v_pk_fma_f32 v[28:29], v[24:25], v[16:17], v[76:77] op_sel_hi:[1,0,1]
	s_nop 0
	v_pk_fma_f32 v[24:25], v[24:25], v[16:17], v[28:29] op_sel:[1,1,0] op_sel_hi:[0,1,1] neg_lo:[1,0,0]
	v_xor_b32_e32 v28, 0x80000000, v27
	v_pk_fma_f32 v[24:25], v[26:27], v[18:19], v[24:25] op_sel_hi:[1,0,1]
	v_mov_b32_e32 v29, v26
	v_pk_fma_f32 v[24:25], v[28:29], v[34:35], v[24:25] op_sel_hi:[1,0,1]
	s_nop 0
	v_pk_fma_f32 v[24:25], v[12:13], v[0:1], v[24:25] op_sel_hi:[1,0,1]
	s_nop 0
	v_pk_fma_f32 v[12:13], v[12:13], v[0:1], v[24:25] op_sel:[1,1,0] op_sel_hi:[0,1,1] neg_lo:[1,0,0]
	v_xor_b32_e32 v24, 0x80000000, v15
	v_pk_fma_f32 v[12:13], v[14:15], v[2:3], v[12:13] op_sel_hi:[1,0,1]
	v_mov_b32_e32 v25, v14
	v_pk_fma_f32 v[24:25], v[24:25], v[84:85], v[12:13] op_sel_hi:[1,0,1]
	global_load_dwordx4 v[12:15], v[38:39], off offset:1072
	global_load_dwordx4 v[26:29], v[38:39], off offset:1056
	;; [unrolled: 1-line block ×4, first 2 shown]
	s_waitcnt vmcnt(0)
	v_pk_fma_f32 v[24:25], v[48:49], v[8:9], v[24:25] op_sel_hi:[1,0,1]
	s_nop 0
	v_pk_fma_f32 v[48:49], v[48:49], v[8:9], v[24:25] op_sel:[1,1,0] op_sel_hi:[0,1,1] neg_lo:[1,0,0]
	v_pk_fma_f32 v[24:25], v[30:31], v[16:17], v[56:57] op_sel_hi:[1,0,1]
	s_nop 0
	v_pk_fma_f32 v[24:25], v[30:31], v[16:17], v[24:25] op_sel:[1,1,0] op_sel_hi:[0,1,1] neg_lo:[1,0,0]
	v_xor_b32_e32 v30, 0x80000000, v33
	v_pk_fma_f32 v[24:25], v[32:33], v[18:19], v[24:25] op_sel_hi:[1,0,1]
	v_mov_b32_e32 v31, v32
	v_pk_fma_f32 v[24:25], v[30:31], v[34:35], v[24:25] op_sel_hi:[1,0,1]
	s_nop 0
	v_pk_fma_f32 v[24:25], v[20:21], v[0:1], v[24:25] op_sel_hi:[1,0,1]
	s_nop 0
	v_pk_fma_f32 v[20:21], v[20:21], v[0:1], v[24:25] op_sel:[1,1,0] op_sel_hi:[0,1,1] neg_lo:[1,0,0]
	v_xor_b32_e32 v24, 0x80000000, v23
	v_pk_fma_f32 v[20:21], v[22:23], v[2:3], v[20:21] op_sel_hi:[1,0,1]
	v_mov_b32_e32 v25, v22
	v_pk_fma_f32 v[20:21], v[24:25], v[84:85], v[20:21] op_sel_hi:[1,0,1]
	s_nop 0
	v_pk_fma_f32 v[20:21], v[26:27], v[8:9], v[20:21] op_sel_hi:[1,0,1]
	s_nop 0
	v_pk_fma_f32 v[56:57], v[26:27], v[8:9], v[20:21] op_sel:[1,1,0] op_sel_hi:[0,1,1] neg_lo:[1,0,0]
	global_load_dwordx4 v[30:33], v[38:39], off offset:112
	global_load_dwordx4 v[52:55], v[38:39], off offset:96
	;; [unrolled: 1-line block ×4, first 2 shown]
	s_waitcnt vmcnt(2)
	v_pk_fma_f32 v[58:59], v[52:53], v[16:17], v[58:59] op_sel_hi:[1,0,1]
	s_waitcnt vmcnt(0)
	v_pk_fma_f32 v[76:77], v[24:25], v[16:17], v[78:79] op_sel_hi:[1,0,1]
	s_nop 0
	v_pk_fma_f32 v[24:25], v[24:25], v[16:17], v[76:77] op_sel:[1,1,0] op_sel_hi:[0,1,1] neg_lo:[1,0,0]
	v_xor_b32_e32 v76, 0x80000000, v27
	v_pk_fma_f32 v[24:25], v[26:27], v[18:19], v[24:25] op_sel_hi:[1,0,1]
	v_mov_b32_e32 v77, v26
	v_pk_fma_f32 v[24:25], v[76:77], v[34:35], v[24:25] op_sel_hi:[1,0,1]
	v_pk_fma_f32 v[16:17], v[52:53], v[16:17], v[58:59] op_sel:[1,1,0] op_sel_hi:[0,1,1] neg_lo:[1,0,0]
	v_pk_fma_f32 v[24:25], v[20:21], v[0:1], v[24:25] op_sel_hi:[1,0,1]
	v_xor_b32_e32 v52, 0x80000000, v55
	v_pk_fma_f32 v[20:21], v[20:21], v[0:1], v[24:25] op_sel:[1,1,0] op_sel_hi:[0,1,1] neg_lo:[1,0,0]
	v_xor_b32_e32 v24, 0x80000000, v23
	v_pk_fma_f32 v[20:21], v[22:23], v[2:3], v[20:21] op_sel_hi:[1,0,1]
	v_mov_b32_e32 v25, v22
	v_pk_fma_f32 v[86:87], v[24:25], v[84:85], v[20:21] op_sel_hi:[1,0,1]
	global_load_dwordx4 v[20:23], v[38:39], off offset:1136
	global_load_dwordx4 v[24:27], v[38:39], off offset:1120
	;; [unrolled: 1-line block ×4, first 2 shown]
	v_pk_fma_f32 v[16:17], v[54:55], v[18:19], v[16:17] op_sel_hi:[1,0,1]
	v_mov_b32_e32 v53, v54
	v_pk_fma_f32 v[16:17], v[52:53], v[34:35], v[16:17] op_sel_hi:[1,0,1]
	v_pk_fma_f32 v[18:19], v[50:51], v[10:11], v[48:49] op_sel_hi:[1,0,1]
	;; [unrolled: 1-line block ×3, first 2 shown]
	s_waitcnt vmcnt(0)
	v_pk_fma_f32 v[86:87], v[80:81], v[8:9], v[86:87] op_sel_hi:[1,0,1]
	v_pk_fma_f32 v[0:1], v[30:31], v[0:1], v[16:17] op_sel:[1,1,0] op_sel_hi:[0,1,1] neg_lo:[1,0,0]
	v_xor_b32_e32 v16, 0x80000000, v33
	v_pk_fma_f32 v[0:1], v[32:33], v[2:3], v[0:1] op_sel_hi:[1,0,1]
	v_mov_b32_e32 v17, v32
	v_pk_fma_f32 v[0:1], v[16:17], v[84:85], v[0:1] op_sel_hi:[1,0,1]
	v_pk_fma_f32 v[80:81], v[80:81], v[8:9], v[86:87] op_sel:[1,1,0] op_sel_hi:[0,1,1] neg_lo:[1,0,0]
	v_pk_fma_f32 v[0:1], v[24:25], v[8:9], v[0:1] op_sel_hi:[1,0,1]
	v_mov_b32_e32 v84, v11
	v_pk_fma_f32 v[8:9], v[24:25], v[8:9], v[0:1] op_sel:[1,1,0] op_sel_hi:[0,1,1] neg_lo:[1,0,0]
	global_load_dwordx2 v[0:1], v[42:43], off
	v_mov_b32_e32 v86, v7
	v_pk_fma_f32 v[8:9], v[26:27], v[10:11], v[8:9] op_sel_hi:[1,0,1]
	s_waitcnt vmcnt(0)
	v_sub_co_u32_e32 v0, vcc, v0, v68
	s_nop 1
	v_subb_co_u32_e32 v1, vcc, v1, v69, vcc
	v_lshlrev_b64 v[0:1], 5, v[0:1]
	v_lshl_add_u64 v[16:17], s[2:3], 0, v[0:1]
	global_load_dwordx4 v[0:3], v[16:17], off offset:16
	global_load_dwordx4 v[32:35], v[16:17], off
	v_xor_b32_e32 v16, 0x80000000, v51
	v_mov_b32_e32 v17, v50
	v_pk_fma_f32 v[16:17], v[16:17], v[84:85], v[18:19] op_sel_hi:[1,0,1]
	v_xor_b32_e32 v18, 0x80000000, v47
	v_pk_fma_f32 v[16:17], v[44:45], v[4:5], v[16:17] op_sel_hi:[1,0,1]
	v_mov_b32_e32 v19, v46
	v_pk_fma_f32 v[16:17], v[44:45], v[4:5], v[16:17] op_sel:[1,1,0] op_sel_hi:[0,1,1] neg_lo:[1,0,0]
	v_pk_fma_f32 v[16:17], v[46:47], v[6:7], v[16:17] op_sel_hi:[1,0,1]
	s_waitcnt vmcnt(0)
	v_mov_b32_e32 v88, v35
	v_pk_fma_f32 v[24:25], v[18:19], v[86:87], v[16:17] op_sel_hi:[1,0,1]
	global_load_dwordx4 v[16:19], v[38:39], off offset:2096
	global_load_dwordx4 v[44:47], v[38:39], off offset:2080
	;; [unrolled: 1-line block ×4, first 2 shown]
	s_waitcnt vmcnt(1)
	v_xor_b32_e32 v90, 0x80000000, v49
	s_waitcnt vmcnt(0)
	v_pk_fma_f32 v[24:25], v[52:53], v[32:33], v[24:25] op_sel_hi:[1,0,1]
	v_xor_b32_e32 v30, 0x80000000, v55
	v_pk_fma_f32 v[24:25], v[52:53], v[32:33], v[24:25] op_sel:[1,1,0] op_sel_hi:[0,1,1] neg_lo:[1,0,0]
	v_pk_fma_f32 v[24:25], v[54:55], v[34:35], v[24:25] op_sel_hi:[1,0,1]
	v_mov_b32_e32 v31, v54
	v_pk_fma_f32 v[24:25], v[30:31], v[88:89], v[24:25] op_sel_hi:[1,0,1]
	v_pk_fma_f32 v[30:31], v[28:29], v[10:11], v[56:57] op_sel_hi:[1,0,1]
	v_pk_fma_f32 v[92:93], v[48:49], v[0:1], v[24:25] op_sel_hi:[1,0,1]
	v_xor_b32_e32 v24, 0x80000000, v29
	v_mov_b32_e32 v25, v28
	v_pk_fma_f32 v[24:25], v[24:25], v[84:85], v[30:31] op_sel_hi:[1,0,1]
	v_mov_b32_e32 v91, v48
	v_pk_fma_f32 v[24:25], v[12:13], v[4:5], v[24:25] op_sel_hi:[1,0,1]
	s_nop 0
	v_pk_fma_f32 v[12:13], v[12:13], v[4:5], v[24:25] op_sel:[1,1,0] op_sel_hi:[0,1,1] neg_lo:[1,0,0]
	v_xor_b32_e32 v24, 0x80000000, v15
	v_pk_fma_f32 v[12:13], v[14:15], v[6:7], v[12:13] op_sel_hi:[1,0,1]
	v_mov_b32_e32 v25, v14
	v_pk_fma_f32 v[12:13], v[24:25], v[86:87], v[12:13] op_sel_hi:[1,0,1]
	v_xor_b32_e32 v14, 0x80000000, v47
	v_pk_fma_f32 v[12:13], v[44:45], v[32:33], v[12:13] op_sel_hi:[1,0,1]
	v_mov_b32_e32 v15, v46
	v_pk_fma_f32 v[12:13], v[44:45], v[32:33], v[12:13] op_sel:[1,1,0] op_sel_hi:[0,1,1] neg_lo:[1,0,0]
	v_pk_fma_f32 v[12:13], v[46:47], v[34:35], v[12:13] op_sel_hi:[1,0,1]
	v_xor_b32_e32 v24, 0x80000000, v17
	v_pk_fma_f32 v[12:13], v[14:15], v[88:89], v[12:13] op_sel_hi:[1,0,1]
	v_pk_fma_f32 v[14:15], v[82:83], v[10:11], v[80:81] op_sel_hi:[1,0,1]
	;; [unrolled: 1-line block ×3, first 2 shown]
	v_xor_b32_e32 v12, 0x80000000, v83
	v_mov_b32_e32 v13, v82
	v_pk_fma_f32 v[12:13], v[12:13], v[84:85], v[14:15] op_sel_hi:[1,0,1]
	v_xor_b32_e32 v14, 0x80000000, v79
	v_pk_fma_f32 v[12:13], v[76:77], v[4:5], v[12:13] op_sel_hi:[1,0,1]
	v_mov_b32_e32 v15, v78
	v_pk_fma_f32 v[12:13], v[76:77], v[4:5], v[12:13] op_sel:[1,1,0] op_sel_hi:[0,1,1] neg_lo:[1,0,0]
	v_pk_fma_f32 v[12:13], v[78:79], v[6:7], v[12:13] op_sel_hi:[1,0,1]
	v_mov_b32_e32 v25, v16
	v_pk_fma_f32 v[46:47], v[14:15], v[86:87], v[12:13] op_sel_hi:[1,0,1]
	global_load_dwordx4 v[12:15], v[38:39], off offset:2160
	global_load_dwordx4 v[52:55], v[38:39], off offset:2144
	global_load_dwordx4 v[28:31], v[38:39], off offset:2128
	global_load_dwordx4 v[56:59], v[38:39], off offset:2112
	v_pk_fma_f32 v[16:17], v[24:25], v[0:1], v[44:45] op_sel:[0,1,0]
	v_xor_b32_e32 v24, 0x80000000, v19
	v_pk_fma_f32 v[16:17], v[18:19], v[2:3], v[16:17] op_sel_hi:[1,0,1]
	v_mov_b32_e32 v25, v18
	s_waitcnt vmcnt(0)
	v_pk_fma_f32 v[46:47], v[56:57], v[32:33], v[46:47] op_sel_hi:[1,0,1]
	s_nop 0
	v_pk_fma_f32 v[46:47], v[56:57], v[32:33], v[46:47] op_sel:[1,1,0] op_sel_hi:[0,1,1] neg_lo:[1,0,0]
	v_xor_b32_e32 v56, 0x80000000, v59
	v_pk_fma_f32 v[46:47], v[58:59], v[34:35], v[46:47] op_sel_hi:[1,0,1]
	v_mov_b32_e32 v57, v58
	v_pk_fma_f32 v[46:47], v[56:57], v[88:89], v[46:47] op_sel_hi:[1,0,1]
	v_xor_b32_e32 v58, 0x80000000, v29
	v_pk_fma_f32 v[78:79], v[28:29], v[0:1], v[46:47] op_sel_hi:[1,0,1]
	v_xor_b32_e32 v46, 0x80000000, v27
	v_mov_b32_e32 v47, v26
	v_pk_fma_f32 v[8:9], v[46:47], v[84:85], v[8:9] op_sel_hi:[1,0,1]
	v_mov_b32_e32 v59, v28
	v_pk_fma_f32 v[8:9], v[20:21], v[4:5], v[8:9] op_sel_hi:[1,0,1]
	s_nop 0
	v_pk_fma_f32 v[4:5], v[20:21], v[4:5], v[8:9] op_sel:[1,1,0] op_sel_hi:[0,1,1] neg_lo:[1,0,0]
	v_xor_b32_e32 v8, 0x80000000, v23
	v_pk_fma_f32 v[4:5], v[22:23], v[6:7], v[4:5] op_sel_hi:[1,0,1]
	v_mov_b32_e32 v9, v22
	v_pk_fma_f32 v[4:5], v[8:9], v[86:87], v[4:5] op_sel_hi:[1,0,1]
	v_xor_b32_e32 v6, 0x80000000, v55
	v_pk_fma_f32 v[4:5], v[52:53], v[32:33], v[4:5] op_sel_hi:[1,0,1]
	v_mov_b32_e32 v7, v54
	v_pk_fma_f32 v[4:5], v[52:53], v[32:33], v[4:5] op_sel:[1,1,0] op_sel_hi:[0,1,1] neg_lo:[1,0,0]
	v_pk_fma_f32 v[4:5], v[54:55], v[34:35], v[4:5] op_sel_hi:[1,0,1]
	v_xor_b32_e32 v32, 0x80000000, v51
	v_pk_fma_f32 v[4:5], v[6:7], v[88:89], v[4:5] op_sel_hi:[1,0,1]
	v_mov_b32_e32 v33, v50
	v_pk_fma_f32 v[22:23], v[12:13], v[0:1], v[4:5] op_sel_hi:[1,0,1]
	global_load_dwordx2 v[4:5], v[42:43], off offset:64
	v_xor_b32_e32 v20, 0x80000000, v13
	v_mov_b32_e32 v21, v12
	v_xor_b32_e32 v12, 0x80000000, v15
	v_mov_b32_e32 v13, v14
	v_lshl_add_u64 v[42:43], v[42:43], 0, s[16:17]
	s_waitcnt vmcnt(0)
	v_sub_co_u32_e32 v4, vcc, v4, v68
	s_nop 1
	v_subb_co_u32_e32 v5, vcc, v5, v69, vcc
	v_lshlrev_b64 v[4:5], 5, v[4:5]
	v_lshl_add_u64 v[26:27], s[2:3], 0, v[4:5]
	global_load_dwordx4 v[4:7], v[26:27], off offset:16
	global_load_dwordx4 v[8:11], v[26:27], off
	v_pk_fma_f32 v[26:27], v[90:91], v[0:1], v[92:93] op_sel:[0,1,0]
	v_cmp_ge_i64_e32 vcc, v[40:41], v[72:73]
	v_pk_fma_f32 v[34:35], v[50:51], v[2:3], v[26:27] op_sel_hi:[1,0,1]
	v_mov_b32_e32 v26, v3
	v_pk_fma_f32 v[76:77], v[32:33], v[26:27], v[34:35] op_sel_hi:[1,0,1]
	global_load_dwordx4 v[32:35], v[38:39], off offset:3120
	global_load_dwordx4 v[46:49], v[38:39], off offset:3104
	;; [unrolled: 1-line block ×4, first 2 shown]
	v_pk_fma_f32 v[16:17], v[24:25], v[26:27], v[16:17] op_sel_hi:[1,0,1]
	s_or_b64 s[14:15], vcc, s[14:15]
	s_waitcnt vmcnt(4)
	v_mov_b32_e32 v80, v11
	s_waitcnt vmcnt(2)
	v_pk_fma_f32 v[16:17], v[46:47], v[8:9], v[16:17] op_sel_hi:[1,0,1]
	s_nop 0
	v_pk_fma_f32 v[16:17], v[46:47], v[8:9], v[16:17] op_sel:[1,1,0] op_sel_hi:[0,1,1] neg_lo:[1,0,0]
	s_waitcnt vmcnt(0)
	v_pk_fma_f32 v[76:77], v[54:55], v[8:9], v[76:77] op_sel_hi:[1,0,1]
	v_xor_b32_e32 v18, 0x80000000, v49
	v_pk_fma_f32 v[54:55], v[54:55], v[8:9], v[76:77] op_sel:[1,1,0] op_sel_hi:[0,1,1] neg_lo:[1,0,0]
	v_xor_b32_e32 v76, 0x80000000, v57
	v_pk_fma_f32 v[54:55], v[56:57], v[10:11], v[54:55] op_sel_hi:[1,0,1]
	v_mov_b32_e32 v77, v56
	v_pk_fma_f32 v[16:17], v[48:49], v[10:11], v[16:17] op_sel_hi:[1,0,1]
	v_mov_b32_e32 v19, v48
	v_pk_fma_f32 v[54:55], v[76:77], v[80:81], v[54:55] op_sel_hi:[1,0,1]
	v_pk_fma_f32 v[16:17], v[18:19], v[80:81], v[16:17] op_sel_hi:[1,0,1]
	;; [unrolled: 1-line block ×4, first 2 shown]
	v_pk_fma_f32 v[50:51], v[50:51], v[4:5], v[54:55] op_sel:[1,1,0] op_sel_hi:[0,1,1] neg_lo:[1,0,0]
	v_pk_fma_f32 v[16:17], v[32:33], v[4:5], v[16:17] op_sel:[1,1,0] op_sel_hi:[0,1,1] neg_lo:[1,0,0]
	v_pk_fma_f32 v[50:51], v[52:53], v[6:7], v[50:51] op_sel_hi:[1,0,1]
	v_mov_b32_e32 v55, v52
	v_mov_b32_e32 v52, v7
	v_xor_b32_e32 v18, 0x80000000, v35
	v_pk_fma_f32 v[16:17], v[34:35], v[6:7], v[16:17] op_sel_hi:[1,0,1]
	v_mov_b32_e32 v19, v34
	v_pk_fma_f32 v[56:57], v[18:19], v[52:53], v[16:17] op_sel_hi:[1,0,1]
	v_pk_fma_f32 v[16:17], v[58:59], v[0:1], v[78:79] op_sel:[0,1,0]
	v_xor_b32_e32 v18, 0x80000000, v31
	v_pk_fma_f32 v[16:17], v[30:31], v[2:3], v[16:17] op_sel_hi:[1,0,1]
	v_mov_b32_e32 v19, v30
	v_pk_fma_f32 v[24:25], v[18:19], v[26:27], v[16:17] op_sel_hi:[1,0,1]
	global_load_dwordx4 v[16:19], v[38:39], off offset:3184
	global_load_dwordx4 v[28:31], v[38:39], off offset:3168
	;; [unrolled: 1-line block ×4, first 2 shown]
	v_pk_fma_f32 v[0:1], v[20:21], v[0:1], v[22:23] op_sel:[0,1,0]
	v_xor_b32_e32 v54, 0x80000000, v53
	v_pk_fma_f32 v[0:1], v[14:15], v[2:3], v[0:1] op_sel_hi:[1,0,1]
	v_pk_fma_f32 v[76:77], v[54:55], v[52:53], v[50:51] op_sel_hi:[1,0,1]
	;; [unrolled: 1-line block ×3, first 2 shown]
	v_lshl_add_u64 v[38:39], v[38:39], 0, s[18:19]
	s_waitcnt vmcnt(2)
	v_pk_fma_f32 v[0:1], v[28:29], v[8:9], v[0:1] op_sel_hi:[1,0,1]
	s_nop 0
	v_pk_fma_f32 v[0:1], v[28:29], v[8:9], v[0:1] op_sel:[1,1,0] op_sel_hi:[0,1,1] neg_lo:[1,0,0]
	s_waitcnt vmcnt(0)
	v_pk_fma_f32 v[24:25], v[44:45], v[8:9], v[24:25] op_sel_hi:[1,0,1]
	v_xor_b32_e32 v2, 0x80000000, v31
	v_pk_fma_f32 v[24:25], v[44:45], v[8:9], v[24:25] op_sel:[1,1,0] op_sel_hi:[0,1,1] neg_lo:[1,0,0]
	v_xor_b32_e32 v44, 0x80000000, v47
	v_pk_fma_f32 v[24:25], v[46:47], v[10:11], v[24:25] op_sel_hi:[1,0,1]
	v_mov_b32_e32 v45, v46
	v_pk_fma_f32 v[0:1], v[30:31], v[10:11], v[0:1] op_sel_hi:[1,0,1]
	v_mov_b32_e32 v3, v30
	v_pk_fma_f32 v[24:25], v[44:45], v[80:81], v[24:25] op_sel_hi:[1,0,1]
	v_pk_fma_f32 v[0:1], v[2:3], v[80:81], v[0:1] op_sel_hi:[1,0,1]
	;; [unrolled: 1-line block ×4, first 2 shown]
	v_pk_fma_f32 v[24:25], v[32:33], v[4:5], v[24:25] op_sel:[1,1,0] op_sel_hi:[0,1,1] neg_lo:[1,0,0]
	v_pk_fma_f32 v[0:1], v[16:17], v[4:5], v[0:1] op_sel:[1,1,0] op_sel_hi:[0,1,1] neg_lo:[1,0,0]
	v_xor_b32_e32 v32, 0x80000000, v35
	v_pk_fma_f32 v[24:25], v[34:35], v[6:7], v[24:25] op_sel_hi:[1,0,1]
	v_mov_b32_e32 v33, v34
	v_xor_b32_e32 v2, 0x80000000, v19
	v_pk_fma_f32 v[0:1], v[18:19], v[6:7], v[0:1] op_sel_hi:[1,0,1]
	v_mov_b32_e32 v3, v18
	v_pk_fma_f32 v[78:79], v[32:33], v[52:53], v[24:25] op_sel_hi:[1,0,1]
	v_pk_fma_f32 v[58:59], v[2:3], v[52:53], v[0:1] op_sel_hi:[1,0,1]
	s_andn2_b64 exec, exec, s[14:15]
	s_cbranch_execnz .LBB51_19
; %bb.20:
	s_or_b64 exec, exec, s[14:15]
.LBB51_21:
	s_or_b64 exec, exec, s[10:11]
	v_mov_b32_e32 v67, v77
.LBB51_22:
	s_or_b64 exec, exec, s[8:9]
	s_cbranch_execz .LBB51_24
	s_branch .LBB51_35
.LBB51_23:
                                        ; implicit-def: $vgpr76
                                        ; implicit-def: $vgpr59
                                        ; implicit-def: $vgpr79
                                        ; implicit-def: $vgpr57
.LBB51_24:
	v_mov_b32_e32 v67, 0
	v_mov_b32_e32 v76, 0
	;; [unrolled: 1-line block ×8, first 2 shown]
	s_and_saveexec_b64 s[8:9], s[4:5]
	s_cbranch_execz .LBB51_34
; %bb.25:
	v_or_b32_e32 v0, 8, v66
	v_sub_co_u32_e32 v0, vcc, v0, v68
	v_not_b32_e32 v3, v37
	s_nop 0
	v_subb_co_u32_e32 v1, vcc, 0, v69, vcc
	v_lshl_add_u64 v[0:1], v[0:1], 0, v[36:37]
	v_cmp_gt_i64_e32 vcc, v[0:1], v[72:73]
	v_not_b32_e32 v2, v36
	v_mov_b32_e32 v57, 0
	v_cndmask_b32_e32 v1, v73, v1, vcc
	v_cndmask_b32_e32 v0, v72, v0, vcc
	v_sub_co_u32_e32 v4, vcc, v68, v66
	v_mov_b32_e32 v79, v57
	s_nop 0
	v_subbrev_co_u32_e32 v5, vcc, 0, v69, vcc
	v_lshl_add_u64 v[2:3], v[4:5], 0, v[2:3]
	v_lshl_add_u64 v[0:1], v[2:3], 0, v[0:1]
	v_and_b32_e32 v56, 24, v0
	v_cmp_ne_u64_e32 vcc, 24, v[56:57]
	v_mov_b32_e32 v56, v57
	v_mov_b32_e32 v78, v57
	;; [unrolled: 1-line block ×6, first 2 shown]
	s_and_saveexec_b64 s[4:5], vcc
	s_cbranch_execz .LBB51_29
; %bb.26:
	v_lshrrev_b32_e32 v2, 3, v0
	v_add_u32_e32 v2, 1, v2
	v_and_b32_e32 v4, 3, v2
	v_sub_co_u32_e32 v4, vcc, 0, v4
	v_mov_b32_e32 v56, 0
	s_nop 0
	v_subb_co_u32_e64 v5, s[14:15], 0, 0, vcc
	v_lshl_add_u64 v[2:3], v[70:71], 3, s[12:13]
	s_mov_b64 s[10:11], 0
	s_mov_b64 s[14:15], 0x400
	v_mov_b32_e32 v57, v56
	v_mov_b32_e32 v78, v56
	;; [unrolled: 1-line block ×7, first 2 shown]
.LBB51_27:                              ; =>This Inner Loop Header: Depth=1
	global_load_dwordx2 v[34:35], v[2:3], off
	global_load_dwordx4 v[6:9], v[74:75], off offset:16
	global_load_dwordx4 v[10:13], v[74:75], off
	global_load_dwordx4 v[14:17], v[74:75], off offset:48
	global_load_dwordx4 v[18:21], v[74:75], off offset:32
	;; [unrolled: 1-line block ×5, first 2 shown]
	v_lshl_add_u64 v[4:5], v[4:5], 0, 1
	v_lshl_add_u64 v[70:71], v[70:71], 0, 8
	;; [unrolled: 1-line block ×3, first 2 shown]
	s_waitcnt vmcnt(7)
	v_sub_co_u32_e32 v34, vcc, v34, v68
	s_nop 1
	v_subb_co_u32_e32 v35, vcc, v35, v69, vcc
	v_lshlrev_b64 v[34:35], 5, v[34:35]
	v_lshl_add_u64 v[46:47], s[2:3], 0, v[34:35]
	global_load_dwordx4 v[34:37], v[46:47], off offset:16
	global_load_dwordx4 v[38:41], v[46:47], off
	global_load_dwordx4 v[42:45], v[74:75], off offset:112
	s_waitcnt vmcnt(8)
	v_xor_b32_e32 v46, 0x80000000, v13
	v_mov_b32_e32 v47, v12
	v_xor_b32_e32 v54, 0x80000000, v9
	v_mov_b32_e32 v55, v8
	s_waitcnt vmcnt(6)
	v_xor_b32_e32 v48, 0x80000000, v21
	v_mov_b32_e32 v49, v20
	v_xor_b32_e32 v80, 0x80000000, v17
	v_mov_b32_e32 v81, v16
	;; [unrolled: 5-line block ×3, first 2 shown]
	v_cmp_eq_u64_e32 vcc, 0, v[4:5]
	s_waitcnt vmcnt(3)
	v_xor_b32_e32 v52, 0x80000000, v33
	v_mov_b32_e32 v53, v32
	v_lshl_add_u64 v[74:75], v[74:75], 0, s[14:15]
	s_or_b64 s[10:11], vcc, s[10:11]
	s_waitcnt vmcnt(2)
	v_mov_b32_e32 v88, v37
	s_waitcnt vmcnt(1)
	v_pk_fma_f32 v[76:77], v[10:11], v[38:39], v[76:77] op_sel_hi:[1,0,1]
	v_pk_fma_f32 v[12:13], v[12:13], v[38:39], v[56:57] op_sel_hi:[1,0,1]
	;; [unrolled: 1-line block ×4, first 2 shown]
	v_pk_fma_f32 v[10:11], v[10:11], v[38:39], v[76:77] op_sel:[1,1,0] op_sel_hi:[0,1,1] neg_lo:[1,0,0]
	v_pk_fma_f32 v[12:13], v[46:47], v[38:39], v[12:13] op_sel:[0,1,0]
	v_pk_fma_f32 v[6:7], v[6:7], v[38:39], v[56:57] op_sel:[1,1,0] op_sel_hi:[0,1,1] neg_lo:[1,0,0]
	v_pk_fma_f32 v[8:9], v[54:55], v[38:39], v[8:9] op_sel:[0,1,0]
	v_mov_b32_e32 v86, v41
	v_pk_fma_f32 v[10:11], v[18:19], v[40:41], v[10:11] op_sel_hi:[1,0,1]
	v_pk_fma_f32 v[12:13], v[20:21], v[40:41], v[12:13] op_sel_hi:[1,0,1]
	;; [unrolled: 1-line block ×4, first 2 shown]
	v_pk_fma_f32 v[10:11], v[18:19], v[86:87], v[10:11] op_sel:[1,0,0] op_sel_hi:[0,0,1] neg_lo:[1,0,0]
	v_pk_fma_f32 v[12:13], v[48:49], v[86:87], v[12:13] op_sel_hi:[1,0,1]
	v_pk_fma_f32 v[6:7], v[14:15], v[86:87], v[6:7] op_sel:[1,0,0] op_sel_hi:[0,0,1] neg_lo:[1,0,0]
	v_pk_fma_f32 v[8:9], v[80:81], v[86:87], v[8:9] op_sel_hi:[1,0,1]
	v_pk_fma_f32 v[10:11], v[26:27], v[34:35], v[10:11] op_sel_hi:[1,0,1]
	;; [unrolled: 1-line block ×5, first 2 shown]
	v_pk_fma_f32 v[10:11], v[26:27], v[34:35], v[10:11] op_sel:[1,1,0] op_sel_hi:[0,1,1] neg_lo:[1,0,0]
	v_pk_fma_f32 v[12:13], v[50:51], v[34:35], v[12:13] op_sel:[0,1,0]
	v_pk_fma_f32 v[6:7], v[22:23], v[34:35], v[6:7] op_sel:[1,1,0] op_sel_hi:[0,1,1] neg_lo:[1,0,0]
	v_pk_fma_f32 v[8:9], v[82:83], v[34:35], v[8:9] op_sel:[0,1,0]
	s_waitcnt vmcnt(0)
	v_xor_b32_e32 v84, 0x80000000, v45
	v_mov_b32_e32 v85, v44
	v_pk_fma_f32 v[10:11], v[30:31], v[36:37], v[10:11] op_sel_hi:[1,0,1]
	v_pk_fma_f32 v[12:13], v[32:33], v[36:37], v[12:13] op_sel_hi:[1,0,1]
	;; [unrolled: 1-line block ×4, first 2 shown]
	v_pk_fma_f32 v[76:77], v[30:31], v[88:89], v[10:11] op_sel:[1,0,0] op_sel_hi:[0,0,1] neg_lo:[1,0,0]
	v_pk_fma_f32 v[56:57], v[52:53], v[88:89], v[12:13] op_sel_hi:[1,0,1]
	v_pk_fma_f32 v[78:79], v[42:43], v[88:89], v[6:7] op_sel:[1,0,0] op_sel_hi:[0,0,1] neg_lo:[1,0,0]
	v_pk_fma_f32 v[58:59], v[84:85], v[88:89], v[8:9] op_sel_hi:[1,0,1]
	s_andn2_b64 exec, exec, s[10:11]
	s_cbranch_execnz .LBB51_27
; %bb.28:
	s_or_b64 exec, exec, s[10:11]
.LBB51_29:
	s_or_b64 exec, exec, s[4:5]
	v_cmp_lt_u64_e32 vcc, 23, v[0:1]
	s_and_saveexec_b64 s[4:5], vcc
	s_cbranch_execz .LBB51_33
; %bb.30:
	v_lshl_add_u64 v[0:1], v[70:71], 3, s[12:13]
	s_mov_b64 s[10:11], 0x80
	v_lshl_add_u64 v[80:81], v[0:1], 0, s[10:11]
	s_mov_b64 s[10:11], 0
	s_mov_b64 s[12:13], 0x100
	;; [unrolled: 1-line block ×3, first 2 shown]
.LBB51_31:                              ; =>This Inner Loop Header: Depth=1
	global_load_dwordx4 v[44:47], v[74:75], off
	global_load_dwordx2 v[86:87], v[80:81], off offset:-128
	global_load_dwordx4 v[16:19], v[74:75], off offset:16
	global_load_dwordx4 v[12:15], v[74:75], off offset:48
	global_load_dwordx4 v[28:31], v[74:75], off offset:32
	global_load_dwordx4 v[40:43], v[74:75], off offset:112
	global_load_dwordx4 v[52:55], v[74:75], off offset:96
	global_load_dwordx4 v[8:11], v[74:75], off offset:80
	global_load_dwordx4 v[48:51], v[74:75], off offset:64
	global_load_dwordx4 v[20:23], v[74:75], off offset:1072
	global_load_dwordx4 v[24:27], v[74:75], off offset:1056
	global_load_dwordx4 v[32:35], v[74:75], off offset:1040
	global_load_dwordx4 v[36:39], v[74:75], off offset:1024
	global_load_dwordx4 v[0:3], v[74:75], off offset:1136
	global_load_dwordx4 v[4:7], v[74:75], off offset:1120
	global_load_dwordx2 v[98:99], v[80:81], off offset:-64
	global_load_dwordx2 v[84:85], v[80:81], off
	global_load_dwordx2 v[82:83], v[80:81], off offset:64
	v_lshl_add_u64 v[70:71], v[70:71], 0, 32
	v_lshl_add_u64 v[80:81], v[80:81], 0, s[12:13]
	s_waitcnt vmcnt(17)
	v_xor_b32_e32 v100, 0x80000000, v47
	s_waitcnt vmcnt(16)
	v_sub_co_u32_e32 v86, vcc, v86, v68
	v_mov_b32_e32 v101, v46
	s_nop 0
	v_subb_co_u32_e32 v87, vcc, v87, v69, vcc
	v_lshlrev_b64 v[86:87], 5, v[86:87]
	v_lshl_add_u64 v[94:95], s[2:3], 0, v[86:87]
	global_load_dwordx4 v[86:89], v[94:95], off
	global_load_dwordx4 v[90:93], v[94:95], off offset:16
	s_waitcnt vmcnt(16)
	v_xor_b32_e32 v102, 0x80000000, v15
	v_mov_b32_e32 v103, v14
	global_load_dwordx4 v[94:97], v[74:75], off offset:1104
	s_waitcnt vmcnt(2)
	v_pk_fma_f32 v[76:77], v[44:45], v[86:87], v[76:77] op_sel_hi:[1,0,1]
	v_pk_fma_f32 v[46:47], v[46:47], v[86:87], v[56:57] op_sel_hi:[1,0,1]
	v_pk_fma_f32 v[44:45], v[44:45], v[86:87], v[76:77] op_sel:[1,1,0] op_sel_hi:[0,1,1] neg_lo:[1,0,0]
	v_xor_b32_e32 v56, 0x80000000, v19
	v_mov_b32_e32 v57, v18
	v_pk_fma_f32 v[76:77], v[16:17], v[86:87], v[78:79] op_sel_hi:[1,0,1]
	v_pk_fma_f32 v[18:19], v[18:19], v[86:87], v[58:59] op_sel_hi:[1,0,1]
	v_pk_fma_f32 v[58:59], v[16:17], v[86:87], v[76:77] op_sel:[1,1,0] op_sel_hi:[0,1,1] neg_lo:[1,0,0]
	v_pk_fma_f32 v[46:47], v[100:101], v[86:87], v[46:47] op_sel:[0,1,0]
	v_pk_fma_f32 v[56:57], v[56:57], v[86:87], v[18:19] op_sel:[0,1,0]
	v_pk_fma_f32 v[44:45], v[28:29], v[88:89], v[44:45] op_sel_hi:[1,0,1]
	v_pk_fma_f32 v[46:47], v[30:31], v[88:89], v[46:47] op_sel_hi:[1,0,1]
	;; [unrolled: 1-line block ×4, first 2 shown]
	v_mov_b32_e32 v86, v89
	v_xor_b32_e32 v88, 0x80000000, v31
	v_mov_b32_e32 v89, v30
	v_pk_fma_f32 v[100:101], v[28:29], v[86:87], v[44:45] op_sel:[1,0,0] op_sel_hi:[0,0,1] neg_lo:[1,0,0]
	v_pk_fma_f32 v[12:13], v[12:13], v[86:87], v[58:59] op_sel:[1,0,0] op_sel_hi:[0,0,1] neg_lo:[1,0,0]
	v_pk_fma_f32 v[14:15], v[88:89], v[86:87], v[46:47] op_sel_hi:[1,0,1]
	v_pk_fma_f32 v[56:57], v[102:103], v[86:87], v[56:57] op_sel_hi:[1,0,1]
	v_xor_b32_e32 v58, 0x80000000, v51
	v_mov_b32_e32 v59, v50
	s_waitcnt vmcnt(1)
	v_pk_fma_f32 v[86:87], v[48:49], v[90:91], v[100:101] op_sel_hi:[1,0,1]
	v_pk_fma_f32 v[14:15], v[50:51], v[90:91], v[14:15] op_sel_hi:[1,0,1]
	v_xor_b32_e32 v88, 0x80000000, v11
	v_mov_b32_e32 v89, v10
	v_pk_fma_f32 v[12:13], v[8:9], v[90:91], v[12:13] op_sel_hi:[1,0,1]
	v_pk_fma_f32 v[56:57], v[10:11], v[90:91], v[56:57] op_sel_hi:[1,0,1]
	v_pk_fma_f32 v[86:87], v[48:49], v[90:91], v[86:87] op_sel:[1,1,0] op_sel_hi:[0,1,1] neg_lo:[1,0,0]
	v_pk_fma_f32 v[100:101], v[8:9], v[90:91], v[12:13] op_sel:[1,1,0] op_sel_hi:[0,1,1] neg_lo:[1,0,0]
	v_pk_fma_f32 v[58:59], v[58:59], v[90:91], v[14:15] op_sel:[0,1,0]
	v_pk_fma_f32 v[56:57], v[88:89], v[90:91], v[56:57] op_sel:[0,1,0]
	v_pk_fma_f32 v[86:87], v[52:53], v[92:93], v[86:87] op_sel_hi:[1,0,1]
	v_pk_fma_f32 v[58:59], v[54:55], v[92:93], v[58:59] op_sel_hi:[1,0,1]
	;; [unrolled: 1-line block ×4, first 2 shown]
	v_mov_b32_e32 v90, v93
	v_mov_b32_e32 v93, v54
	v_sub_co_u32_e32 v54, vcc, v98, v68
	v_xor_b32_e32 v92, 0x80000000, v55
	s_nop 0
	v_subb_co_u32_e32 v55, vcc, v99, v69, vcc
	v_lshlrev_b64 v[54:55], 5, v[54:55]
	v_pk_fma_f32 v[100:101], v[52:53], v[90:91], v[86:87] op_sel:[1,0,0] op_sel_hi:[0,0,1] neg_lo:[1,0,0]
	v_xor_b32_e32 v52, 0x80000000, v43
	v_mov_b32_e32 v53, v42
	v_lshl_add_u64 v[104:105], s[2:3], 0, v[54:55]
	global_load_dwordx4 v[76:79], v[74:75], off offset:1088
	global_load_dwordx4 v[16:19], v[74:75], off offset:2096
	;; [unrolled: 1-line block ×7, first 2 shown]
	v_pk_fma_f32 v[102:103], v[40:41], v[90:91], v[88:89] op_sel:[1,0,0] op_sel_hi:[0,0,1] neg_lo:[1,0,0]
	global_load_dwordx4 v[40:43], v[74:75], off offset:2128
	v_pk_fma_f32 v[56:57], v[52:53], v[90:91], v[56:57] op_sel_hi:[1,0,1]
	global_load_dwordx4 v[52:55], v[104:105], off
	global_load_dwordx4 v[86:89], v[104:105], off offset:16
	v_pk_fma_f32 v[58:59], v[92:93], v[90:91], v[58:59] op_sel_hi:[1,0,1]
	v_xor_b32_e32 v98, 0x80000000, v39
	v_mov_b32_e32 v99, v38
	v_sub_co_u32_e32 v84, vcc, v84, v68
	s_waitcnt vmcnt(1)
	v_pk_fma_f32 v[90:91], v[36:37], v[52:53], v[100:101] op_sel_hi:[1,0,1]
	v_pk_fma_f32 v[38:39], v[38:39], v[52:53], v[58:59] op_sel_hi:[1,0,1]
	v_pk_fma_f32 v[36:37], v[36:37], v[52:53], v[90:91] op_sel:[1,1,0] op_sel_hi:[0,1,1] neg_lo:[1,0,0]
	v_xor_b32_e32 v90, 0x80000000, v35
	v_mov_b32_e32 v91, v34
	v_pk_fma_f32 v[58:59], v[32:33], v[52:53], v[102:103] op_sel_hi:[1,0,1]
	v_pk_fma_f32 v[92:93], v[34:35], v[52:53], v[56:57] op_sel_hi:[1,0,1]
	v_pk_fma_f32 v[100:101], v[32:33], v[52:53], v[58:59] op_sel:[1,1,0] op_sel_hi:[0,1,1] neg_lo:[1,0,0]
	v_pk_fma_f32 v[38:39], v[98:99], v[52:53], v[38:39] op_sel:[0,1,0]
	v_pk_fma_f32 v[52:53], v[90:91], v[52:53], v[92:93] op_sel:[0,1,0]
	v_pk_fma_f32 v[36:37], v[24:25], v[54:55], v[36:37] op_sel_hi:[1,0,1]
	v_pk_fma_f32 v[38:39], v[26:27], v[54:55], v[38:39] op_sel_hi:[1,0,1]
	;; [unrolled: 1-line block ×4, first 2 shown]
	v_mov_b32_e32 v54, v55
	v_xor_b32_e32 v90, 0x80000000, v27
	v_mov_b32_e32 v91, v26
	v_pk_fma_f32 v[36:37], v[24:25], v[54:55], v[36:37] op_sel:[1,0,0] op_sel_hi:[0,0,1] neg_lo:[1,0,0]
	v_xor_b32_e32 v98, 0x80000000, v23
	v_mov_b32_e32 v99, v22
	v_pk_fma_f32 v[92:93], v[20:21], v[54:55], v[92:93] op_sel:[1,0,0] op_sel_hi:[0,0,1] neg_lo:[1,0,0]
	v_pk_fma_f32 v[38:39], v[90:91], v[54:55], v[38:39] op_sel_hi:[1,0,1]
	v_pk_fma_f32 v[90:91], v[98:99], v[54:55], v[52:53] op_sel_hi:[1,0,1]
	s_waitcnt vmcnt(0)
	v_pk_fma_f32 v[36:37], v[76:77], v[86:87], v[36:37] op_sel_hi:[1,0,1]
	v_xor_b32_e32 v98, 0x80000000, v79
	v_mov_b32_e32 v99, v78
	v_pk_fma_f32 v[78:79], v[78:79], v[86:87], v[38:39] op_sel_hi:[1,0,1]
	v_pk_fma_f32 v[100:101], v[76:77], v[86:87], v[36:37] op_sel:[1,1,0] op_sel_hi:[0,1,1] neg_lo:[1,0,0]
	v_xor_b32_e32 v102, 0x80000000, v97
	v_mov_b32_e32 v103, v96
	v_pk_fma_f32 v[76:77], v[94:95], v[86:87], v[92:93] op_sel_hi:[1,0,1]
	v_pk_fma_f32 v[90:91], v[96:97], v[86:87], v[90:91] op_sel_hi:[1,0,1]
	v_pk_fma_f32 v[98:99], v[98:99], v[86:87], v[78:79] op_sel:[0,1,0]
	v_pk_fma_f32 v[92:93], v[94:95], v[86:87], v[76:77] op_sel:[1,1,0] op_sel_hi:[0,1,1] neg_lo:[1,0,0]
	v_pk_fma_f32 v[86:87], v[102:103], v[86:87], v[90:91] op_sel:[0,1,0]
	v_pk_fma_f32 v[94:95], v[4:5], v[88:89], v[100:101] op_sel_hi:[1,0,1]
	v_pk_fma_f32 v[96:97], v[6:7], v[88:89], v[98:99] op_sel_hi:[1,0,1]
	;; [unrolled: 1-line block ×4, first 2 shown]
	v_mov_b32_e32 v88, v89
	v_subb_co_u32_e32 v85, vcc, v85, v69, vcc
	v_pk_fma_f32 v[92:93], v[0:1], v[88:89], v[92:93] op_sel:[1,0,0] op_sel_hi:[0,0,1] neg_lo:[1,0,0]
	v_lshlrev_b64 v[0:1], 5, v[84:85]
	v_lshl_add_u64 v[84:85], s[2:3], 0, v[0:1]
	v_xor_b32_e32 v98, 0x80000000, v3
	v_mov_b32_e32 v99, v2
	global_load_dwordx4 v[0:3], v[84:85], off
	v_xor_b32_e32 v90, 0x80000000, v7
	v_mov_b32_e32 v91, v6
	v_cmp_ge_i64_e32 vcc, v[70:71], v[72:73]
	global_load_dwordx4 v[56:59], v[74:75], off offset:2112
	global_load_dwordx4 v[52:55], v[74:75], off offset:3072
	v_pk_fma_f32 v[94:95], v[4:5], v[88:89], v[94:95] op_sel:[1,0,0] op_sel_hi:[0,0,1] neg_lo:[1,0,0]
	v_pk_fma_f32 v[90:91], v[90:91], v[88:89], v[96:97] op_sel_hi:[1,0,1]
	v_pk_fma_f32 v[88:89], v[98:99], v[88:89], v[86:87] op_sel_hi:[1,0,1]
	global_load_dwordx4 v[84:87], v[84:85], off offset:16
	s_or_b64 s[10:11], vcc, s[10:11]
	v_sub_co_u32_e32 v82, vcc, v82, v68
	v_xor_b32_e32 v96, 0x80000000, v47
	s_nop 0
	v_subb_co_u32_e32 v83, vcc, v83, v69, vcc
	v_mov_b32_e32 v97, v46
	v_xor_b32_e32 v100, 0x80000000, v51
	v_mov_b32_e32 v101, v50
	global_load_dwordx4 v[24:27], v[74:75], off offset:3104
	global_load_dwordx4 v[20:23], v[74:75], off offset:3088
	;; [unrolled: 1-line block ×5, first 2 shown]
	v_xor_b32_e32 v98, 0x80000000, v19
	v_mov_b32_e32 v99, v18
	global_load_dwordx4 v[36:39], v[74:75], off offset:3184
	s_waitcnt vmcnt(9)
	v_pk_fma_f32 v[92:93], v[44:45], v[0:1], v[92:93] op_sel_hi:[1,0,1]
	v_pk_fma_f32 v[46:47], v[46:47], v[0:1], v[88:89] op_sel_hi:[1,0,1]
	v_pk_fma_f32 v[88:89], v[44:45], v[0:1], v[92:93] op_sel:[1,1,0] op_sel_hi:[0,1,1] neg_lo:[1,0,0]
	v_lshlrev_b64 v[44:45], 5, v[82:83]
	v_pk_fma_f32 v[94:95], v[48:49], v[0:1], v[94:95] op_sel_hi:[1,0,1]
	v_pk_fma_f32 v[90:91], v[50:51], v[0:1], v[90:91] op_sel_hi:[1,0,1]
	v_lshl_add_u64 v[82:83], s[2:3], 0, v[44:45]
	v_pk_fma_f32 v[94:95], v[48:49], v[0:1], v[94:95] op_sel:[1,1,0] op_sel_hi:[0,1,1] neg_lo:[1,0,0]
	v_pk_fma_f32 v[90:91], v[100:101], v[0:1], v[90:91] op_sel:[0,1,0]
	v_pk_fma_f32 v[0:1], v[96:97], v[0:1], v[46:47] op_sel:[0,1,0]
	global_load_dwordx4 v[44:47], v[82:83], off
	global_load_dwordx4 v[48:51], v[74:75], off offset:3136
	v_xor_b32_e32 v92, 0x80000000, v31
	v_mov_b32_e32 v93, v30
	v_pk_fma_f32 v[94:95], v[28:29], v[2:3], v[94:95] op_sel_hi:[1,0,1]
	v_pk_fma_f32 v[30:31], v[30:31], v[2:3], v[90:91] op_sel_hi:[1,0,1]
	;; [unrolled: 1-line block ×4, first 2 shown]
	v_mov_b32_e32 v90, v3
	global_load_dwordx4 v[0:3], v[82:83], off offset:16
	v_pk_fma_f32 v[28:29], v[28:29], v[90:91], v[94:95] op_sel:[1,0,0] op_sel_hi:[0,0,1] neg_lo:[1,0,0]
	v_pk_fma_f32 v[16:17], v[16:17], v[90:91], v[88:89] op_sel:[1,0,0] op_sel_hi:[0,0,1] neg_lo:[1,0,0]
	v_pk_fma_f32 v[30:31], v[92:93], v[90:91], v[30:31] op_sel_hi:[1,0,1]
	v_pk_fma_f32 v[18:19], v[98:99], v[90:91], v[18:19] op_sel_hi:[1,0,1]
	s_waitcnt vmcnt(11)
	v_xor_b32_e32 v82, 0x80000000, v57
	v_xor_b32_e32 v94, 0x80000000, v59
	;; [unrolled: 1-line block ×3, first 2 shown]
	v_mov_b32_e32 v83, v56
	v_mov_b32_e32 v95, v58
	v_xor_b32_e32 v96, 0x80000000, v43
	v_mov_b32_e32 v89, v40
	v_mov_b32_e32 v97, v42
	s_waitcnt vmcnt(9)
	v_pk_fma_f32 v[28:29], v[56:57], v[84:85], v[28:29] op_sel_hi:[1,0,1]
	v_pk_fma_f32 v[30:31], v[58:59], v[84:85], v[30:31] op_sel_hi:[1,0,1]
	;; [unrolled: 1-line block ×4, first 2 shown]
	v_pk_fma_f32 v[28:29], v[82:83], v[84:85], v[28:29] op_sel:[0,1,0]
	v_pk_fma_f32 v[30:31], v[94:95], v[84:85], v[30:31] op_sel:[0,1,0]
	;; [unrolled: 1-line block ×4, first 2 shown]
	v_xor_b32_e32 v92, 0x80000000, v15
	v_mov_b32_e32 v93, v14
	v_xor_b32_e32 v40, 0x80000000, v11
	v_mov_b32_e32 v41, v10
	v_mov_b32_e32 v84, v87
	v_pk_fma_f32 v[28:29], v[12:13], v[86:87], v[28:29] op_sel_hi:[1,0,1]
	v_pk_fma_f32 v[14:15], v[14:15], v[86:87], v[30:31] op_sel_hi:[1,0,1]
	;; [unrolled: 1-line block ×4, first 2 shown]
	v_pk_fma_f32 v[12:13], v[12:13], v[84:85], v[28:29] op_sel:[1,0,0] op_sel_hi:[0,0,1] neg_lo:[1,0,0]
	v_pk_fma_f32 v[8:9], v[8:9], v[84:85], v[16:17] op_sel:[1,0,0] op_sel_hi:[0,0,1] neg_lo:[1,0,0]
	v_pk_fma_f32 v[14:15], v[92:93], v[84:85], v[14:15] op_sel_hi:[1,0,1]
	v_pk_fma_f32 v[10:11], v[40:41], v[84:85], v[10:11] op_sel_hi:[1,0,1]
	v_xor_b32_e32 v90, 0x80000000, v55
	v_mov_b32_e32 v91, v54
	s_waitcnt vmcnt(7)
	v_xor_b32_e32 v42, 0x80000000, v23
	v_mov_b32_e32 v43, v22
	v_xor_b32_e32 v98, 0x80000000, v27
	v_mov_b32_e32 v99, v26
	s_waitcnt vmcnt(6)
	v_xor_b32_e32 v82, 0x80000000, v35
	v_mov_b32_e32 v83, v34
	s_waitcnt vmcnt(4)
	v_xor_b32_e32 v94, 0x80000000, v7
	v_mov_b32_e32 v95, v6
	v_xor_b32_e32 v58, 0x80000000, v79
	v_mov_b32_e32 v59, v78
	s_waitcnt vmcnt(3)
	v_xor_b32_e32 v88, 0x80000000, v39
	v_mov_b32_e32 v89, v38
	v_lshl_add_u64 v[74:75], v[74:75], 0, s[14:15]
	s_waitcnt vmcnt(2)
	v_pk_fma_f32 v[12:13], v[52:53], v[44:45], v[12:13] op_sel_hi:[1,0,1]
	v_pk_fma_f32 v[14:15], v[54:55], v[44:45], v[14:15] op_sel_hi:[1,0,1]
	;; [unrolled: 1-line block ×4, first 2 shown]
	v_pk_fma_f32 v[12:13], v[52:53], v[44:45], v[12:13] op_sel:[1,1,0] op_sel_hi:[0,1,1] neg_lo:[1,0,0]
	v_pk_fma_f32 v[14:15], v[90:91], v[44:45], v[14:15] op_sel:[0,1,0]
	v_pk_fma_f32 v[8:9], v[20:21], v[44:45], v[8:9] op_sel:[1,1,0] op_sel_hi:[0,1,1] neg_lo:[1,0,0]
	v_pk_fma_f32 v[10:11], v[42:43], v[44:45], v[10:11] op_sel:[0,1,0]
	v_mov_b32_e32 v18, v47
	v_pk_fma_f32 v[12:13], v[24:25], v[46:47], v[12:13] op_sel_hi:[1,0,1]
	v_pk_fma_f32 v[14:15], v[26:27], v[46:47], v[14:15] op_sel_hi:[1,0,1]
	;; [unrolled: 1-line block ×4, first 2 shown]
	v_pk_fma_f32 v[12:13], v[24:25], v[18:19], v[12:13] op_sel:[1,0,0] op_sel_hi:[0,0,1] neg_lo:[1,0,0]
	v_pk_fma_f32 v[14:15], v[98:99], v[18:19], v[14:15] op_sel_hi:[1,0,1]
	v_pk_fma_f32 v[8:9], v[32:33], v[18:19], v[8:9] op_sel:[1,0,0] op_sel_hi:[0,0,1] neg_lo:[1,0,0]
	v_pk_fma_f32 v[10:11], v[82:83], v[18:19], v[10:11] op_sel_hi:[1,0,1]
	s_waitcnt vmcnt(1)
	v_xor_b32_e32 v56, 0x80000000, v51
	v_mov_b32_e32 v57, v50
	s_waitcnt vmcnt(0)
	v_pk_fma_f32 v[12:13], v[48:49], v[0:1], v[12:13] op_sel_hi:[1,0,1]
	v_pk_fma_f32 v[14:15], v[50:51], v[0:1], v[14:15] op_sel_hi:[1,0,1]
	v_pk_fma_f32 v[8:9], v[4:5], v[0:1], v[8:9] op_sel_hi:[1,0,1]
	v_pk_fma_f32 v[6:7], v[6:7], v[0:1], v[10:11] op_sel_hi:[1,0,1]
	v_pk_fma_f32 v[10:11], v[48:49], v[0:1], v[12:13] op_sel:[1,1,0] op_sel_hi:[0,1,1] neg_lo:[1,0,0]
	v_pk_fma_f32 v[12:13], v[56:57], v[0:1], v[14:15] op_sel:[0,1,0]
	v_pk_fma_f32 v[4:5], v[4:5], v[0:1], v[8:9] op_sel:[1,1,0] op_sel_hi:[0,1,1] neg_lo:[1,0,0]
	v_pk_fma_f32 v[0:1], v[94:95], v[0:1], v[6:7] op_sel:[0,1,0]
	v_mov_b32_e32 v30, v3
	v_pk_fma_f32 v[6:7], v[76:77], v[2:3], v[10:11] op_sel_hi:[1,0,1]
	v_pk_fma_f32 v[8:9], v[78:79], v[2:3], v[12:13] op_sel_hi:[1,0,1]
	;; [unrolled: 1-line block ×4, first 2 shown]
	v_pk_fma_f32 v[76:77], v[76:77], v[30:31], v[6:7] op_sel:[1,0,0] op_sel_hi:[0,0,1] neg_lo:[1,0,0]
	v_pk_fma_f32 v[56:57], v[58:59], v[30:31], v[8:9] op_sel_hi:[1,0,1]
	v_pk_fma_f32 v[78:79], v[36:37], v[30:31], v[4:5] op_sel:[1,0,0] op_sel_hi:[0,0,1] neg_lo:[1,0,0]
	v_pk_fma_f32 v[58:59], v[88:89], v[30:31], v[0:1] op_sel_hi:[1,0,1]
	s_andn2_b64 exec, exec, s[10:11]
	s_cbranch_execnz .LBB51_31
; %bb.32:
	s_or_b64 exec, exec, s[10:11]
.LBB51_33:
	s_or_b64 exec, exec, s[4:5]
	v_mov_b32_e32 v67, v77
.LBB51_34:
	s_or_b64 exec, exec, s[8:9]
.LBB51_35:
	v_mov_b32_dpp v6, v57 row_shr:1 row_mask:0xf bank_mask:0xf
	v_add_f32_e32 v6, v57, v6
	v_mov_b32_dpp v0, v76 row_shr:1 row_mask:0xf bank_mask:0xf
	v_mov_b32_dpp v2, v67 row_shr:1 row_mask:0xf bank_mask:0xf
	;; [unrolled: 1-line block ×3, first 2 shown]
	v_add_f32_e32 v7, v6, v7
	v_mov_b32_dpp v6, v78 row_shr:1 row_mask:0xf bank_mask:0xf
	v_add_f32_e32 v6, v78, v6
	v_mov_b32_dpp v4, v56 row_shr:1 row_mask:0xf bank_mask:0xf
	;; [unrolled: 2-line block ×4, first 2 shown]
	v_add_f32_e32 v6, v79, v6
	v_add_f32_e32 v2, v67, v2
	;; [unrolled: 1-line block ×3, first 2 shown]
	v_mov_b32_dpp v11, v6 row_shr:2 row_mask:0xf bank_mask:0xf
	v_add_f32_e32 v11, v6, v11
	v_mov_b32_dpp v6, v58 row_shr:1 row_mask:0xf bank_mask:0xf
	v_add_f32_e32 v6, v58, v6
	v_mov_b32_dpp v1, v0 row_shr:2 row_mask:0xf bank_mask:0xf
	v_mov_b32_dpp v3, v2 row_shr:2 row_mask:0xf bank_mask:0xf
	;; [unrolled: 1-line block ×3, first 2 shown]
	v_add_f32_e32 v15, v6, v12
	v_mov_b32_dpp v6, v59 row_shr:1 row_mask:0xf bank_mask:0xf
	v_add_f32_e32 v6, v59, v6
	v_mov_b32_dpp v5, v4 row_shr:2 row_mask:0xf bank_mask:0xf
	;; [unrolled: 2-line block ×3, first 2 shown]
	v_add_f32_e32 v2, v2, v3
	v_add_f32_e32 v4, v4, v5
	;; [unrolled: 1-line block ×3, first 2 shown]
	v_mov_b32_dpp v1, v0 row_shr:4 row_mask:0xf bank_mask:0xe
	v_mov_b32_dpp v3, v2 row_shr:4 row_mask:0xf bank_mask:0xe
	;; [unrolled: 1-line block ×8, first 2 shown]
	v_cmp_eq_u32_e32 vcc, 7, v66
	s_and_b64 exec, exec, vcc
	s_cbranch_execz .LBB51_6
; %bb.36:
	s_load_dwordx2 s[0:1], s[0:1], 0x58
	v_cmp_eq_f32_e32 vcc, 0, v62
	s_xor_b64 s[2:3], s[6:7], -1
	v_add_f32_e32 v6, v0, v1
	v_add_f32_e32 v14, v2, v3
	;; [unrolled: 1-line block ×8, first 2 shown]
	s_and_b64 s[2:3], vcc, s[2:3]
	v_lshlrev_b64 v[16:17], 5, v[64:65]
	s_and_saveexec_b64 s[4:5], s[2:3]
	s_xor_b64 s[2:3], exec, s[4:5]
	s_cbranch_execz .LBB51_38
; %bb.37:
	v_xor_b32_e32 v18, 0x80000000, v61
	v_mov_b32_e32 v19, v60
	v_pk_mul_f32 v[14:15], v[14:15], v[18:19] op_sel_hi:[0,1]
	v_pk_fma_f32 v[14:15], v[60:61], v[6:7], v[14:15] op_sel_hi:[1,0,1]
	v_pk_mul_f32 v[6:7], v[12:13], v[18:19] op_sel_hi:[0,1]
	s_waitcnt lgkmcnt(0)
	v_lshl_add_u64 v[20:21], s[0:1], 0, v[16:17]
	v_pk_fma_f32 v[16:17], v[60:61], v[4:5], v[6:7] op_sel_hi:[1,0,1]
	v_pk_mul_f32 v[4:5], v[10:11], v[18:19] op_sel_hi:[0,1]
	v_pk_fma_f32 v[2:3], v[60:61], v[2:3], v[4:5] op_sel_hi:[1,0,1]
	v_pk_mul_f32 v[4:5], v[8:9], v[18:19] op_sel_hi:[0,1]
	v_pk_fma_f32 v[4:5], v[60:61], v[0:1], v[4:5] op_sel_hi:[1,0,1]
	global_store_dwordx4 v[20:21], v[14:17], off
	global_store_dwordx4 v[20:21], v[2:5], off offset:16
                                        ; implicit-def: $vgpr6
                                        ; implicit-def: $vgpr14
                                        ; implicit-def: $vgpr4
                                        ; implicit-def: $vgpr12
                                        ; implicit-def: $vgpr2
                                        ; implicit-def: $vgpr10
                                        ; implicit-def: $vgpr0
                                        ; implicit-def: $vgpr8
                                        ; implicit-def: $vgpr60_vgpr61
                                        ; implicit-def: $vgpr62_vgpr63
                                        ; implicit-def: $vgpr16_vgpr17
.LBB51_38:
	s_andn2_saveexec_b64 s[2:3], s[2:3]
	s_cbranch_execz .LBB51_6
; %bb.39:
	s_waitcnt lgkmcnt(0)
	v_lshl_add_u64 v[24:25], s[0:1], 0, v[16:17]
	global_load_dwordx4 v[16:19], v[24:25], off
	global_load_dwordx4 v[20:23], v[24:25], off offset:16
	v_xor_b32_e32 v26, 0x80000000, v61
	v_mov_b32_e32 v27, v60
	v_pk_mul_f32 v[14:15], v[14:15], v[26:27] op_sel_hi:[0,1]
	v_pk_mul_f32 v[12:13], v[12:13], v[26:27] op_sel_hi:[0,1]
	;; [unrolled: 1-line block ×4, first 2 shown]
	v_pk_fma_f32 v[6:7], v[60:61], v[6:7], v[14:15] op_sel_hi:[1,0,1]
	v_pk_fma_f32 v[4:5], v[60:61], v[4:5], v[12:13] op_sel_hi:[1,0,1]
	v_xor_b32_e32 v28, 0x80000000, v63
	v_mov_b32_e32 v29, v62
	v_pk_fma_f32 v[2:3], v[60:61], v[2:3], v[10:11] op_sel_hi:[1,0,1]
	v_pk_fma_f32 v[0:1], v[60:61], v[0:1], v[8:9] op_sel_hi:[1,0,1]
	s_waitcnt vmcnt(1)
	v_pk_fma_f32 v[6:7], v[62:63], v[16:17], v[6:7] op_sel_hi:[1,0,1]
	v_pk_fma_f32 v[4:5], v[62:63], v[18:19], v[4:5] op_sel_hi:[1,0,1]
	v_mov_b32_e32 v8, v19
	s_waitcnt vmcnt(0)
	v_pk_fma_f32 v[10:11], v[62:63], v[20:21], v[2:3] op_sel_hi:[1,0,1]
	v_pk_fma_f32 v[12:13], v[62:63], v[22:23], v[0:1] op_sel_hi:[1,0,1]
	v_mov_b32_e32 v14, v23
	v_pk_fma_f32 v[0:1], v[28:29], v[16:17], v[6:7] op_sel:[0,1,0]
	v_pk_fma_f32 v[2:3], v[28:29], v[8:9], v[4:5] op_sel_hi:[1,0,1]
	v_pk_fma_f32 v[4:5], v[28:29], v[20:21], v[10:11] op_sel:[0,1,0]
	v_pk_fma_f32 v[6:7], v[28:29], v[14:15], v[12:13] op_sel_hi:[1,0,1]
	global_store_dwordx4 v[24:25], v[0:3], off
	global_store_dwordx4 v[24:25], v[4:7], off offset:16
	s_endpgm
	.section	.rodata,"a",@progbits
	.p2align	6, 0x0
	.amdhsa_kernel _ZN9rocsparseL18bsrxmvn_4x4_kernelILj128ELj8E21rocsparse_complex_numIfEllS2_S2_S2_EEvT3_20rocsparse_direction_NS_24const_host_device_scalarIT1_EES3_PKS3_PKT2_SC_S9_PKT4_PKT5_S7_PT6_21rocsparse_index_base_b
		.amdhsa_group_segment_fixed_size 0
		.amdhsa_private_segment_fixed_size 0
		.amdhsa_kernarg_size 104
		.amdhsa_user_sgpr_count 2
		.amdhsa_user_sgpr_dispatch_ptr 0
		.amdhsa_user_sgpr_queue_ptr 0
		.amdhsa_user_sgpr_kernarg_segment_ptr 1
		.amdhsa_user_sgpr_dispatch_id 0
		.amdhsa_user_sgpr_kernarg_preload_length 0
		.amdhsa_user_sgpr_kernarg_preload_offset 0
		.amdhsa_user_sgpr_private_segment_size 0
		.amdhsa_uses_dynamic_stack 0
		.amdhsa_enable_private_segment 0
		.amdhsa_system_sgpr_workgroup_id_x 1
		.amdhsa_system_sgpr_workgroup_id_y 0
		.amdhsa_system_sgpr_workgroup_id_z 0
		.amdhsa_system_sgpr_workgroup_info 0
		.amdhsa_system_vgpr_workitem_id 0
		.amdhsa_next_free_vgpr 106
		.amdhsa_next_free_sgpr 20
		.amdhsa_accum_offset 108
		.amdhsa_reserve_vcc 1
		.amdhsa_float_round_mode_32 0
		.amdhsa_float_round_mode_16_64 0
		.amdhsa_float_denorm_mode_32 3
		.amdhsa_float_denorm_mode_16_64 3
		.amdhsa_dx10_clamp 1
		.amdhsa_ieee_mode 1
		.amdhsa_fp16_overflow 0
		.amdhsa_tg_split 0
		.amdhsa_exception_fp_ieee_invalid_op 0
		.amdhsa_exception_fp_denorm_src 0
		.amdhsa_exception_fp_ieee_div_zero 0
		.amdhsa_exception_fp_ieee_overflow 0
		.amdhsa_exception_fp_ieee_underflow 0
		.amdhsa_exception_fp_ieee_inexact 0
		.amdhsa_exception_int_div_zero 0
	.end_amdhsa_kernel
	.section	.text._ZN9rocsparseL18bsrxmvn_4x4_kernelILj128ELj8E21rocsparse_complex_numIfEllS2_S2_S2_EEvT3_20rocsparse_direction_NS_24const_host_device_scalarIT1_EES3_PKS3_PKT2_SC_S9_PKT4_PKT5_S7_PT6_21rocsparse_index_base_b,"axG",@progbits,_ZN9rocsparseL18bsrxmvn_4x4_kernelILj128ELj8E21rocsparse_complex_numIfEllS2_S2_S2_EEvT3_20rocsparse_direction_NS_24const_host_device_scalarIT1_EES3_PKS3_PKT2_SC_S9_PKT4_PKT5_S7_PT6_21rocsparse_index_base_b,comdat
.Lfunc_end51:
	.size	_ZN9rocsparseL18bsrxmvn_4x4_kernelILj128ELj8E21rocsparse_complex_numIfEllS2_S2_S2_EEvT3_20rocsparse_direction_NS_24const_host_device_scalarIT1_EES3_PKS3_PKT2_SC_S9_PKT4_PKT5_S7_PT6_21rocsparse_index_base_b, .Lfunc_end51-_ZN9rocsparseL18bsrxmvn_4x4_kernelILj128ELj8E21rocsparse_complex_numIfEllS2_S2_S2_EEvT3_20rocsparse_direction_NS_24const_host_device_scalarIT1_EES3_PKS3_PKT2_SC_S9_PKT4_PKT5_S7_PT6_21rocsparse_index_base_b
                                        ; -- End function
	.set _ZN9rocsparseL18bsrxmvn_4x4_kernelILj128ELj8E21rocsparse_complex_numIfEllS2_S2_S2_EEvT3_20rocsparse_direction_NS_24const_host_device_scalarIT1_EES3_PKS3_PKT2_SC_S9_PKT4_PKT5_S7_PT6_21rocsparse_index_base_b.num_vgpr, 106
	.set _ZN9rocsparseL18bsrxmvn_4x4_kernelILj128ELj8E21rocsparse_complex_numIfEllS2_S2_S2_EEvT3_20rocsparse_direction_NS_24const_host_device_scalarIT1_EES3_PKS3_PKT2_SC_S9_PKT4_PKT5_S7_PT6_21rocsparse_index_base_b.num_agpr, 0
	.set _ZN9rocsparseL18bsrxmvn_4x4_kernelILj128ELj8E21rocsparse_complex_numIfEllS2_S2_S2_EEvT3_20rocsparse_direction_NS_24const_host_device_scalarIT1_EES3_PKS3_PKT2_SC_S9_PKT4_PKT5_S7_PT6_21rocsparse_index_base_b.numbered_sgpr, 20
	.set _ZN9rocsparseL18bsrxmvn_4x4_kernelILj128ELj8E21rocsparse_complex_numIfEllS2_S2_S2_EEvT3_20rocsparse_direction_NS_24const_host_device_scalarIT1_EES3_PKS3_PKT2_SC_S9_PKT4_PKT5_S7_PT6_21rocsparse_index_base_b.num_named_barrier, 0
	.set _ZN9rocsparseL18bsrxmvn_4x4_kernelILj128ELj8E21rocsparse_complex_numIfEllS2_S2_S2_EEvT3_20rocsparse_direction_NS_24const_host_device_scalarIT1_EES3_PKS3_PKT2_SC_S9_PKT4_PKT5_S7_PT6_21rocsparse_index_base_b.private_seg_size, 0
	.set _ZN9rocsparseL18bsrxmvn_4x4_kernelILj128ELj8E21rocsparse_complex_numIfEllS2_S2_S2_EEvT3_20rocsparse_direction_NS_24const_host_device_scalarIT1_EES3_PKS3_PKT2_SC_S9_PKT4_PKT5_S7_PT6_21rocsparse_index_base_b.uses_vcc, 1
	.set _ZN9rocsparseL18bsrxmvn_4x4_kernelILj128ELj8E21rocsparse_complex_numIfEllS2_S2_S2_EEvT3_20rocsparse_direction_NS_24const_host_device_scalarIT1_EES3_PKS3_PKT2_SC_S9_PKT4_PKT5_S7_PT6_21rocsparse_index_base_b.uses_flat_scratch, 0
	.set _ZN9rocsparseL18bsrxmvn_4x4_kernelILj128ELj8E21rocsparse_complex_numIfEllS2_S2_S2_EEvT3_20rocsparse_direction_NS_24const_host_device_scalarIT1_EES3_PKS3_PKT2_SC_S9_PKT4_PKT5_S7_PT6_21rocsparse_index_base_b.has_dyn_sized_stack, 0
	.set _ZN9rocsparseL18bsrxmvn_4x4_kernelILj128ELj8E21rocsparse_complex_numIfEllS2_S2_S2_EEvT3_20rocsparse_direction_NS_24const_host_device_scalarIT1_EES3_PKS3_PKT2_SC_S9_PKT4_PKT5_S7_PT6_21rocsparse_index_base_b.has_recursion, 0
	.set _ZN9rocsparseL18bsrxmvn_4x4_kernelILj128ELj8E21rocsparse_complex_numIfEllS2_S2_S2_EEvT3_20rocsparse_direction_NS_24const_host_device_scalarIT1_EES3_PKS3_PKT2_SC_S9_PKT4_PKT5_S7_PT6_21rocsparse_index_base_b.has_indirect_call, 0
	.section	.AMDGPU.csdata,"",@progbits
; Kernel info:
; codeLenInByte = 7096
; TotalNumSgprs: 26
; NumVgprs: 106
; NumAgprs: 0
; TotalNumVgprs: 106
; ScratchSize: 0
; MemoryBound: 0
; FloatMode: 240
; IeeeMode: 1
; LDSByteSize: 0 bytes/workgroup (compile time only)
; SGPRBlocks: 3
; VGPRBlocks: 13
; NumSGPRsForWavesPerEU: 26
; NumVGPRsForWavesPerEU: 106
; AccumOffset: 108
; Occupancy: 4
; WaveLimiterHint : 1
; COMPUTE_PGM_RSRC2:SCRATCH_EN: 0
; COMPUTE_PGM_RSRC2:USER_SGPR: 2
; COMPUTE_PGM_RSRC2:TRAP_HANDLER: 0
; COMPUTE_PGM_RSRC2:TGID_X_EN: 1
; COMPUTE_PGM_RSRC2:TGID_Y_EN: 0
; COMPUTE_PGM_RSRC2:TGID_Z_EN: 0
; COMPUTE_PGM_RSRC2:TIDIG_COMP_CNT: 0
; COMPUTE_PGM_RSRC3_GFX90A:ACCUM_OFFSET: 26
; COMPUTE_PGM_RSRC3_GFX90A:TG_SPLIT: 0
	.section	.text._ZN9rocsparseL18bsrxmvn_4x4_kernelILj128ELj16E21rocsparse_complex_numIfEllS2_S2_S2_EEvT3_20rocsparse_direction_NS_24const_host_device_scalarIT1_EES3_PKS3_PKT2_SC_S9_PKT4_PKT5_S7_PT6_21rocsparse_index_base_b,"axG",@progbits,_ZN9rocsparseL18bsrxmvn_4x4_kernelILj128ELj16E21rocsparse_complex_numIfEllS2_S2_S2_EEvT3_20rocsparse_direction_NS_24const_host_device_scalarIT1_EES3_PKS3_PKT2_SC_S9_PKT4_PKT5_S7_PT6_21rocsparse_index_base_b,comdat
	.globl	_ZN9rocsparseL18bsrxmvn_4x4_kernelILj128ELj16E21rocsparse_complex_numIfEllS2_S2_S2_EEvT3_20rocsparse_direction_NS_24const_host_device_scalarIT1_EES3_PKS3_PKT2_SC_S9_PKT4_PKT5_S7_PT6_21rocsparse_index_base_b ; -- Begin function _ZN9rocsparseL18bsrxmvn_4x4_kernelILj128ELj16E21rocsparse_complex_numIfEllS2_S2_S2_EEvT3_20rocsparse_direction_NS_24const_host_device_scalarIT1_EES3_PKS3_PKT2_SC_S9_PKT4_PKT5_S7_PT6_21rocsparse_index_base_b
	.p2align	8
	.type	_ZN9rocsparseL18bsrxmvn_4x4_kernelILj128ELj16E21rocsparse_complex_numIfEllS2_S2_S2_EEvT3_20rocsparse_direction_NS_24const_host_device_scalarIT1_EES3_PKS3_PKT2_SC_S9_PKT4_PKT5_S7_PT6_21rocsparse_index_base_b,@function
_ZN9rocsparseL18bsrxmvn_4x4_kernelILj128ELj16E21rocsparse_complex_numIfEllS2_S2_S2_EEvT3_20rocsparse_direction_NS_24const_host_device_scalarIT1_EES3_PKS3_PKT2_SC_S9_PKT4_PKT5_S7_PT6_21rocsparse_index_base_b: ; @_ZN9rocsparseL18bsrxmvn_4x4_kernelILj128ELj16E21rocsparse_complex_numIfEllS2_S2_S2_EEvT3_20rocsparse_direction_NS_24const_host_device_scalarIT1_EES3_PKS3_PKT2_SC_S9_PKT4_PKT5_S7_PT6_21rocsparse_index_base_b
; %bb.0:
	s_load_dwordx4 s[8:11], s[0:1], 0x10
	s_load_dwordx2 s[12:13], s[0:1], 0x60
	s_add_u32 s3, s0, 16
	s_addc_u32 s6, s1, 0
	s_load_dwordx2 s[4:5], s[0:1], 0x50
	s_add_u32 s7, s0, 0x50
	s_addc_u32 s14, s1, 0
	s_waitcnt lgkmcnt(0)
	s_bitcmp1_b32 s13, 0
	s_cselect_b32 s3, s3, s8
	s_cselect_b32 s6, s6, s9
	v_mov_b32_e32 v2, s3
	s_cselect_b32 s3, s14, s5
	s_cselect_b32 s4, s7, s4
	v_mov_b32_e32 v3, s6
	v_mov_b32_e32 v4, s4
	;; [unrolled: 1-line block ×3, first 2 shown]
	flat_load_dwordx2 v[56:57], v[2:3]
	flat_load_dwordx2 v[58:59], v[4:5]
	s_waitcnt vmcnt(0) lgkmcnt(0)
	v_cmp_neq_f32_e32 vcc, 0, v56
	v_cmp_neq_f32_e64 s[4:5], 0, v57
	v_cmp_neq_f32_e64 s[8:9], 1.0, v58
	v_cmp_neq_f32_e64 s[6:7], 0, v59
	s_or_b64 s[4:5], vcc, s[4:5]
	s_or_b64 s[8:9], s[8:9], s[6:7]
	s_or_b64 s[4:5], s[4:5], s[8:9]
	s_and_saveexec_b64 s[8:9], s[4:5]
	s_cbranch_execz .LBB52_6
; %bb.1:
	s_load_dwordx2 s[4:5], s[0:1], 0x20
	v_lshrrev_b32_e32 v1, 4, v0
	v_lshl_or_b32 v2, s2, 3, v1
	v_mov_b32_e32 v3, 0
	s_mov_b64 s[2:3], 0
	s_waitcnt lgkmcnt(0)
	s_cmp_lg_u64 s[4:5], 0
	s_cbranch_scc0 .LBB52_7
; %bb.2:
	v_cmp_gt_i64_e32 vcc, s[10:11], v[2:3]
                                        ; implicit-def: $vgpr60_vgpr61
                                        ; implicit-def: $vgpr64_vgpr65
	s_and_saveexec_b64 s[8:9], vcc
	s_xor_b64 s[8:9], exec, s[8:9]
	s_cbranch_execz .LBB52_4
; %bb.3:
	v_lshl_add_u64 v[4:5], v[2:3], 3, s[4:5]
	global_load_dwordx2 v[4:5], v[4:5], off
	s_mov_b32 s13, 0
	s_mov_b64 s[2:3], exec
	v_mov_b64_e32 v[64:65], s[12:13]
	s_waitcnt vmcnt(0)
	v_subrev_co_u32_e32 v60, vcc, s12, v4
	s_nop 1
	v_subbrev_co_u32_e32 v61, vcc, 0, v5, vcc
.LBB52_4:
	s_or_b64 exec, exec, s[8:9]
.LBB52_5:
	s_and_b64 exec, exec, s[2:3]
	s_cbranch_execnz .LBB52_11
.LBB52_6:
	s_endpgm
.LBB52_7:
                                        ; implicit-def: $vgpr60_vgpr61
                                        ; implicit-def: $vgpr64_vgpr65
	s_cbranch_execz .LBB52_5
; %bb.8:
	s_load_dwordx2 s[4:5], s[0:1], 0x0
	s_waitcnt lgkmcnt(0)
	v_cmp_gt_i64_e32 vcc, s[4:5], v[2:3]
	s_and_saveexec_b64 s[4:5], vcc
; %bb.9:
	s_mov_b32 s13, 0
	s_or_b64 s[2:3], s[2:3], exec
; %bb.10:
	s_or_b64 exec, exec, s[4:5]
	v_mov_b64_e32 v[64:65], s[12:13]
	v_mov_b64_e32 v[60:61], v[2:3]
	s_and_b64 exec, exec, s[2:3]
	s_cbranch_execz .LBB52_6
.LBB52_11:
	s_load_dwordx8 s[8:15], s[0:1], 0x28
	v_lshlrev_b64 v[2:3], 3, v[60:61]
	v_and_b32_e32 v62, 15, v0
	v_mov_b32_e32 v63, 0
	s_waitcnt lgkmcnt(0)
	v_lshl_add_u64 v[4:5], s[8:9], 0, v[2:3]
	s_cmp_eq_u64 s[10:11], 0
	v_lshl_add_u64 v[2:3], s[10:11], 0, v[2:3]
	global_load_dwordx2 v[28:29], v[4:5], off
	v_lshl_add_u64 v[4:5], v[4:5], 0, 8
	s_cselect_b64 vcc, -1, 0
	v_cndmask_b32_e32 v3, v3, v5, vcc
	v_cndmask_b32_e32 v2, v2, v4, vcc
	global_load_dwordx2 v[2:3], v[2:3], off
	s_load_dword s4, s[0:1], 0x8
	s_load_dwordx2 s[2:3], s[0:1], 0x48
	s_waitcnt lgkmcnt(0)
	s_cmp_eq_u32 s4, 1
	s_waitcnt vmcnt(1)
	v_sub_co_u32_e32 v0, vcc, v28, v64
	s_nop 1
	v_subb_co_u32_e32 v1, vcc, v29, v65, vcc
	v_lshl_add_u64 v[66:67], v[0:1], 0, v[62:63]
	s_waitcnt vmcnt(0)
	v_sub_co_u32_e32 v68, vcc, v2, v64
	v_lshlrev_b64 v[0:1], 7, v[66:67]
	s_nop 0
	v_subb_co_u32_e32 v69, vcc, v3, v65, vcc
	v_lshl_add_u64 v[70:71], s[14:15], 0, v[0:1]
	v_cmp_lt_i64_e64 s[4:5], v[66:67], v[68:69]
	s_cbranch_scc1 .LBB52_23
; %bb.12:
	v_mov_b32_e32 v78, v63
	v_mov_b32_e32 v73, v63
	v_mov_b32_e32 v72, v63
	v_mov_b32_e32 v75, v63
	v_mov_b32_e32 v74, v63
	v_mov_b32_e32 v77, v63
	v_mov_b32_e32 v76, v63
	s_and_saveexec_b64 s[8:9], s[4:5]
	s_cbranch_execz .LBB52_22
; %bb.13:
	v_or_b32_e32 v0, 16, v62
	v_sub_co_u32_e32 v0, vcc, v0, v64
	v_not_b32_e32 v3, v29
	s_nop 0
	v_subb_co_u32_e32 v1, vcc, 0, v65, vcc
	v_lshl_add_u64 v[0:1], v[0:1], 0, v[28:29]
	v_cmp_gt_i64_e32 vcc, v[0:1], v[68:69]
	v_not_b32_e32 v2, v28
	v_mov_b32_e32 v77, 0
	v_cndmask_b32_e32 v1, v69, v1, vcc
	v_cndmask_b32_e32 v0, v68, v0, vcc
	v_sub_co_u32_e32 v4, vcc, v64, v62
	v_mov_b32_e32 v75, v77
	s_nop 0
	v_subbrev_co_u32_e32 v5, vcc, 0, v65, vcc
	v_lshl_add_u64 v[2:3], v[4:5], 0, v[2:3]
	v_lshl_add_u64 v[0:1], v[2:3], 0, v[0:1]
	v_and_b32_e32 v76, 48, v0
	v_cmp_ne_u64_e32 vcc, 48, v[76:77]
	v_mov_b32_e32 v76, v77
	v_mov_b32_e32 v74, v77
	;; [unrolled: 1-line block ×6, first 2 shown]
	v_mov_b64_e32 v[30:31], v[70:71]
	v_mov_b64_e32 v[32:33], v[66:67]
	s_and_saveexec_b64 s[10:11], vcc
	s_cbranch_execz .LBB52_17
; %bb.14:
	v_lshrrev_b32_e32 v2, 4, v0
	v_add_u32_e32 v2, 1, v2
	v_and_b32_e32 v4, 3, v2
	v_sub_co_u32_e32 v4, vcc, 0, v4
	v_mov_b32_e32 v76, 0
	s_nop 0
	v_subb_co_u32_e64 v5, s[16:17], 0, 0, vcc
	v_lshl_add_u64 v[2:3], v[66:67], 3, s[12:13]
	s_mov_b64 s[14:15], 0
	s_mov_b64 s[16:17], 0x800
	;; [unrolled: 1-line block ×3, first 2 shown]
	v_mov_b64_e32 v[32:33], v[66:67]
	v_mov_b64_e32 v[30:31], v[70:71]
	v_mov_b32_e32 v77, v76
	v_mov_b32_e32 v74, v76
	;; [unrolled: 1-line block ×7, first 2 shown]
.LBB52_15:                              ; =>This Inner Loop Header: Depth=1
	global_load_dwordx2 v[26:27], v[2:3], off
	global_load_dwordx4 v[6:9], v[30:31], off
	global_load_dwordx4 v[10:13], v[30:31], off offset:16
	global_load_dwordx4 v[14:17], v[30:31], off offset:32
	;; [unrolled: 1-line block ×7, first 2 shown]
	v_lshl_add_u64 v[4:5], v[4:5], 0, 1
	v_lshl_add_u64 v[30:31], v[30:31], 0, s[16:17]
	;; [unrolled: 1-line block ×4, first 2 shown]
	s_waitcnt vmcnt(8)
	v_sub_co_u32_e32 v26, vcc, v26, v64
	s_nop 1
	v_subb_co_u32_e32 v27, vcc, v27, v65, vcc
	v_lshlrev_b64 v[26:27], 5, v[26:27]
	v_lshl_add_u64 v[26:27], s[2:3], 0, v[26:27]
	global_load_dwordx4 v[46:49], v[26:27], off
	global_load_dwordx4 v[50:53], v[26:27], off offset:16
	s_waitcnt vmcnt(9)
	v_xor_b32_e32 v26, 0x80000000, v9
	v_mov_b32_e32 v27, v8
	s_waitcnt vmcnt(7)
	v_xor_b32_e32 v80, 0x80000000, v17
	v_mov_b32_e32 v81, v16
	;; [unrolled: 3-line block ×4, first 2 shown]
	v_cmp_eq_u64_e32 vcc, 0, v[4:5]
	v_xor_b32_e32 v54, 0x80000000, v13
	v_mov_b32_e32 v55, v12
	v_xor_b32_e32 v82, 0x80000000, v21
	v_mov_b32_e32 v83, v20
	;; [unrolled: 2-line block ×4, first 2 shown]
	s_or_b64 s[14:15], vcc, s[14:15]
	s_waitcnt vmcnt(1)
	v_pk_fma_f32 v[78:79], v[6:7], v[46:47], v[78:79] op_sel_hi:[1,0,1]
	v_pk_fma_f32 v[76:77], v[14:15], v[46:47], v[76:77] op_sel_hi:[1,0,1]
	;; [unrolled: 1-line block ×4, first 2 shown]
	v_pk_fma_f32 v[6:7], v[6:7], v[46:47], v[78:79] op_sel:[1,1,0] op_sel_hi:[0,1,1] neg_lo:[1,0,0]
	v_pk_fma_f32 v[14:15], v[14:15], v[46:47], v[76:77] op_sel:[1,1,0] op_sel_hi:[0,1,1] neg_lo:[1,0,0]
	;; [unrolled: 1-line block ×4, first 2 shown]
	v_mov_b32_e32 v92, v49
	v_pk_fma_f32 v[6:7], v[8:9], v[48:49], v[6:7] op_sel_hi:[1,0,1]
	v_pk_fma_f32 v[8:9], v[16:17], v[48:49], v[14:15] op_sel_hi:[1,0,1]
	;; [unrolled: 1-line block ×8, first 2 shown]
	s_waitcnt vmcnt(0)
	v_pk_fma_f32 v[6:7], v[10:11], v[50:51], v[6:7] op_sel_hi:[1,0,1]
	v_pk_fma_f32 v[8:9], v[18:19], v[50:51], v[8:9] op_sel_hi:[1,0,1]
	;; [unrolled: 1-line block ×4, first 2 shown]
	v_pk_fma_f32 v[6:7], v[10:11], v[50:51], v[6:7] op_sel:[1,1,0] op_sel_hi:[0,1,1] neg_lo:[1,0,0]
	v_pk_fma_f32 v[8:9], v[18:19], v[50:51], v[8:9] op_sel:[1,1,0] op_sel_hi:[0,1,1] neg_lo:[1,0,0]
	;; [unrolled: 1-line block ×4, first 2 shown]
	v_mov_b32_e32 v94, v53
	v_pk_fma_f32 v[6:7], v[12:13], v[52:53], v[6:7] op_sel_hi:[1,0,1]
	v_pk_fma_f32 v[8:9], v[20:21], v[52:53], v[8:9] op_sel_hi:[1,0,1]
	;; [unrolled: 1-line block ×8, first 2 shown]
	s_andn2_b64 exec, exec, s[14:15]
	s_cbranch_execnz .LBB52_15
; %bb.16:
	s_or_b64 exec, exec, s[14:15]
.LBB52_17:
	s_or_b64 exec, exec, s[10:11]
	v_cmp_lt_u64_e32 vcc, 47, v[0:1]
	s_and_saveexec_b64 s[10:11], vcc
	s_cbranch_execz .LBB52_21
; %bb.18:
	v_lshl_add_u64 v[0:1], v[32:33], 3, s[12:13]
	s_mov_b64 s[14:15], 0x100
	v_lshl_add_u64 v[34:35], v[0:1], 0, s[14:15]
	s_mov_b64 s[14:15], 0
	s_mov_b64 s[16:17], 0x1000
	s_movk_i32 s22, 0x1000
	s_mov_b64 s[18:19], 0x200
	s_mov_b64 s[20:21], 0x2000
.LBB52_19:                              ; =>This Inner Loop Header: Depth=1
	global_load_dwordx2 v[0:1], v[34:35], off offset:-256
	v_lshl_add_u64 v[32:33], v[32:33], 0, 64
	s_waitcnt vmcnt(0)
	v_sub_co_u32_e32 v0, vcc, v0, v64
	s_nop 1
	v_subb_co_u32_e32 v1, vcc, v1, v65, vcc
	v_lshlrev_b64 v[0:1], 5, v[0:1]
	v_lshl_add_u64 v[4:5], s[2:3], 0, v[0:1]
	global_load_dwordx4 v[0:3], v[4:5], off offset:16
	global_load_dwordx4 v[12:15], v[4:5], off
	global_load_dwordx2 v[6:7], v[34:35], off offset:-128
	s_waitcnt vmcnt(2)
	v_mov_b32_e32 v84, v3
	s_waitcnt vmcnt(1)
	v_mov_b32_e32 v82, v15
	s_waitcnt vmcnt(0)
	v_sub_co_u32_e32 v4, vcc, v6, v64
	s_nop 1
	v_subb_co_u32_e32 v5, vcc, v7, v65, vcc
	v_lshlrev_b64 v[4:5], 5, v[4:5]
	v_lshl_add_u64 v[40:41], s[2:3], 0, v[4:5]
	global_load_dwordx4 v[4:7], v[40:41], off offset:16
	global_load_dwordx4 v[8:11], v[40:41], off
	global_load_dwordx4 v[24:27], v[30:31], off offset:48
	global_load_dwordx4 v[36:39], v[30:31], off offset:32
	;; [unrolled: 1-line block ×3, first 2 shown]
	global_load_dwordx4 v[20:23], v[30:31], off
	s_waitcnt vmcnt(0)
	v_pk_fma_f32 v[40:41], v[20:21], v[12:13], v[78:79] op_sel_hi:[1,0,1]
	s_nop 0
	v_pk_fma_f32 v[20:21], v[20:21], v[12:13], v[40:41] op_sel:[1,1,0] op_sel_hi:[0,1,1] neg_lo:[1,0,0]
	v_xor_b32_e32 v40, 0x80000000, v23
	v_pk_fma_f32 v[20:21], v[22:23], v[14:15], v[20:21] op_sel_hi:[1,0,1]
	v_mov_b32_e32 v41, v22
	v_pk_fma_f32 v[20:21], v[40:41], v[82:83], v[20:21] op_sel_hi:[1,0,1]
	s_nop 0
	v_pk_fma_f32 v[20:21], v[16:17], v[0:1], v[20:21] op_sel_hi:[1,0,1]
	s_nop 0
	v_pk_fma_f32 v[16:17], v[16:17], v[0:1], v[20:21] op_sel:[1,1,0] op_sel_hi:[0,1,1] neg_lo:[1,0,0]
	v_xor_b32_e32 v20, 0x80000000, v19
	v_pk_fma_f32 v[16:17], v[18:19], v[2:3], v[16:17] op_sel_hi:[1,0,1]
	v_mov_b32_e32 v21, v18
	v_pk_fma_f32 v[48:49], v[20:21], v[84:85], v[16:17] op_sel_hi:[1,0,1]
	global_load_dwordx4 v[16:19], v[30:31], off offset:2096
	global_load_dwordx4 v[20:23], v[30:31], off offset:2080
	;; [unrolled: 1-line block ×4, first 2 shown]
	s_waitcnt vmcnt(0)
	v_pk_fma_f32 v[48:49], v[44:45], v[8:9], v[48:49] op_sel_hi:[1,0,1]
	s_nop 0
	v_pk_fma_f32 v[44:45], v[44:45], v[8:9], v[48:49] op_sel:[1,1,0] op_sel_hi:[0,1,1] neg_lo:[1,0,0]
	v_pk_fma_f32 v[48:49], v[36:37], v[12:13], v[76:77] op_sel_hi:[1,0,1]
	s_nop 0
	v_pk_fma_f32 v[36:37], v[36:37], v[12:13], v[48:49] op_sel:[1,1,0] op_sel_hi:[0,1,1] neg_lo:[1,0,0]
	v_xor_b32_e32 v48, 0x80000000, v39
	v_pk_fma_f32 v[36:37], v[38:39], v[14:15], v[36:37] op_sel_hi:[1,0,1]
	v_mov_b32_e32 v49, v38
	v_pk_fma_f32 v[36:37], v[48:49], v[82:83], v[36:37] op_sel_hi:[1,0,1]
	s_nop 0
	v_pk_fma_f32 v[36:37], v[24:25], v[0:1], v[36:37] op_sel_hi:[1,0,1]
	s_nop 0
	v_pk_fma_f32 v[24:25], v[24:25], v[0:1], v[36:37] op_sel:[1,1,0] op_sel_hi:[0,1,1] neg_lo:[1,0,0]
	v_xor_b32_e32 v36, 0x80000000, v27
	v_pk_fma_f32 v[24:25], v[26:27], v[2:3], v[24:25] op_sel_hi:[1,0,1]
	v_mov_b32_e32 v37, v26
	v_pk_fma_f32 v[24:25], v[36:37], v[84:85], v[24:25] op_sel_hi:[1,0,1]
	s_nop 0
	v_pk_fma_f32 v[24:25], v[20:21], v[8:9], v[24:25] op_sel_hi:[1,0,1]
	s_nop 0
	v_pk_fma_f32 v[20:21], v[20:21], v[8:9], v[24:25] op_sel:[1,1,0] op_sel_hi:[0,1,1] neg_lo:[1,0,0]
	global_load_dwordx4 v[24:27], v[30:31], off offset:112
	global_load_dwordx4 v[36:39], v[30:31], off offset:96
	;; [unrolled: 1-line block ×4, first 2 shown]
	v_pk_fma_f32 v[20:21], v[22:23], v[10:11], v[20:21] op_sel_hi:[1,0,1]
	s_waitcnt vmcnt(2)
	v_pk_fma_f32 v[72:73], v[36:37], v[12:13], v[72:73] op_sel_hi:[1,0,1]
	s_waitcnt vmcnt(0)
	v_pk_fma_f32 v[74:75], v[52:53], v[12:13], v[74:75] op_sel_hi:[1,0,1]
	s_nop 0
	v_pk_fma_f32 v[52:53], v[52:53], v[12:13], v[74:75] op_sel:[1,1,0] op_sel_hi:[0,1,1] neg_lo:[1,0,0]
	v_xor_b32_e32 v74, 0x80000000, v55
	v_pk_fma_f32 v[52:53], v[54:55], v[14:15], v[52:53] op_sel_hi:[1,0,1]
	v_mov_b32_e32 v75, v54
	v_pk_fma_f32 v[52:53], v[74:75], v[82:83], v[52:53] op_sel_hi:[1,0,1]
	v_pk_fma_f32 v[12:13], v[36:37], v[12:13], v[72:73] op_sel:[1,1,0] op_sel_hi:[0,1,1] neg_lo:[1,0,0]
	v_pk_fma_f32 v[52:53], v[48:49], v[0:1], v[52:53] op_sel_hi:[1,0,1]
	v_xor_b32_e32 v36, 0x80000000, v39
	v_pk_fma_f32 v[48:49], v[48:49], v[0:1], v[52:53] op_sel:[1,1,0] op_sel_hi:[0,1,1] neg_lo:[1,0,0]
	v_xor_b32_e32 v52, 0x80000000, v51
	v_pk_fma_f32 v[48:49], v[50:51], v[2:3], v[48:49] op_sel_hi:[1,0,1]
	v_mov_b32_e32 v53, v50
	v_pk_fma_f32 v[86:87], v[52:53], v[84:85], v[48:49] op_sel_hi:[1,0,1]
	global_load_dwordx4 v[48:51], v[30:31], off offset:2160
	global_load_dwordx4 v[52:55], v[30:31], off offset:2144
	;; [unrolled: 1-line block ×4, first 2 shown]
	v_pk_fma_f32 v[12:13], v[38:39], v[14:15], v[12:13] op_sel_hi:[1,0,1]
	v_mov_b32_e32 v37, v38
	v_pk_fma_f32 v[12:13], v[36:37], v[82:83], v[12:13] op_sel_hi:[1,0,1]
	v_mov_b32_e32 v72, v11
	v_pk_fma_f32 v[12:13], v[24:25], v[0:1], v[12:13] op_sel_hi:[1,0,1]
	s_waitcnt vmcnt(0)
	v_pk_fma_f32 v[86:87], v[78:79], v[8:9], v[86:87] op_sel_hi:[1,0,1]
	v_pk_fma_f32 v[0:1], v[24:25], v[0:1], v[12:13] op_sel:[1,1,0] op_sel_hi:[0,1,1] neg_lo:[1,0,0]
	v_xor_b32_e32 v12, 0x80000000, v27
	v_pk_fma_f32 v[0:1], v[26:27], v[2:3], v[0:1] op_sel_hi:[1,0,1]
	v_mov_b32_e32 v13, v26
	v_pk_fma_f32 v[0:1], v[12:13], v[84:85], v[0:1] op_sel_hi:[1,0,1]
	v_pk_fma_f32 v[78:79], v[78:79], v[8:9], v[86:87] op_sel:[1,1,0] op_sel_hi:[0,1,1] neg_lo:[1,0,0]
	v_pk_fma_f32 v[0:1], v[52:53], v[8:9], v[0:1] op_sel_hi:[1,0,1]
	v_pk_fma_f32 v[12:13], v[46:47], v[10:11], v[44:45] op_sel_hi:[1,0,1]
	v_pk_fma_f32 v[52:53], v[52:53], v[8:9], v[0:1] op_sel:[1,1,0] op_sel_hi:[0,1,1] neg_lo:[1,0,0]
	global_load_dwordx2 v[0:1], v[34:35], off
	v_mov_b32_e32 v86, v7
	s_waitcnt vmcnt(0)
	v_sub_co_u32_e32 v0, vcc, v0, v64
	s_nop 1
	v_subb_co_u32_e32 v1, vcc, v1, v65, vcc
	v_lshlrev_b64 v[0:1], 5, v[0:1]
	v_lshl_add_u64 v[8:9], s[2:3], 0, v[0:1]
	global_load_dwordx4 v[0:3], v[8:9], off offset:16
	global_load_dwordx4 v[82:85], v[8:9], off
	v_xor_b32_e32 v8, 0x80000000, v47
	v_mov_b32_e32 v9, v46
	v_pk_fma_f32 v[8:9], v[8:9], v[72:73], v[12:13] op_sel_hi:[1,0,1]
	v_add_co_u32_e32 v46, vcc, s22, v30
	v_pk_fma_f32 v[8:9], v[40:41], v[4:5], v[8:9] op_sel_hi:[1,0,1]
	v_xor_b32_e32 v12, 0x80000000, v43
	v_pk_fma_f32 v[8:9], v[40:41], v[4:5], v[8:9] op_sel:[1,1,0] op_sel_hi:[0,1,1] neg_lo:[1,0,0]
	v_pk_fma_f32 v[8:9], v[42:43], v[6:7], v[8:9] op_sel_hi:[1,0,1]
	v_mov_b32_e32 v13, v42
	v_addc_co_u32_e32 v47, vcc, 0, v31, vcc
	v_pk_fma_f32 v[44:45], v[12:13], v[86:87], v[8:9] op_sel_hi:[1,0,1]
	v_lshl_add_u64 v[8:9], v[30:31], 0, s[16:17]
	global_load_dwordx4 v[36:39], v[46:47], off
	global_load_dwordx4 v[12:15], v[8:9], off offset:48
	global_load_dwordx4 v[40:43], v[8:9], off offset:32
	;; [unrolled: 1-line block ×3, first 2 shown]
	v_lshl_add_u64 v[30:31], v[30:31], 0, s[20:21]
	s_waitcnt vmcnt(4)
	v_mov_b32_e32 v88, v85
	s_waitcnt vmcnt(3)
	v_pk_fma_f32 v[44:45], v[36:37], v[82:83], v[44:45] op_sel_hi:[1,0,1]
	s_nop 0
	v_pk_fma_f32 v[36:37], v[36:37], v[82:83], v[44:45] op_sel:[1,1,0] op_sel_hi:[0,1,1] neg_lo:[1,0,0]
	v_xor_b32_e32 v44, 0x80000000, v39
	v_pk_fma_f32 v[36:37], v[38:39], v[84:85], v[36:37] op_sel_hi:[1,0,1]
	v_mov_b32_e32 v45, v38
	v_pk_fma_f32 v[36:37], v[44:45], v[88:89], v[36:37] op_sel_hi:[1,0,1]
	s_waitcnt vmcnt(0)
	v_xor_b32_e32 v90, 0x80000000, v25
	v_pk_fma_f32 v[92:93], v[24:25], v[0:1], v[36:37] op_sel_hi:[1,0,1]
	v_xor_b32_e32 v36, 0x80000000, v23
	v_mov_b32_e32 v37, v22
	v_pk_fma_f32 v[20:21], v[36:37], v[72:73], v[20:21] op_sel_hi:[1,0,1]
	v_mov_b32_e32 v91, v24
	v_pk_fma_f32 v[20:21], v[16:17], v[4:5], v[20:21] op_sel_hi:[1,0,1]
	v_xor_b32_e32 v24, 0x80000000, v27
	v_pk_fma_f32 v[16:17], v[16:17], v[4:5], v[20:21] op_sel:[1,1,0] op_sel_hi:[0,1,1] neg_lo:[1,0,0]
	v_xor_b32_e32 v20, 0x80000000, v19
	v_pk_fma_f32 v[16:17], v[18:19], v[6:7], v[16:17] op_sel_hi:[1,0,1]
	v_mov_b32_e32 v21, v18
	v_pk_fma_f32 v[16:17], v[20:21], v[86:87], v[16:17] op_sel_hi:[1,0,1]
	v_xor_b32_e32 v18, 0x80000000, v43
	v_pk_fma_f32 v[16:17], v[40:41], v[82:83], v[16:17] op_sel_hi:[1,0,1]
	v_mov_b32_e32 v19, v42
	v_pk_fma_f32 v[16:17], v[40:41], v[82:83], v[16:17] op_sel:[1,1,0] op_sel_hi:[0,1,1] neg_lo:[1,0,0]
	v_pk_fma_f32 v[16:17], v[42:43], v[84:85], v[16:17] op_sel_hi:[1,0,1]
	v_mov_b32_e32 v25, v26
	v_pk_fma_f32 v[16:17], v[18:19], v[88:89], v[16:17] op_sel_hi:[1,0,1]
	v_pk_fma_f32 v[18:19], v[80:81], v[10:11], v[78:79] op_sel_hi:[1,0,1]
	;; [unrolled: 1-line block ×3, first 2 shown]
	v_xor_b32_e32 v16, 0x80000000, v81
	v_mov_b32_e32 v17, v80
	v_pk_fma_f32 v[16:17], v[16:17], v[72:73], v[18:19] op_sel_hi:[1,0,1]
	v_xor_b32_e32 v18, 0x80000000, v77
	v_pk_fma_f32 v[16:17], v[74:75], v[4:5], v[16:17] op_sel_hi:[1,0,1]
	v_mov_b32_e32 v19, v76
	v_pk_fma_f32 v[16:17], v[74:75], v[4:5], v[16:17] op_sel:[1,1,0] op_sel_hi:[0,1,1] neg_lo:[1,0,0]
	v_pk_fma_f32 v[16:17], v[76:77], v[6:7], v[16:17] op_sel_hi:[1,0,1]
	v_pk_fma_f32 v[10:11], v[54:55], v[10:11], v[52:53] op_sel_hi:[1,0,1]
	;; [unrolled: 1-line block ×3, first 2 shown]
	global_load_dwordx4 v[16:19], v[8:9], off offset:112
	global_load_dwordx4 v[40:43], v[8:9], off offset:96
	;; [unrolled: 1-line block ×4, first 2 shown]
	v_xor_b32_e32 v36, 0x80000000, v13
	v_mov_b32_e32 v37, v12
	v_xor_b32_e32 v12, 0x80000000, v15
	v_mov_b32_e32 v13, v14
	s_waitcnt vmcnt(1)
	v_xor_b32_e32 v80, 0x80000000, v21
	s_waitcnt vmcnt(0)
	v_pk_fma_f32 v[74:75], v[44:45], v[82:83], v[74:75] op_sel_hi:[1,0,1]
	v_mov_b32_e32 v81, v20
	v_pk_fma_f32 v[44:45], v[44:45], v[82:83], v[74:75] op_sel:[1,1,0] op_sel_hi:[0,1,1] neg_lo:[1,0,0]
	v_xor_b32_e32 v74, 0x80000000, v47
	v_pk_fma_f32 v[44:45], v[46:47], v[84:85], v[44:45] op_sel_hi:[1,0,1]
	v_mov_b32_e32 v75, v46
	v_pk_fma_f32 v[44:45], v[74:75], v[88:89], v[44:45] op_sel_hi:[1,0,1]
	s_nop 0
	v_pk_fma_f32 v[94:95], v[20:21], v[0:1], v[44:45] op_sel_hi:[1,0,1]
	v_xor_b32_e32 v44, 0x80000000, v55
	v_mov_b32_e32 v45, v54
	v_pk_fma_f32 v[10:11], v[44:45], v[72:73], v[10:11] op_sel_hi:[1,0,1]
	s_nop 0
	v_pk_fma_f32 v[10:11], v[48:49], v[4:5], v[10:11] op_sel_hi:[1,0,1]
	s_nop 0
	v_pk_fma_f32 v[4:5], v[48:49], v[4:5], v[10:11] op_sel:[1,1,0] op_sel_hi:[0,1,1] neg_lo:[1,0,0]
	v_xor_b32_e32 v10, 0x80000000, v51
	v_pk_fma_f32 v[4:5], v[50:51], v[6:7], v[4:5] op_sel_hi:[1,0,1]
	v_mov_b32_e32 v11, v50
	v_pk_fma_f32 v[4:5], v[10:11], v[86:87], v[4:5] op_sel_hi:[1,0,1]
	global_load_dwordx2 v[10:11], v[34:35], off offset:128
	v_pk_fma_f32 v[4:5], v[40:41], v[82:83], v[4:5] op_sel_hi:[1,0,1]
	v_xor_b32_e32 v6, 0x80000000, v43
	v_pk_fma_f32 v[4:5], v[40:41], v[82:83], v[4:5] op_sel:[1,1,0] op_sel_hi:[0,1,1] neg_lo:[1,0,0]
	v_pk_fma_f32 v[4:5], v[42:43], v[84:85], v[4:5] op_sel_hi:[1,0,1]
	v_mov_b32_e32 v7, v42
	v_mov_b32_e32 v82, v3
	v_pk_fma_f32 v[6:7], v[6:7], v[88:89], v[4:5] op_sel_hi:[1,0,1]
	v_xor_b32_e32 v4, 0x80000000, v17
	v_pk_fma_f32 v[6:7], v[16:17], v[0:1], v[6:7] op_sel_hi:[1,0,1]
	v_mov_b32_e32 v5, v16
	v_lshl_add_u64 v[34:35], v[34:35], 0, s[18:19]
	s_waitcnt vmcnt(0)
	v_sub_co_u32_e32 v10, vcc, v10, v64
	s_nop 1
	v_subb_co_u32_e32 v11, vcc, v11, v65, vcc
	v_lshlrev_b64 v[10:11], 5, v[10:11]
	v_lshl_add_u64 v[10:11], s[2:3], 0, v[10:11]
	global_load_dwordx4 v[40:43], v[10:11], off offset:16
	global_load_dwordx4 v[44:47], v[10:11], off
	v_pk_fma_f32 v[10:11], v[90:91], v[0:1], v[92:93] op_sel:[0,1,0]
	v_cmp_ge_i64_e32 vcc, v[32:33], v[68:69]
	v_pk_fma_f32 v[10:11], v[26:27], v[2:3], v[10:11] op_sel_hi:[1,0,1]
	s_or_b64 s[14:15], vcc, s[14:15]
	v_pk_fma_f32 v[10:11], v[24:25], v[82:83], v[10:11] op_sel_hi:[1,0,1]
	global_load_dwordx4 v[24:27], v[8:9], off offset:2096
	global_load_dwordx4 v[48:51], v[8:9], off offset:2080
	;; [unrolled: 1-line block ×4, first 2 shown]
	s_waitcnt vmcnt(4)
	v_mov_b32_e32 v84, v47
	s_waitcnt vmcnt(0)
	v_pk_fma_f32 v[10:11], v[72:73], v[44:45], v[10:11] op_sel_hi:[1,0,1]
	s_nop 0
	v_pk_fma_f32 v[10:11], v[72:73], v[44:45], v[10:11] op_sel:[1,1,0] op_sel_hi:[0,1,1] neg_lo:[1,0,0]
	v_xor_b32_e32 v72, 0x80000000, v75
	v_pk_fma_f32 v[10:11], v[74:75], v[46:47], v[10:11] op_sel_hi:[1,0,1]
	v_mov_b32_e32 v73, v74
	v_pk_fma_f32 v[10:11], v[72:73], v[84:85], v[10:11] op_sel_hi:[1,0,1]
	s_nop 0
	v_pk_fma_f32 v[10:11], v[52:53], v[40:41], v[10:11] op_sel_hi:[1,0,1]
	s_nop 0
	v_pk_fma_f32 v[10:11], v[52:53], v[40:41], v[10:11] op_sel:[1,1,0] op_sel_hi:[0,1,1] neg_lo:[1,0,0]
	v_xor_b32_e32 v52, 0x80000000, v55
	v_pk_fma_f32 v[10:11], v[54:55], v[42:43], v[10:11] op_sel_hi:[1,0,1]
	v_mov_b32_e32 v53, v54
	v_mov_b32_e32 v54, v43
	v_pk_fma_f32 v[78:79], v[52:53], v[54:55], v[10:11] op_sel_hi:[1,0,1]
	v_pk_fma_f32 v[10:11], v[36:37], v[0:1], v[38:39] op_sel:[0,1,0]
	s_nop 0
	v_pk_fma_f32 v[10:11], v[14:15], v[2:3], v[10:11] op_sel_hi:[1,0,1]
	s_nop 0
	v_pk_fma_f32 v[10:11], v[12:13], v[82:83], v[10:11] op_sel_hi:[1,0,1]
	v_xor_b32_e32 v12, 0x80000000, v51
	v_pk_fma_f32 v[10:11], v[48:49], v[44:45], v[10:11] op_sel_hi:[1,0,1]
	v_mov_b32_e32 v13, v50
	v_pk_fma_f32 v[10:11], v[48:49], v[44:45], v[10:11] op_sel:[1,1,0] op_sel_hi:[0,1,1] neg_lo:[1,0,0]
	v_pk_fma_f32 v[10:11], v[50:51], v[46:47], v[10:11] op_sel_hi:[1,0,1]
	s_nop 0
	v_pk_fma_f32 v[10:11], v[12:13], v[84:85], v[10:11] op_sel_hi:[1,0,1]
	v_xor_b32_e32 v12, 0x80000000, v27
	v_pk_fma_f32 v[10:11], v[24:25], v[40:41], v[10:11] op_sel_hi:[1,0,1]
	v_mov_b32_e32 v13, v26
	v_pk_fma_f32 v[10:11], v[24:25], v[40:41], v[10:11] op_sel:[1,1,0] op_sel_hi:[0,1,1] neg_lo:[1,0,0]
	v_pk_fma_f32 v[10:11], v[26:27], v[42:43], v[10:11] op_sel_hi:[1,0,1]
	s_nop 0
	v_pk_fma_f32 v[76:77], v[12:13], v[54:55], v[10:11] op_sel_hi:[1,0,1]
	v_pk_fma_f32 v[10:11], v[80:81], v[0:1], v[94:95] op_sel:[0,1,0]
	v_xor_b32_e32 v12, 0x80000000, v23
	v_pk_fma_f32 v[10:11], v[22:23], v[2:3], v[10:11] op_sel_hi:[1,0,1]
	v_mov_b32_e32 v13, v22
	v_pk_fma_f32 v[14:15], v[12:13], v[82:83], v[10:11] op_sel_hi:[1,0,1]
	global_load_dwordx4 v[10:13], v[8:9], off offset:2160
	global_load_dwordx4 v[20:23], v[8:9], off offset:2144
	;; [unrolled: 1-line block ×4, first 2 shown]
	v_pk_fma_f32 v[0:1], v[4:5], v[0:1], v[6:7] op_sel:[0,1,0]
	v_xor_b32_e32 v4, 0x80000000, v19
	v_pk_fma_f32 v[0:1], v[18:19], v[2:3], v[0:1] op_sel_hi:[1,0,1]
	v_mov_b32_e32 v5, v18
	v_pk_fma_f32 v[0:1], v[4:5], v[82:83], v[0:1] op_sel_hi:[1,0,1]
	s_waitcnt vmcnt(2)
	v_xor_b32_e32 v2, 0x80000000, v23
	v_pk_fma_f32 v[0:1], v[20:21], v[44:45], v[0:1] op_sel_hi:[1,0,1]
	s_waitcnt vmcnt(0)
	v_pk_fma_f32 v[8:9], v[36:37], v[44:45], v[14:15] op_sel_hi:[1,0,1]
	v_pk_fma_f32 v[0:1], v[20:21], v[44:45], v[0:1] op_sel:[1,1,0] op_sel_hi:[0,1,1] neg_lo:[1,0,0]
	v_pk_fma_f32 v[8:9], v[36:37], v[44:45], v[8:9] op_sel:[1,1,0] op_sel_hi:[0,1,1] neg_lo:[1,0,0]
	v_xor_b32_e32 v14, 0x80000000, v39
	v_pk_fma_f32 v[8:9], v[38:39], v[46:47], v[8:9] op_sel_hi:[1,0,1]
	v_mov_b32_e32 v15, v38
	v_pk_fma_f32 v[0:1], v[22:23], v[46:47], v[0:1] op_sel_hi:[1,0,1]
	v_mov_b32_e32 v3, v22
	v_pk_fma_f32 v[8:9], v[14:15], v[84:85], v[8:9] op_sel_hi:[1,0,1]
	v_pk_fma_f32 v[0:1], v[2:3], v[84:85], v[0:1] op_sel_hi:[1,0,1]
	;; [unrolled: 1-line block ×4, first 2 shown]
	v_pk_fma_f32 v[8:9], v[24:25], v[40:41], v[8:9] op_sel:[1,1,0] op_sel_hi:[0,1,1] neg_lo:[1,0,0]
	v_pk_fma_f32 v[0:1], v[10:11], v[40:41], v[0:1] op_sel:[1,1,0] op_sel_hi:[0,1,1] neg_lo:[1,0,0]
	v_xor_b32_e32 v14, 0x80000000, v27
	v_pk_fma_f32 v[8:9], v[26:27], v[42:43], v[8:9] op_sel_hi:[1,0,1]
	v_mov_b32_e32 v15, v26
	v_xor_b32_e32 v2, 0x80000000, v13
	v_pk_fma_f32 v[0:1], v[12:13], v[42:43], v[0:1] op_sel_hi:[1,0,1]
	v_mov_b32_e32 v3, v12
	v_pk_fma_f32 v[74:75], v[14:15], v[54:55], v[8:9] op_sel_hi:[1,0,1]
	v_pk_fma_f32 v[72:73], v[2:3], v[54:55], v[0:1] op_sel_hi:[1,0,1]
	s_andn2_b64 exec, exec, s[14:15]
	s_cbranch_execnz .LBB52_19
; %bb.20:
	s_or_b64 exec, exec, s[14:15]
.LBB52_21:
	s_or_b64 exec, exec, s[10:11]
	v_mov_b32_e32 v63, v79
.LBB52_22:
	s_or_b64 exec, exec, s[8:9]
	s_cbranch_execz .LBB52_24
	s_branch .LBB52_35
.LBB52_23:
                                        ; implicit-def: $vgpr78
                                        ; implicit-def: $vgpr73
                                        ; implicit-def: $vgpr75
                                        ; implicit-def: $vgpr77
.LBB52_24:
	v_mov_b32_e32 v63, 0
	v_mov_b32_e32 v78, 0
	v_mov_b32_e32 v73, 0
	v_mov_b32_e32 v72, 0
	v_mov_b32_e32 v75, 0
	v_mov_b32_e32 v74, 0
	v_mov_b32_e32 v77, 0
	v_mov_b32_e32 v76, 0
	s_and_saveexec_b64 s[8:9], s[4:5]
	s_cbranch_execz .LBB52_34
; %bb.25:
	v_or_b32_e32 v0, 16, v62
	v_sub_co_u32_e32 v0, vcc, v0, v64
	v_not_b32_e32 v3, v29
	s_nop 0
	v_subb_co_u32_e32 v1, vcc, 0, v65, vcc
	v_lshl_add_u64 v[0:1], v[0:1], 0, v[28:29]
	v_cmp_gt_i64_e32 vcc, v[0:1], v[68:69]
	v_not_b32_e32 v2, v28
	v_mov_b32_e32 v77, 0
	v_cndmask_b32_e32 v1, v69, v1, vcc
	v_cndmask_b32_e32 v0, v68, v0, vcc
	v_sub_co_u32_e32 v4, vcc, v64, v62
	v_mov_b32_e32 v75, v77
	s_nop 0
	v_subbrev_co_u32_e32 v5, vcc, 0, v65, vcc
	v_lshl_add_u64 v[2:3], v[4:5], 0, v[2:3]
	v_lshl_add_u64 v[0:1], v[2:3], 0, v[0:1]
	v_and_b32_e32 v76, 48, v0
	v_cmp_ne_u64_e32 vcc, 48, v[76:77]
	v_mov_b32_e32 v76, v77
	v_mov_b32_e32 v74, v77
	;; [unrolled: 1-line block ×6, first 2 shown]
	s_and_saveexec_b64 s[4:5], vcc
	s_cbranch_execz .LBB52_29
; %bb.26:
	v_lshrrev_b32_e32 v2, 4, v0
	v_add_u32_e32 v2, 1, v2
	v_and_b32_e32 v4, 3, v2
	v_sub_co_u32_e32 v4, vcc, 0, v4
	v_mov_b32_e32 v76, 0
	s_nop 0
	v_subb_co_u32_e64 v5, s[14:15], 0, 0, vcc
	v_lshl_add_u64 v[2:3], v[66:67], 3, s[12:13]
	s_mov_b64 s[10:11], 0
	s_mov_b64 s[14:15], 0x800
	;; [unrolled: 1-line block ×3, first 2 shown]
	v_mov_b32_e32 v77, v76
	v_mov_b32_e32 v74, v76
	;; [unrolled: 1-line block ×7, first 2 shown]
.LBB52_27:                              ; =>This Inner Loop Header: Depth=1
	global_load_dwordx2 v[34:35], v[2:3], off
	global_load_dwordx4 v[6:9], v[70:71], off offset:16
	global_load_dwordx4 v[10:13], v[70:71], off
	global_load_dwordx4 v[14:17], v[70:71], off offset:48
	global_load_dwordx4 v[18:21], v[70:71], off offset:32
	;; [unrolled: 1-line block ×5, first 2 shown]
	v_lshl_add_u64 v[4:5], v[4:5], 0, 1
	v_lshl_add_u64 v[66:67], v[66:67], 0, 16
	v_lshl_add_u64 v[2:3], v[2:3], 0, s[16:17]
	s_waitcnt vmcnt(7)
	v_sub_co_u32_e32 v34, vcc, v34, v64
	s_nop 1
	v_subb_co_u32_e32 v35, vcc, v35, v65, vcc
	v_lshlrev_b64 v[34:35], 5, v[34:35]
	v_lshl_add_u64 v[46:47], s[2:3], 0, v[34:35]
	global_load_dwordx4 v[34:37], v[46:47], off offset:16
	global_load_dwordx4 v[38:41], v[46:47], off
	global_load_dwordx4 v[42:45], v[70:71], off offset:112
	s_waitcnt vmcnt(8)
	v_xor_b32_e32 v46, 0x80000000, v13
	v_mov_b32_e32 v47, v12
	v_xor_b32_e32 v54, 0x80000000, v9
	v_mov_b32_e32 v55, v8
	s_waitcnt vmcnt(6)
	v_xor_b32_e32 v48, 0x80000000, v21
	v_mov_b32_e32 v49, v20
	v_xor_b32_e32 v80, 0x80000000, v17
	v_mov_b32_e32 v81, v16
	;; [unrolled: 5-line block ×3, first 2 shown]
	v_cmp_eq_u64_e32 vcc, 0, v[4:5]
	s_waitcnt vmcnt(3)
	v_xor_b32_e32 v52, 0x80000000, v33
	v_mov_b32_e32 v53, v32
	v_lshl_add_u64 v[70:71], v[70:71], 0, s[14:15]
	s_or_b64 s[10:11], vcc, s[10:11]
	s_waitcnt vmcnt(2)
	v_mov_b32_e32 v88, v37
	s_waitcnt vmcnt(1)
	v_pk_fma_f32 v[78:79], v[10:11], v[38:39], v[78:79] op_sel_hi:[1,0,1]
	v_pk_fma_f32 v[12:13], v[12:13], v[38:39], v[76:77] op_sel_hi:[1,0,1]
	;; [unrolled: 1-line block ×4, first 2 shown]
	v_pk_fma_f32 v[10:11], v[10:11], v[38:39], v[78:79] op_sel:[1,1,0] op_sel_hi:[0,1,1] neg_lo:[1,0,0]
	v_pk_fma_f32 v[12:13], v[46:47], v[38:39], v[12:13] op_sel:[0,1,0]
	v_pk_fma_f32 v[6:7], v[6:7], v[38:39], v[74:75] op_sel:[1,1,0] op_sel_hi:[0,1,1] neg_lo:[1,0,0]
	v_pk_fma_f32 v[8:9], v[54:55], v[38:39], v[8:9] op_sel:[0,1,0]
	v_mov_b32_e32 v86, v41
	v_pk_fma_f32 v[10:11], v[18:19], v[40:41], v[10:11] op_sel_hi:[1,0,1]
	v_pk_fma_f32 v[12:13], v[20:21], v[40:41], v[12:13] op_sel_hi:[1,0,1]
	;; [unrolled: 1-line block ×4, first 2 shown]
	v_pk_fma_f32 v[10:11], v[18:19], v[86:87], v[10:11] op_sel:[1,0,0] op_sel_hi:[0,0,1] neg_lo:[1,0,0]
	v_pk_fma_f32 v[12:13], v[48:49], v[86:87], v[12:13] op_sel_hi:[1,0,1]
	v_pk_fma_f32 v[6:7], v[14:15], v[86:87], v[6:7] op_sel:[1,0,0] op_sel_hi:[0,0,1] neg_lo:[1,0,0]
	v_pk_fma_f32 v[8:9], v[80:81], v[86:87], v[8:9] op_sel_hi:[1,0,1]
	v_pk_fma_f32 v[10:11], v[26:27], v[34:35], v[10:11] op_sel_hi:[1,0,1]
	;; [unrolled: 1-line block ×5, first 2 shown]
	v_pk_fma_f32 v[10:11], v[26:27], v[34:35], v[10:11] op_sel:[1,1,0] op_sel_hi:[0,1,1] neg_lo:[1,0,0]
	v_pk_fma_f32 v[12:13], v[50:51], v[34:35], v[12:13] op_sel:[0,1,0]
	v_pk_fma_f32 v[6:7], v[22:23], v[34:35], v[6:7] op_sel:[1,1,0] op_sel_hi:[0,1,1] neg_lo:[1,0,0]
	v_pk_fma_f32 v[8:9], v[82:83], v[34:35], v[8:9] op_sel:[0,1,0]
	s_waitcnt vmcnt(0)
	v_xor_b32_e32 v84, 0x80000000, v45
	v_mov_b32_e32 v85, v44
	v_pk_fma_f32 v[10:11], v[30:31], v[36:37], v[10:11] op_sel_hi:[1,0,1]
	v_pk_fma_f32 v[12:13], v[32:33], v[36:37], v[12:13] op_sel_hi:[1,0,1]
	v_pk_fma_f32 v[6:7], v[42:43], v[36:37], v[6:7] op_sel_hi:[1,0,1]
	v_pk_fma_f32 v[8:9], v[44:45], v[36:37], v[8:9] op_sel_hi:[1,0,1]
	v_pk_fma_f32 v[78:79], v[30:31], v[88:89], v[10:11] op_sel:[1,0,0] op_sel_hi:[0,0,1] neg_lo:[1,0,0]
	v_pk_fma_f32 v[76:77], v[52:53], v[88:89], v[12:13] op_sel_hi:[1,0,1]
	v_pk_fma_f32 v[74:75], v[42:43], v[88:89], v[6:7] op_sel:[1,0,0] op_sel_hi:[0,0,1] neg_lo:[1,0,0]
	v_pk_fma_f32 v[72:73], v[84:85], v[88:89], v[8:9] op_sel_hi:[1,0,1]
	s_andn2_b64 exec, exec, s[10:11]
	s_cbranch_execnz .LBB52_27
; %bb.28:
	s_or_b64 exec, exec, s[10:11]
.LBB52_29:
	s_or_b64 exec, exec, s[4:5]
	v_cmp_lt_u64_e32 vcc, 47, v[0:1]
	s_and_saveexec_b64 s[4:5], vcc
	s_cbranch_execz .LBB52_33
; %bb.30:
	v_lshl_add_u64 v[0:1], v[66:67], 3, s[12:13]
	s_mov_b64 s[10:11], 0x100
	v_lshl_add_u64 v[80:81], v[0:1], 0, s[10:11]
	s_mov_b64 s[10:11], 0
	s_mov_b64 s[12:13], 0x1000
	s_movk_i32 s18, 0x1000
	s_mov_b64 s[14:15], 0x200
	s_mov_b64 s[16:17], 0x2000
.LBB52_31:                              ; =>This Inner Loop Header: Depth=1
	global_load_dwordx4 v[52:55], v[70:71], off
	global_load_dwordx2 v[88:89], v[80:81], off offset:-256
	global_load_dwordx4 v[48:51], v[70:71], off offset:16
	global_load_dwordx4 v[36:39], v[70:71], off offset:48
	;; [unrolled: 1-line block ×13, first 2 shown]
	global_load_dwordx2 v[86:87], v[80:81], off offset:-128
	global_load_dwordx2 v[84:85], v[80:81], off
	global_load_dwordx2 v[82:83], v[80:81], off offset:128
	v_lshl_add_u64 v[66:67], v[66:67], 0, 64
	v_lshl_add_u64 v[80:81], v[80:81], 0, s[14:15]
	s_waitcnt vmcnt(17)
	v_xor_b32_e32 v96, 0x80000000, v55
	s_waitcnt vmcnt(16)
	v_sub_co_u32_e32 v88, vcc, v88, v64
	v_mov_b32_e32 v97, v54
	s_nop 0
	v_subb_co_u32_e32 v89, vcc, v89, v65, vcc
	v_lshlrev_b64 v[88:89], 5, v[88:89]
	v_lshl_add_u64 v[98:99], s[2:3], 0, v[88:89]
	global_load_dwordx4 v[88:91], v[98:99], off
	global_load_dwordx4 v[92:95], v[98:99], off offset:16
	s_waitcnt vmcnt(17)
	v_xor_b32_e32 v100, 0x80000000, v51
	v_mov_b32_e32 v101, v50
	s_waitcnt vmcnt(1)
	v_pk_fma_f32 v[78:79], v[52:53], v[88:89], v[78:79] op_sel_hi:[1,0,1]
	v_pk_fma_f32 v[54:55], v[54:55], v[88:89], v[76:77] op_sel_hi:[1,0,1]
	v_pk_fma_f32 v[98:99], v[52:53], v[88:89], v[78:79] op_sel:[1,1,0] op_sel_hi:[0,1,1] neg_lo:[1,0,0]
	v_pk_fma_f32 v[52:53], v[48:49], v[88:89], v[74:75] op_sel_hi:[1,0,1]
	v_pk_fma_f32 v[50:51], v[50:51], v[88:89], v[72:73] op_sel_hi:[1,0,1]
	v_pk_fma_f32 v[48:49], v[48:49], v[88:89], v[52:53] op_sel:[1,1,0] op_sel_hi:[0,1,1] neg_lo:[1,0,0]
	v_pk_fma_f32 v[54:55], v[96:97], v[88:89], v[54:55] op_sel:[0,1,0]
	v_pk_fma_f32 v[50:51], v[100:101], v[88:89], v[50:51] op_sel:[0,1,0]
	v_pk_fma_f32 v[96:97], v[40:41], v[90:91], v[98:99] op_sel_hi:[1,0,1]
	v_pk_fma_f32 v[54:55], v[42:43], v[90:91], v[54:55] op_sel_hi:[1,0,1]
	v_pk_fma_f32 v[48:49], v[36:37], v[90:91], v[48:49] op_sel_hi:[1,0,1]
	v_pk_fma_f32 v[98:99], v[38:39], v[90:91], v[50:51] op_sel_hi:[1,0,1]
	v_mov_b32_e32 v90, v91
	v_xor_b32_e32 v50, 0x80000000, v43
	v_mov_b32_e32 v51, v42
	v_pk_fma_f32 v[40:41], v[40:41], v[90:91], v[96:97] op_sel:[1,0,0] op_sel_hi:[0,0,1] neg_lo:[1,0,0]
	v_xor_b32_e32 v42, 0x80000000, v39
	v_mov_b32_e32 v43, v38
	v_add_co_u32_e32 v88, vcc, s18, v70
	v_pk_fma_f32 v[96:97], v[36:37], v[90:91], v[48:49] op_sel:[1,0,0] op_sel_hi:[0,0,1] neg_lo:[1,0,0]
	v_pk_fma_f32 v[54:55], v[50:51], v[90:91], v[54:55] op_sel_hi:[1,0,1]
	v_pk_fma_f32 v[42:43], v[42:43], v[90:91], v[98:99] op_sel_hi:[1,0,1]
	s_waitcnt vmcnt(0)
	v_pk_fma_f32 v[40:41], v[44:45], v[92:93], v[40:41] op_sel_hi:[1,0,1]
	v_addc_co_u32_e32 v89, vcc, 0, v71, vcc
	v_xor_b32_e32 v90, 0x80000000, v47
	v_mov_b32_e32 v91, v46
	v_pk_fma_f32 v[54:55], v[46:47], v[92:93], v[54:55] op_sel_hi:[1,0,1]
	v_pk_fma_f32 v[98:99], v[44:45], v[92:93], v[40:41] op_sel:[1,1,0] op_sel_hi:[0,1,1] neg_lo:[1,0,0]
	v_xor_b32_e32 v40, 0x80000000, v35
	v_mov_b32_e32 v41, v34
	v_pk_fma_f32 v[96:97], v[32:33], v[92:93], v[96:97] op_sel_hi:[1,0,1]
	v_pk_fma_f32 v[42:43], v[34:35], v[92:93], v[42:43] op_sel_hi:[1,0,1]
	v_pk_fma_f32 v[96:97], v[32:33], v[92:93], v[96:97] op_sel:[1,1,0] op_sel_hi:[0,1,1] neg_lo:[1,0,0]
	v_pk_fma_f32 v[54:55], v[90:91], v[92:93], v[54:55] op_sel:[0,1,0]
	v_pk_fma_f32 v[90:91], v[40:41], v[92:93], v[42:43] op_sel:[0,1,0]
	v_sub_co_u32_e32 v86, vcc, v86, v64
	v_pk_fma_f32 v[92:93], v[16:17], v[94:95], v[98:99] op_sel_hi:[1,0,1]
	v_pk_fma_f32 v[54:55], v[18:19], v[94:95], v[54:55] op_sel_hi:[1,0,1]
	;; [unrolled: 1-line block ×4, first 2 shown]
	v_mov_b32_e32 v94, v95
	v_subb_co_u32_e32 v87, vcc, v87, v65, vcc
	v_pk_fma_f32 v[96:97], v[8:9], v[94:95], v[96:97] op_sel:[1,0,0] op_sel_hi:[0,0,1] neg_lo:[1,0,0]
	v_lshlrev_b64 v[8:9], 5, v[86:87]
	v_lshl_add_u64 v[86:87], s[2:3], 0, v[8:9]
	v_xor_b32_e32 v98, 0x80000000, v19
	v_mov_b32_e32 v99, v18
	v_pk_fma_f32 v[92:93], v[16:17], v[94:95], v[92:93] op_sel:[1,0,0] op_sel_hi:[0,0,1] neg_lo:[1,0,0]
	global_load_dwordx4 v[16:19], v[88:89], off
	v_xor_b32_e32 v88, 0x80000000, v11
	v_mov_b32_e32 v89, v10
	global_load_dwordx4 v[8:11], v[86:87], off
	global_load_dwordx4 v[76:79], v[70:71], off offset:2128
	global_load_dwordx4 v[72:75], v[70:71], off offset:2112
	v_pk_fma_f32 v[90:91], v[88:89], v[94:95], v[90:91] op_sel_hi:[1,0,1]
	global_load_dwordx4 v[86:89], v[86:87], off offset:16
	v_pk_fma_f32 v[54:55], v[98:99], v[94:95], v[54:55] op_sel_hi:[1,0,1]
	v_xor_b32_e32 v100, 0x80000000, v23
	v_mov_b32_e32 v101, v22
	v_xor_b32_e32 v98, 0x80000000, v7
	v_mov_b32_e32 v99, v6
	v_lshl_add_u64 v[52:53], v[70:71], 0, s[12:13]
	global_load_dwordx4 v[36:39], v[52:53], off offset:48
	global_load_dwordx4 v[48:51], v[52:53], off offset:32
	global_load_dwordx4 v[44:47], v[52:53], off offset:16
	global_load_dwordx4 v[32:35], v[52:53], off offset:112
	global_load_dwordx4 v[40:43], v[52:53], off offset:2160
	v_lshl_add_u64 v[70:71], v[70:71], 0, s[16:17]
	s_waitcnt vmcnt(8)
	v_pk_fma_f32 v[92:93], v[20:21], v[8:9], v[92:93] op_sel_hi:[1,0,1]
	v_pk_fma_f32 v[54:55], v[22:23], v[8:9], v[54:55] op_sel_hi:[1,0,1]
	v_pk_fma_f32 v[94:95], v[20:21], v[8:9], v[92:93] op_sel:[1,1,0] op_sel_hi:[0,1,1] neg_lo:[1,0,0]
	v_xor_b32_e32 v92, 0x80000000, v15
	v_mov_b32_e32 v93, v14
	v_pk_fma_f32 v[96:97], v[12:13], v[8:9], v[96:97] op_sel_hi:[1,0,1]
	v_pk_fma_f32 v[90:91], v[14:15], v[8:9], v[90:91] op_sel_hi:[1,0,1]
	v_pk_fma_f32 v[96:97], v[12:13], v[8:9], v[96:97] op_sel:[1,1,0] op_sel_hi:[0,1,1] neg_lo:[1,0,0]
	v_pk_fma_f32 v[54:55], v[100:101], v[8:9], v[54:55] op_sel:[0,1,0]
	v_pk_fma_f32 v[8:9], v[92:93], v[8:9], v[90:91] op_sel:[0,1,0]
	v_pk_fma_f32 v[94:95], v[4:5], v[10:11], v[94:95] op_sel_hi:[1,0,1]
	v_pk_fma_f32 v[54:55], v[6:7], v[10:11], v[54:55] op_sel_hi:[1,0,1]
	;; [unrolled: 1-line block ×4, first 2 shown]
	v_mov_b32_e32 v10, v11
	v_xor_b32_e32 v100, 0x80000000, v3
	v_mov_b32_e32 v101, v2
	v_pk_fma_f32 v[54:55], v[98:99], v[10:11], v[54:55] op_sel_hi:[1,0,1]
	v_pk_fma_f32 v[94:95], v[4:5], v[10:11], v[94:95] op_sel:[1,0,0] op_sel_hi:[0,0,1] neg_lo:[1,0,0]
	v_pk_fma_f32 v[98:99], v[100:101], v[10:11], v[8:9] op_sel_hi:[1,0,1]
	s_waitcnt vmcnt(6)
	v_xor_b32_e32 v100, 0x80000000, v75
	v_mov_b32_e32 v101, v74
	s_waitcnt vmcnt(5)
	v_pk_fma_f32 v[54:55], v[74:75], v[86:87], v[54:55] op_sel_hi:[1,0,1]
	v_pk_fma_f32 v[96:97], v[0:1], v[10:11], v[96:97] op_sel:[1,0,0] op_sel_hi:[0,0,1] neg_lo:[1,0,0]
	v_pk_fma_f32 v[8:9], v[72:73], v[86:87], v[94:95] op_sel_hi:[1,0,1]
	v_pk_fma_f32 v[54:55], v[100:101], v[86:87], v[54:55] op_sel:[0,1,0]
	v_pk_fma_f32 v[94:95], v[72:73], v[86:87], v[8:9] op_sel:[1,1,0] op_sel_hi:[0,1,1] neg_lo:[1,0,0]
	v_xor_b32_e32 v102, 0x80000000, v79
	v_mov_b32_e32 v103, v78
	v_pk_fma_f32 v[72:73], v[76:77], v[86:87], v[96:97] op_sel_hi:[1,0,1]
	v_pk_fma_f32 v[78:79], v[78:79], v[86:87], v[98:99] op_sel_hi:[1,0,1]
	;; [unrolled: 1-line block ×3, first 2 shown]
	v_mov_b32_e32 v99, v30
	v_sub_co_u32_e32 v30, vcc, v84, v64
	v_pk_fma_f32 v[96:97], v[76:77], v[86:87], v[72:73] op_sel:[1,1,0] op_sel_hi:[0,1,1] neg_lo:[1,0,0]
	v_pk_fma_f32 v[86:87], v[102:103], v[86:87], v[78:79] op_sel:[0,1,0]
	v_xor_b32_e32 v98, 0x80000000, v31
	v_subb_co_u32_e32 v31, vcc, v85, v65, vcc
	v_pk_fma_f32 v[94:95], v[28:29], v[88:89], v[94:95] op_sel_hi:[1,0,1]
	v_pk_fma_f32 v[96:97], v[24:25], v[88:89], v[96:97] op_sel_hi:[1,0,1]
	;; [unrolled: 1-line block ×3, first 2 shown]
	v_mov_b32_e32 v88, v89
	v_lshlrev_b64 v[30:31], 5, v[30:31]
	v_pk_fma_f32 v[94:95], v[28:29], v[88:89], v[94:95] op_sel:[1,0,0] op_sel_hi:[0,0,1] neg_lo:[1,0,0]
	v_xor_b32_e32 v28, 0x80000000, v27
	v_mov_b32_e32 v29, v26
	v_lshl_add_u64 v[102:103], s[2:3], 0, v[30:31]
	global_load_dwordx4 v[20:23], v[52:53], off offset:96
	global_load_dwordx4 v[12:15], v[52:53], off offset:80
	;; [unrolled: 1-line block ×8, first 2 shown]
	v_pk_fma_f32 v[96:97], v[24:25], v[88:89], v[96:97] op_sel:[1,0,0] op_sel_hi:[0,0,1] neg_lo:[1,0,0]
	global_load_dwordx4 v[24:27], v[52:53], off offset:2128
	v_pk_fma_f32 v[54:55], v[98:99], v[88:89], v[54:55] op_sel_hi:[1,0,1]
	v_pk_fma_f32 v[88:89], v[28:29], v[88:89], v[86:87] op_sel_hi:[1,0,1]
	global_load_dwordx4 v[28:31], v[102:103], off
	global_load_dwordx4 v[84:87], v[102:103], off offset:16
	v_cmp_ge_i64_e32 vcc, v[66:67], v[68:69]
	v_xor_b32_e32 v100, 0x80000000, v19
	v_mov_b32_e32 v101, v18
	s_or_b64 s[10:11], vcc, s[10:11]
	s_waitcnt vmcnt(15)
	v_xor_b32_e32 v98, 0x80000000, v39
	v_mov_b32_e32 v99, v38
	s_waitcnt vmcnt(1)
	v_pk_fma_f32 v[94:95], v[16:17], v[28:29], v[94:95] op_sel_hi:[1,0,1]
	v_pk_fma_f32 v[54:55], v[18:19], v[28:29], v[54:55] op_sel_hi:[1,0,1]
	v_pk_fma_f32 v[94:95], v[16:17], v[28:29], v[94:95] op_sel:[1,1,0] op_sel_hi:[0,1,1] neg_lo:[1,0,0]
	global_load_dwordx4 v[16:19], v[52:53], off offset:2112
	v_sub_co_u32_e32 v52, vcc, v82, v64
	v_pk_fma_f32 v[96:97], v[44:45], v[28:29], v[96:97] op_sel_hi:[1,0,1]
	s_nop 0
	v_subb_co_u32_e32 v53, vcc, v83, v65, vcc
	v_xor_b32_e32 v82, 0x80000000, v47
	v_mov_b32_e32 v83, v46
	v_pk_fma_f32 v[46:47], v[46:47], v[28:29], v[88:89] op_sel_hi:[1,0,1]
	v_pk_fma_f32 v[88:89], v[44:45], v[28:29], v[96:97] op_sel:[1,1,0] op_sel_hi:[0,1,1] neg_lo:[1,0,0]
	v_lshlrev_b64 v[44:45], 5, v[52:53]
	v_lshl_add_u64 v[52:53], s[2:3], 0, v[44:45]
	v_pk_fma_f32 v[54:55], v[100:101], v[28:29], v[54:55] op_sel:[0,1,0]
	v_pk_fma_f32 v[28:29], v[82:83], v[28:29], v[46:47] op_sel:[0,1,0]
	global_load_dwordx4 v[44:47], v[52:53], off
	v_xor_b32_e32 v96, 0x80000000, v51
	v_mov_b32_e32 v97, v50
	v_pk_fma_f32 v[82:83], v[48:49], v[30:31], v[94:95] op_sel_hi:[1,0,1]
	v_pk_fma_f32 v[50:51], v[50:51], v[30:31], v[54:55] op_sel_hi:[1,0,1]
	;; [unrolled: 1-line block ×4, first 2 shown]
	v_mov_b32_e32 v88, v31
	global_load_dwordx4 v[28:31], v[52:53], off offset:16
	v_pk_fma_f32 v[48:49], v[48:49], v[88:89], v[82:83] op_sel:[1,0,0] op_sel_hi:[0,0,1] neg_lo:[1,0,0]
	v_pk_fma_f32 v[36:37], v[36:37], v[88:89], v[54:55] op_sel:[1,0,0] op_sel_hi:[0,0,1] neg_lo:[1,0,0]
	v_pk_fma_f32 v[50:51], v[96:97], v[88:89], v[50:51] op_sel_hi:[1,0,1]
	v_pk_fma_f32 v[38:39], v[98:99], v[88:89], v[38:39] op_sel_hi:[1,0,1]
	v_xor_b32_e32 v52, 0x80000000, v91
	v_xor_b32_e32 v82, 0x80000000, v93
	;; [unrolled: 1-line block ×3, first 2 shown]
	v_mov_b32_e32 v53, v90
	v_mov_b32_e32 v83, v92
	v_xor_b32_e32 v94, 0x80000000, v15
	v_mov_b32_e32 v55, v12
	v_mov_b32_e32 v95, v14
	s_waitcnt vmcnt(3)
	v_pk_fma_f32 v[48:49], v[90:91], v[84:85], v[48:49] op_sel_hi:[1,0,1]
	v_pk_fma_f32 v[50:51], v[92:93], v[84:85], v[50:51] op_sel_hi:[1,0,1]
	;; [unrolled: 1-line block ×4, first 2 shown]
	v_pk_fma_f32 v[48:49], v[52:53], v[84:85], v[48:49] op_sel:[0,1,0]
	v_pk_fma_f32 v[50:51], v[82:83], v[84:85], v[50:51] op_sel:[0,1,0]
	;; [unrolled: 1-line block ×4, first 2 shown]
	v_xor_b32_e32 v96, 0x80000000, v23
	v_mov_b32_e32 v97, v22
	v_xor_b32_e32 v36, 0x80000000, v35
	v_mov_b32_e32 v37, v34
	v_mov_b32_e32 v84, v87
	v_pk_fma_f32 v[48:49], v[20:21], v[86:87], v[48:49] op_sel_hi:[1,0,1]
	v_pk_fma_f32 v[22:23], v[22:23], v[86:87], v[50:51] op_sel_hi:[1,0,1]
	;; [unrolled: 1-line block ×4, first 2 shown]
	v_pk_fma_f32 v[20:21], v[20:21], v[84:85], v[48:49] op_sel:[1,0,0] op_sel_hi:[0,0,1] neg_lo:[1,0,0]
	v_pk_fma_f32 v[12:13], v[32:33], v[84:85], v[12:13] op_sel:[1,0,0] op_sel_hi:[0,0,1] neg_lo:[1,0,0]
	v_pk_fma_f32 v[22:23], v[96:97], v[84:85], v[22:23] op_sel_hi:[1,0,1]
	v_pk_fma_f32 v[14:15], v[36:37], v[84:85], v[14:15] op_sel_hi:[1,0,1]
	v_xor_b32_e32 v88, 0x80000000, v75
	v_mov_b32_e32 v89, v74
	v_xor_b32_e32 v38, 0x80000000, v11
	v_mov_b32_e32 v39, v10
	;; [unrolled: 2-line block ×7, first 2 shown]
	s_waitcnt vmcnt(2)
	v_xor_b32_e32 v90, 0x80000000, v19
	v_mov_b32_e32 v91, v18
	s_waitcnt vmcnt(1)
	v_pk_fma_f32 v[20:21], v[72:73], v[44:45], v[20:21] op_sel_hi:[1,0,1]
	v_pk_fma_f32 v[22:23], v[74:75], v[44:45], v[22:23] op_sel_hi:[1,0,1]
	;; [unrolled: 1-line block ×4, first 2 shown]
	v_pk_fma_f32 v[14:15], v[72:73], v[44:45], v[20:21] op_sel:[1,1,0] op_sel_hi:[0,1,1] neg_lo:[1,0,0]
	v_pk_fma_f32 v[20:21], v[88:89], v[44:45], v[22:23] op_sel:[0,1,0]
	v_pk_fma_f32 v[8:9], v[8:9], v[44:45], v[12:13] op_sel:[1,1,0] op_sel_hi:[0,1,1] neg_lo:[1,0,0]
	v_pk_fma_f32 v[10:11], v[38:39], v[44:45], v[10:11] op_sel:[0,1,0]
	v_mov_b32_e32 v34, v47
	v_pk_fma_f32 v[12:13], v[4:5], v[46:47], v[14:15] op_sel_hi:[1,0,1]
	v_pk_fma_f32 v[6:7], v[6:7], v[46:47], v[20:21] op_sel_hi:[1,0,1]
	;; [unrolled: 1-line block ×4, first 2 shown]
	v_pk_fma_f32 v[4:5], v[4:5], v[34:35], v[12:13] op_sel:[1,0,0] op_sel_hi:[0,0,1] neg_lo:[1,0,0]
	v_pk_fma_f32 v[6:7], v[98:99], v[34:35], v[6:7] op_sel_hi:[1,0,1]
	v_pk_fma_f32 v[0:1], v[0:1], v[34:35], v[8:9] op_sel:[1,0,0] op_sel_hi:[0,0,1] neg_lo:[1,0,0]
	v_pk_fma_f32 v[2:3], v[52:53], v[34:35], v[2:3] op_sel_hi:[1,0,1]
	s_waitcnt vmcnt(0)
	v_pk_fma_f32 v[4:5], v[16:17], v[28:29], v[4:5] op_sel_hi:[1,0,1]
	v_pk_fma_f32 v[6:7], v[18:19], v[28:29], v[6:7] op_sel_hi:[1,0,1]
	v_pk_fma_f32 v[0:1], v[24:25], v[28:29], v[0:1] op_sel_hi:[1,0,1]
	v_pk_fma_f32 v[2:3], v[26:27], v[28:29], v[2:3] op_sel_hi:[1,0,1]
	v_pk_fma_f32 v[4:5], v[16:17], v[28:29], v[4:5] op_sel:[1,1,0] op_sel_hi:[0,1,1] neg_lo:[1,0,0]
	v_pk_fma_f32 v[6:7], v[90:91], v[28:29], v[6:7] op_sel:[0,1,0]
	v_pk_fma_f32 v[0:1], v[24:25], v[28:29], v[0:1] op_sel:[1,1,0] op_sel_hi:[0,1,1] neg_lo:[1,0,0]
	v_pk_fma_f32 v[2:3], v[82:83], v[28:29], v[2:3] op_sel:[0,1,0]
	v_mov_b32_e32 v50, v31
	v_pk_fma_f32 v[4:5], v[76:77], v[30:31], v[4:5] op_sel_hi:[1,0,1]
	v_pk_fma_f32 v[6:7], v[78:79], v[30:31], v[6:7] op_sel_hi:[1,0,1]
	;; [unrolled: 1-line block ×4, first 2 shown]
	v_pk_fma_f32 v[78:79], v[76:77], v[50:51], v[4:5] op_sel:[1,0,0] op_sel_hi:[0,0,1] neg_lo:[1,0,0]
	v_pk_fma_f32 v[76:77], v[92:93], v[50:51], v[6:7] op_sel_hi:[1,0,1]
	v_pk_fma_f32 v[74:75], v[40:41], v[50:51], v[0:1] op_sel:[1,0,0] op_sel_hi:[0,0,1] neg_lo:[1,0,0]
	v_pk_fma_f32 v[72:73], v[54:55], v[50:51], v[2:3] op_sel_hi:[1,0,1]
	s_andn2_b64 exec, exec, s[10:11]
	s_cbranch_execnz .LBB52_31
; %bb.32:
	s_or_b64 exec, exec, s[10:11]
.LBB52_33:
	s_or_b64 exec, exec, s[4:5]
	v_mov_b32_e32 v63, v79
.LBB52_34:
	s_or_b64 exec, exec, s[8:9]
.LBB52_35:
	v_mov_b32_dpp v6, v77 row_shr:1 row_mask:0xf bank_mask:0xf
	v_add_f32_e32 v6, v77, v6
	v_mov_b32_dpp v0, v78 row_shr:1 row_mask:0xf bank_mask:0xf
	v_mov_b32_dpp v2, v63 row_shr:1 row_mask:0xf bank_mask:0xf
	v_mov_b32_dpp v7, v6 row_shr:2 row_mask:0xf bank_mask:0xf
	v_add_f32_e32 v6, v6, v7
	v_mov_b32_dpp v4, v76 row_shr:1 row_mask:0xf bank_mask:0xf
	v_add_f32_e32 v0, v78, v0
	v_mov_b32_dpp v7, v6 row_shr:4 row_mask:0xf bank_mask:0xe
	;; [unrolled: 2-line block ×3, first 2 shown]
	v_add_f32_e32 v6, v74, v6
	v_add_f32_e32 v2, v63, v2
	;; [unrolled: 1-line block ×3, first 2 shown]
	v_mov_b32_dpp v9, v6 row_shr:2 row_mask:0xf bank_mask:0xf
	v_add_f32_e32 v6, v6, v9
	v_mov_b32_dpp v1, v0 row_shr:2 row_mask:0xf bank_mask:0xf
	v_mov_b32_dpp v3, v2 row_shr:2 row_mask:0xf bank_mask:0xf
	;; [unrolled: 1-line block ×3, first 2 shown]
	v_add_f32_e32 v9, v6, v9
	v_mov_b32_dpp v6, v75 row_shr:1 row_mask:0xf bank_mask:0xf
	v_add_f32_e32 v6, v75, v6
	v_mov_b32_dpp v5, v4 row_shr:2 row_mask:0xf bank_mask:0xf
	;; [unrolled: 2-line block ×3, first 2 shown]
	v_add_f32_e32 v6, v6, v11
	v_add_f32_e32 v2, v2, v3
	;; [unrolled: 1-line block ×3, first 2 shown]
	v_mov_b32_dpp v11, v6 row_shr:4 row_mask:0xf bank_mask:0xe
	v_add_f32_e32 v11, v6, v11
	v_mov_b32_dpp v6, v72 row_shr:1 row_mask:0xf bank_mask:0xf
	v_add_f32_e32 v6, v72, v6
	v_mov_b32_dpp v1, v0 row_shr:4 row_mask:0xf bank_mask:0xe
	v_mov_b32_dpp v3, v2 row_shr:4 row_mask:0xf bank_mask:0xe
	;; [unrolled: 1-line block ×3, first 2 shown]
	v_add_f32_e32 v6, v6, v12
	v_mov_b32_dpp v5, v4 row_shr:4 row_mask:0xf bank_mask:0xe
	v_add_f32_e32 v0, v0, v1
	v_mov_b32_dpp v12, v6 row_shr:4 row_mask:0xf bank_mask:0xe
	;; [unrolled: 2-line block ×3, first 2 shown]
	v_add_f32_e32 v6, v73, v6
	v_add_f32_e32 v2, v2, v3
	;; [unrolled: 1-line block ×3, first 2 shown]
	v_mov_b32_dpp v12, v6 row_shr:2 row_mask:0xf bank_mask:0xf
	v_add_f32_e32 v6, v6, v12
	v_mov_b32_dpp v1, v0 row_shr:8 row_mask:0xf bank_mask:0xc
	v_mov_b32_dpp v3, v2 row_shr:8 row_mask:0xf bank_mask:0xc
	;; [unrolled: 1-line block ×3, first 2 shown]
	v_add_f32_e32 v17, v6, v12
	v_mov_b32_dpp v5, v4 row_shr:8 row_mask:0xf bank_mask:0xc
	v_mov_b32_dpp v8, v7 row_shr:8 row_mask:0xf bank_mask:0xc
	;; [unrolled: 1-line block ×6, first 2 shown]
	v_cmp_eq_u32_e32 vcc, 15, v62
	s_and_b64 exec, exec, vcc
	s_cbranch_execz .LBB52_6
; %bb.36:
	s_load_dwordx2 s[0:1], s[0:1], 0x58
	v_cmp_eq_f32_e32 vcc, 0, v58
	s_xor_b64 s[2:3], s[6:7], -1
	v_add_f32_e32 v6, v0, v1
	v_add_f32_e32 v14, v2, v3
	;; [unrolled: 1-line block ×8, first 2 shown]
	s_and_b64 s[2:3], vcc, s[2:3]
	v_lshlrev_b64 v[16:17], 5, v[60:61]
	s_and_saveexec_b64 s[4:5], s[2:3]
	s_xor_b64 s[2:3], exec, s[4:5]
	s_cbranch_execz .LBB52_38
; %bb.37:
	v_xor_b32_e32 v18, 0x80000000, v57
	v_mov_b32_e32 v19, v56
	v_pk_mul_f32 v[14:15], v[14:15], v[18:19] op_sel_hi:[0,1]
	v_pk_fma_f32 v[14:15], v[56:57], v[6:7], v[14:15] op_sel_hi:[1,0,1]
	v_pk_mul_f32 v[6:7], v[12:13], v[18:19] op_sel_hi:[0,1]
	s_waitcnt lgkmcnt(0)
	v_lshl_add_u64 v[20:21], s[0:1], 0, v[16:17]
	v_pk_fma_f32 v[16:17], v[56:57], v[4:5], v[6:7] op_sel_hi:[1,0,1]
	v_pk_mul_f32 v[4:5], v[10:11], v[18:19] op_sel_hi:[0,1]
	v_pk_fma_f32 v[2:3], v[56:57], v[2:3], v[4:5] op_sel_hi:[1,0,1]
	v_pk_mul_f32 v[4:5], v[8:9], v[18:19] op_sel_hi:[0,1]
	v_pk_fma_f32 v[4:5], v[56:57], v[0:1], v[4:5] op_sel_hi:[1,0,1]
	global_store_dwordx4 v[20:21], v[14:17], off
	global_store_dwordx4 v[20:21], v[2:5], off offset:16
                                        ; implicit-def: $vgpr6
                                        ; implicit-def: $vgpr14
                                        ; implicit-def: $vgpr4
                                        ; implicit-def: $vgpr12
                                        ; implicit-def: $vgpr2
                                        ; implicit-def: $vgpr10
                                        ; implicit-def: $vgpr0
                                        ; implicit-def: $vgpr8
                                        ; implicit-def: $vgpr56_vgpr57
                                        ; implicit-def: $vgpr58_vgpr59
                                        ; implicit-def: $vgpr16_vgpr17
.LBB52_38:
	s_andn2_saveexec_b64 s[2:3], s[2:3]
	s_cbranch_execz .LBB52_6
; %bb.39:
	s_waitcnt lgkmcnt(0)
	v_lshl_add_u64 v[24:25], s[0:1], 0, v[16:17]
	global_load_dwordx4 v[16:19], v[24:25], off
	global_load_dwordx4 v[20:23], v[24:25], off offset:16
	v_xor_b32_e32 v26, 0x80000000, v57
	v_mov_b32_e32 v27, v56
	v_pk_mul_f32 v[14:15], v[14:15], v[26:27] op_sel_hi:[0,1]
	v_pk_mul_f32 v[12:13], v[12:13], v[26:27] op_sel_hi:[0,1]
	;; [unrolled: 1-line block ×4, first 2 shown]
	v_pk_fma_f32 v[6:7], v[56:57], v[6:7], v[14:15] op_sel_hi:[1,0,1]
	v_pk_fma_f32 v[4:5], v[56:57], v[4:5], v[12:13] op_sel_hi:[1,0,1]
	v_xor_b32_e32 v28, 0x80000000, v59
	v_mov_b32_e32 v29, v58
	v_pk_fma_f32 v[2:3], v[56:57], v[2:3], v[10:11] op_sel_hi:[1,0,1]
	v_pk_fma_f32 v[0:1], v[56:57], v[0:1], v[8:9] op_sel_hi:[1,0,1]
	s_waitcnt vmcnt(1)
	v_pk_fma_f32 v[6:7], v[58:59], v[16:17], v[6:7] op_sel_hi:[1,0,1]
	v_pk_fma_f32 v[4:5], v[58:59], v[18:19], v[4:5] op_sel_hi:[1,0,1]
	v_mov_b32_e32 v8, v19
	s_waitcnt vmcnt(0)
	v_pk_fma_f32 v[10:11], v[58:59], v[20:21], v[2:3] op_sel_hi:[1,0,1]
	v_pk_fma_f32 v[12:13], v[58:59], v[22:23], v[0:1] op_sel_hi:[1,0,1]
	v_mov_b32_e32 v14, v23
	v_pk_fma_f32 v[0:1], v[28:29], v[16:17], v[6:7] op_sel:[0,1,0]
	v_pk_fma_f32 v[2:3], v[28:29], v[8:9], v[4:5] op_sel_hi:[1,0,1]
	v_pk_fma_f32 v[4:5], v[28:29], v[20:21], v[10:11] op_sel:[0,1,0]
	v_pk_fma_f32 v[6:7], v[28:29], v[14:15], v[12:13] op_sel_hi:[1,0,1]
	global_store_dwordx4 v[24:25], v[0:3], off
	global_store_dwordx4 v[24:25], v[4:7], off offset:16
	s_endpgm
	.section	.rodata,"a",@progbits
	.p2align	6, 0x0
	.amdhsa_kernel _ZN9rocsparseL18bsrxmvn_4x4_kernelILj128ELj16E21rocsparse_complex_numIfEllS2_S2_S2_EEvT3_20rocsparse_direction_NS_24const_host_device_scalarIT1_EES3_PKS3_PKT2_SC_S9_PKT4_PKT5_S7_PT6_21rocsparse_index_base_b
		.amdhsa_group_segment_fixed_size 0
		.amdhsa_private_segment_fixed_size 0
		.amdhsa_kernarg_size 104
		.amdhsa_user_sgpr_count 2
		.amdhsa_user_sgpr_dispatch_ptr 0
		.amdhsa_user_sgpr_queue_ptr 0
		.amdhsa_user_sgpr_kernarg_segment_ptr 1
		.amdhsa_user_sgpr_dispatch_id 0
		.amdhsa_user_sgpr_kernarg_preload_length 0
		.amdhsa_user_sgpr_kernarg_preload_offset 0
		.amdhsa_user_sgpr_private_segment_size 0
		.amdhsa_uses_dynamic_stack 0
		.amdhsa_enable_private_segment 0
		.amdhsa_system_sgpr_workgroup_id_x 1
		.amdhsa_system_sgpr_workgroup_id_y 0
		.amdhsa_system_sgpr_workgroup_id_z 0
		.amdhsa_system_sgpr_workgroup_info 0
		.amdhsa_system_vgpr_workitem_id 0
		.amdhsa_next_free_vgpr 104
		.amdhsa_next_free_sgpr 23
		.amdhsa_accum_offset 104
		.amdhsa_reserve_vcc 1
		.amdhsa_float_round_mode_32 0
		.amdhsa_float_round_mode_16_64 0
		.amdhsa_float_denorm_mode_32 3
		.amdhsa_float_denorm_mode_16_64 3
		.amdhsa_dx10_clamp 1
		.amdhsa_ieee_mode 1
		.amdhsa_fp16_overflow 0
		.amdhsa_tg_split 0
		.amdhsa_exception_fp_ieee_invalid_op 0
		.amdhsa_exception_fp_denorm_src 0
		.amdhsa_exception_fp_ieee_div_zero 0
		.amdhsa_exception_fp_ieee_overflow 0
		.amdhsa_exception_fp_ieee_underflow 0
		.amdhsa_exception_fp_ieee_inexact 0
		.amdhsa_exception_int_div_zero 0
	.end_amdhsa_kernel
	.section	.text._ZN9rocsparseL18bsrxmvn_4x4_kernelILj128ELj16E21rocsparse_complex_numIfEllS2_S2_S2_EEvT3_20rocsparse_direction_NS_24const_host_device_scalarIT1_EES3_PKS3_PKT2_SC_S9_PKT4_PKT5_S7_PT6_21rocsparse_index_base_b,"axG",@progbits,_ZN9rocsparseL18bsrxmvn_4x4_kernelILj128ELj16E21rocsparse_complex_numIfEllS2_S2_S2_EEvT3_20rocsparse_direction_NS_24const_host_device_scalarIT1_EES3_PKS3_PKT2_SC_S9_PKT4_PKT5_S7_PT6_21rocsparse_index_base_b,comdat
.Lfunc_end52:
	.size	_ZN9rocsparseL18bsrxmvn_4x4_kernelILj128ELj16E21rocsparse_complex_numIfEllS2_S2_S2_EEvT3_20rocsparse_direction_NS_24const_host_device_scalarIT1_EES3_PKS3_PKT2_SC_S9_PKT4_PKT5_S7_PT6_21rocsparse_index_base_b, .Lfunc_end52-_ZN9rocsparseL18bsrxmvn_4x4_kernelILj128ELj16E21rocsparse_complex_numIfEllS2_S2_S2_EEvT3_20rocsparse_direction_NS_24const_host_device_scalarIT1_EES3_PKS3_PKT2_SC_S9_PKT4_PKT5_S7_PT6_21rocsparse_index_base_b
                                        ; -- End function
	.set _ZN9rocsparseL18bsrxmvn_4x4_kernelILj128ELj16E21rocsparse_complex_numIfEllS2_S2_S2_EEvT3_20rocsparse_direction_NS_24const_host_device_scalarIT1_EES3_PKS3_PKT2_SC_S9_PKT4_PKT5_S7_PT6_21rocsparse_index_base_b.num_vgpr, 104
	.set _ZN9rocsparseL18bsrxmvn_4x4_kernelILj128ELj16E21rocsparse_complex_numIfEllS2_S2_S2_EEvT3_20rocsparse_direction_NS_24const_host_device_scalarIT1_EES3_PKS3_PKT2_SC_S9_PKT4_PKT5_S7_PT6_21rocsparse_index_base_b.num_agpr, 0
	.set _ZN9rocsparseL18bsrxmvn_4x4_kernelILj128ELj16E21rocsparse_complex_numIfEllS2_S2_S2_EEvT3_20rocsparse_direction_NS_24const_host_device_scalarIT1_EES3_PKS3_PKT2_SC_S9_PKT4_PKT5_S7_PT6_21rocsparse_index_base_b.numbered_sgpr, 23
	.set _ZN9rocsparseL18bsrxmvn_4x4_kernelILj128ELj16E21rocsparse_complex_numIfEllS2_S2_S2_EEvT3_20rocsparse_direction_NS_24const_host_device_scalarIT1_EES3_PKS3_PKT2_SC_S9_PKT4_PKT5_S7_PT6_21rocsparse_index_base_b.num_named_barrier, 0
	.set _ZN9rocsparseL18bsrxmvn_4x4_kernelILj128ELj16E21rocsparse_complex_numIfEllS2_S2_S2_EEvT3_20rocsparse_direction_NS_24const_host_device_scalarIT1_EES3_PKS3_PKT2_SC_S9_PKT4_PKT5_S7_PT6_21rocsparse_index_base_b.private_seg_size, 0
	.set _ZN9rocsparseL18bsrxmvn_4x4_kernelILj128ELj16E21rocsparse_complex_numIfEllS2_S2_S2_EEvT3_20rocsparse_direction_NS_24const_host_device_scalarIT1_EES3_PKS3_PKT2_SC_S9_PKT4_PKT5_S7_PT6_21rocsparse_index_base_b.uses_vcc, 1
	.set _ZN9rocsparseL18bsrxmvn_4x4_kernelILj128ELj16E21rocsparse_complex_numIfEllS2_S2_S2_EEvT3_20rocsparse_direction_NS_24const_host_device_scalarIT1_EES3_PKS3_PKT2_SC_S9_PKT4_PKT5_S7_PT6_21rocsparse_index_base_b.uses_flat_scratch, 0
	.set _ZN9rocsparseL18bsrxmvn_4x4_kernelILj128ELj16E21rocsparse_complex_numIfEllS2_S2_S2_EEvT3_20rocsparse_direction_NS_24const_host_device_scalarIT1_EES3_PKS3_PKT2_SC_S9_PKT4_PKT5_S7_PT6_21rocsparse_index_base_b.has_dyn_sized_stack, 0
	.set _ZN9rocsparseL18bsrxmvn_4x4_kernelILj128ELj16E21rocsparse_complex_numIfEllS2_S2_S2_EEvT3_20rocsparse_direction_NS_24const_host_device_scalarIT1_EES3_PKS3_PKT2_SC_S9_PKT4_PKT5_S7_PT6_21rocsparse_index_base_b.has_recursion, 0
	.set _ZN9rocsparseL18bsrxmvn_4x4_kernelILj128ELj16E21rocsparse_complex_numIfEllS2_S2_S2_EEvT3_20rocsparse_direction_NS_24const_host_device_scalarIT1_EES3_PKS3_PKT2_SC_S9_PKT4_PKT5_S7_PT6_21rocsparse_index_base_b.has_indirect_call, 0
	.section	.AMDGPU.csdata,"",@progbits
; Kernel info:
; codeLenInByte = 7272
; TotalNumSgprs: 29
; NumVgprs: 104
; NumAgprs: 0
; TotalNumVgprs: 104
; ScratchSize: 0
; MemoryBound: 0
; FloatMode: 240
; IeeeMode: 1
; LDSByteSize: 0 bytes/workgroup (compile time only)
; SGPRBlocks: 3
; VGPRBlocks: 12
; NumSGPRsForWavesPerEU: 29
; NumVGPRsForWavesPerEU: 104
; AccumOffset: 104
; Occupancy: 4
; WaveLimiterHint : 1
; COMPUTE_PGM_RSRC2:SCRATCH_EN: 0
; COMPUTE_PGM_RSRC2:USER_SGPR: 2
; COMPUTE_PGM_RSRC2:TRAP_HANDLER: 0
; COMPUTE_PGM_RSRC2:TGID_X_EN: 1
; COMPUTE_PGM_RSRC2:TGID_Y_EN: 0
; COMPUTE_PGM_RSRC2:TGID_Z_EN: 0
; COMPUTE_PGM_RSRC2:TIDIG_COMP_CNT: 0
; COMPUTE_PGM_RSRC3_GFX90A:ACCUM_OFFSET: 25
; COMPUTE_PGM_RSRC3_GFX90A:TG_SPLIT: 0
	.section	.text._ZN9rocsparseL18bsrxmvn_4x4_kernelILj128ELj32E21rocsparse_complex_numIfEllS2_S2_S2_EEvT3_20rocsparse_direction_NS_24const_host_device_scalarIT1_EES3_PKS3_PKT2_SC_S9_PKT4_PKT5_S7_PT6_21rocsparse_index_base_b,"axG",@progbits,_ZN9rocsparseL18bsrxmvn_4x4_kernelILj128ELj32E21rocsparse_complex_numIfEllS2_S2_S2_EEvT3_20rocsparse_direction_NS_24const_host_device_scalarIT1_EES3_PKS3_PKT2_SC_S9_PKT4_PKT5_S7_PT6_21rocsparse_index_base_b,comdat
	.globl	_ZN9rocsparseL18bsrxmvn_4x4_kernelILj128ELj32E21rocsparse_complex_numIfEllS2_S2_S2_EEvT3_20rocsparse_direction_NS_24const_host_device_scalarIT1_EES3_PKS3_PKT2_SC_S9_PKT4_PKT5_S7_PT6_21rocsparse_index_base_b ; -- Begin function _ZN9rocsparseL18bsrxmvn_4x4_kernelILj128ELj32E21rocsparse_complex_numIfEllS2_S2_S2_EEvT3_20rocsparse_direction_NS_24const_host_device_scalarIT1_EES3_PKS3_PKT2_SC_S9_PKT4_PKT5_S7_PT6_21rocsparse_index_base_b
	.p2align	8
	.type	_ZN9rocsparseL18bsrxmvn_4x4_kernelILj128ELj32E21rocsparse_complex_numIfEllS2_S2_S2_EEvT3_20rocsparse_direction_NS_24const_host_device_scalarIT1_EES3_PKS3_PKT2_SC_S9_PKT4_PKT5_S7_PT6_21rocsparse_index_base_b,@function
_ZN9rocsparseL18bsrxmvn_4x4_kernelILj128ELj32E21rocsparse_complex_numIfEllS2_S2_S2_EEvT3_20rocsparse_direction_NS_24const_host_device_scalarIT1_EES3_PKS3_PKT2_SC_S9_PKT4_PKT5_S7_PT6_21rocsparse_index_base_b: ; @_ZN9rocsparseL18bsrxmvn_4x4_kernelILj128ELj32E21rocsparse_complex_numIfEllS2_S2_S2_EEvT3_20rocsparse_direction_NS_24const_host_device_scalarIT1_EES3_PKS3_PKT2_SC_S9_PKT4_PKT5_S7_PT6_21rocsparse_index_base_b
; %bb.0:
	s_load_dwordx4 s[8:11], s[0:1], 0x10
	s_load_dwordx2 s[12:13], s[0:1], 0x60
	s_add_u32 s3, s0, 16
	s_addc_u32 s6, s1, 0
	s_load_dwordx2 s[4:5], s[0:1], 0x50
	s_add_u32 s7, s0, 0x50
	s_addc_u32 s14, s1, 0
	s_waitcnt lgkmcnt(0)
	s_bitcmp1_b32 s13, 0
	s_cselect_b32 s3, s3, s8
	s_cselect_b32 s6, s6, s9
	v_mov_b32_e32 v2, s3
	s_cselect_b32 s3, s14, s5
	s_cselect_b32 s4, s7, s4
	v_mov_b32_e32 v3, s6
	v_mov_b32_e32 v4, s4
	;; [unrolled: 1-line block ×3, first 2 shown]
	flat_load_dwordx2 v[40:41], v[2:3]
	flat_load_dwordx2 v[42:43], v[4:5]
	s_waitcnt vmcnt(0) lgkmcnt(0)
	v_cmp_neq_f32_e32 vcc, 0, v40
	v_cmp_neq_f32_e64 s[4:5], 0, v41
	v_cmp_neq_f32_e64 s[8:9], 1.0, v42
	v_cmp_neq_f32_e64 s[6:7], 0, v43
	s_or_b64 s[4:5], vcc, s[4:5]
	s_or_b64 s[8:9], s[8:9], s[6:7]
	s_or_b64 s[4:5], s[4:5], s[8:9]
	s_and_saveexec_b64 s[8:9], s[4:5]
	s_cbranch_execz .LBB53_6
; %bb.1:
	s_load_dwordx2 s[4:5], s[0:1], 0x20
	v_lshrrev_b32_e32 v1, 5, v0
	v_lshl_or_b32 v2, s2, 2, v1
	v_mov_b32_e32 v3, 0
	s_mov_b64 s[2:3], 0
	s_waitcnt lgkmcnt(0)
	s_cmp_lg_u64 s[4:5], 0
	s_cbranch_scc0 .LBB53_7
; %bb.2:
	v_cmp_gt_i64_e32 vcc, s[10:11], v[2:3]
                                        ; implicit-def: $vgpr44_vgpr45
                                        ; implicit-def: $vgpr48_vgpr49
	s_and_saveexec_b64 s[8:9], vcc
	s_xor_b64 s[8:9], exec, s[8:9]
	s_cbranch_execz .LBB53_4
; %bb.3:
	v_lshl_add_u64 v[4:5], v[2:3], 3, s[4:5]
	global_load_dwordx2 v[4:5], v[4:5], off
	s_mov_b32 s13, 0
	s_mov_b64 s[2:3], exec
	v_mov_b64_e32 v[48:49], s[12:13]
	s_waitcnt vmcnt(0)
	v_subrev_co_u32_e32 v44, vcc, s12, v4
	s_nop 1
	v_subbrev_co_u32_e32 v45, vcc, 0, v5, vcc
.LBB53_4:
	s_or_b64 exec, exec, s[8:9]
.LBB53_5:
	s_and_b64 exec, exec, s[2:3]
	s_cbranch_execnz .LBB53_11
.LBB53_6:
	s_endpgm
.LBB53_7:
                                        ; implicit-def: $vgpr44_vgpr45
                                        ; implicit-def: $vgpr48_vgpr49
	s_cbranch_execz .LBB53_5
; %bb.8:
	s_load_dwordx2 s[4:5], s[0:1], 0x0
	s_waitcnt lgkmcnt(0)
	v_cmp_gt_i64_e32 vcc, s[4:5], v[2:3]
	s_and_saveexec_b64 s[4:5], vcc
; %bb.9:
	s_mov_b32 s13, 0
	s_or_b64 s[2:3], s[2:3], exec
; %bb.10:
	s_or_b64 exec, exec, s[4:5]
	v_mov_b64_e32 v[48:49], s[12:13]
	v_mov_b64_e32 v[44:45], v[2:3]
	s_and_b64 exec, exec, s[2:3]
	s_cbranch_execz .LBB53_6
.LBB53_11:
	s_load_dwordx8 s[8:15], s[0:1], 0x28
	v_lshlrev_b64 v[2:3], 3, v[44:45]
	v_and_b32_e32 v46, 31, v0
	v_mov_b32_e32 v47, 0
	s_waitcnt lgkmcnt(0)
	v_lshl_add_u64 v[4:5], s[8:9], 0, v[2:3]
	s_cmp_eq_u64 s[10:11], 0
	v_lshl_add_u64 v[2:3], s[10:11], 0, v[2:3]
	global_load_dwordx2 v[28:29], v[4:5], off
	v_lshl_add_u64 v[4:5], v[4:5], 0, 8
	s_cselect_b64 vcc, -1, 0
	v_cndmask_b32_e32 v3, v3, v5, vcc
	v_cndmask_b32_e32 v2, v2, v4, vcc
	global_load_dwordx2 v[2:3], v[2:3], off
	s_load_dword s4, s[0:1], 0x8
	s_load_dwordx2 s[2:3], s[0:1], 0x48
	s_waitcnt lgkmcnt(0)
	s_cmp_eq_u32 s4, 1
	s_waitcnt vmcnt(1)
	v_sub_co_u32_e32 v0, vcc, v28, v48
	s_nop 1
	v_subb_co_u32_e32 v1, vcc, v29, v49, vcc
	v_lshl_add_u64 v[50:51], v[0:1], 0, v[46:47]
	s_waitcnt vmcnt(0)
	v_sub_co_u32_e32 v52, vcc, v2, v48
	v_lshlrev_b64 v[0:1], 7, v[50:51]
	s_nop 0
	v_subb_co_u32_e32 v53, vcc, v3, v49, vcc
	v_lshl_add_u64 v[54:55], s[14:15], 0, v[0:1]
	v_cmp_lt_i64_e64 s[4:5], v[50:51], v[52:53]
	s_cbranch_scc1 .LBB53_23
; %bb.12:
	v_mov_b32_e32 v62, v47
	v_mov_b32_e32 v57, v47
	;; [unrolled: 1-line block ×7, first 2 shown]
	s_and_saveexec_b64 s[8:9], s[4:5]
	s_cbranch_execz .LBB53_22
; %bb.13:
	v_or_b32_e32 v0, 32, v46
	v_sub_co_u32_e32 v0, vcc, v0, v48
	v_not_b32_e32 v3, v29
	s_nop 0
	v_subb_co_u32_e32 v1, vcc, 0, v49, vcc
	v_lshl_add_u64 v[0:1], v[0:1], 0, v[28:29]
	v_cmp_gt_i64_e32 vcc, v[0:1], v[52:53]
	v_not_b32_e32 v2, v28
	v_mov_b32_e32 v61, 0
	v_cndmask_b32_e32 v1, v53, v1, vcc
	v_cndmask_b32_e32 v0, v52, v0, vcc
	v_sub_co_u32_e32 v4, vcc, v48, v46
	s_mov_b64 s[10:11], 0x60
	s_nop 0
	v_subbrev_co_u32_e32 v5, vcc, 0, v49, vcc
	v_lshl_add_u64 v[2:3], v[4:5], 0, v[2:3]
	v_lshl_add_u64 v[0:1], v[2:3], 0, v[0:1]
	v_and_b32_e32 v60, 0x60, v0
	v_cmp_ne_u64_e32 vcc, s[10:11], v[60:61]
	v_mov_b32_e32 v60, v61
	v_mov_b32_e32 v59, v61
	;; [unrolled: 1-line block ×7, first 2 shown]
	v_mov_b64_e32 v[30:31], v[54:55]
	v_mov_b64_e32 v[32:33], v[50:51]
	s_and_saveexec_b64 s[10:11], vcc
	s_cbranch_execz .LBB53_17
; %bb.14:
	v_lshrrev_b32_e32 v2, 5, v0
	v_add_u32_e32 v2, 1, v2
	v_and_b32_e32 v4, 3, v2
	v_sub_co_u32_e32 v4, vcc, 0, v4
	v_mov_b32_e32 v60, 0
	s_nop 0
	v_subb_co_u32_e64 v5, s[16:17], 0, 0, vcc
	v_lshl_add_u64 v[2:3], v[50:51], 3, s[12:13]
	s_mov_b64 s[14:15], 0
	s_mov_b64 s[16:17], 0x1000
	;; [unrolled: 1-line block ×3, first 2 shown]
	v_mov_b64_e32 v[32:33], v[50:51]
	v_mov_b64_e32 v[30:31], v[54:55]
	v_mov_b32_e32 v61, v60
	v_mov_b32_e32 v58, v60
	;; [unrolled: 1-line block ×7, first 2 shown]
.LBB53_15:                              ; =>This Inner Loop Header: Depth=1
	global_load_dwordx2 v[26:27], v[2:3], off
	global_load_dwordx4 v[6:9], v[30:31], off
	global_load_dwordx4 v[10:13], v[30:31], off offset:16
	global_load_dwordx4 v[14:17], v[30:31], off offset:32
	;; [unrolled: 1-line block ×7, first 2 shown]
	v_lshl_add_u64 v[4:5], v[4:5], 0, 1
	v_lshl_add_u64 v[30:31], v[30:31], 0, s[16:17]
	v_lshl_add_u64 v[32:33], v[32:33], 0, 32
	v_lshl_add_u64 v[2:3], v[2:3], 0, s[18:19]
	s_waitcnt vmcnt(8)
	v_sub_co_u32_e32 v26, vcc, v26, v48
	s_nop 1
	v_subb_co_u32_e32 v27, vcc, v27, v49, vcc
	v_lshlrev_b64 v[26:27], 5, v[26:27]
	v_lshl_add_u64 v[26:27], s[2:3], 0, v[26:27]
	global_load_dwordx4 v[72:75], v[26:27], off
	global_load_dwordx4 v[76:79], v[26:27], off offset:16
	s_waitcnt vmcnt(9)
	v_xor_b32_e32 v26, 0x80000000, v9
	v_mov_b32_e32 v27, v8
	s_waitcnt vmcnt(7)
	v_xor_b32_e32 v80, 0x80000000, v17
	v_mov_b32_e32 v81, v16
	;; [unrolled: 3-line block ×4, first 2 shown]
	v_cmp_eq_u64_e32 vcc, 0, v[4:5]
	v_xor_b32_e32 v38, 0x80000000, v13
	v_mov_b32_e32 v39, v12
	v_xor_b32_e32 v82, 0x80000000, v21
	v_mov_b32_e32 v83, v20
	;; [unrolled: 2-line block ×4, first 2 shown]
	s_or_b64 s[14:15], vcc, s[14:15]
	s_waitcnt vmcnt(1)
	v_pk_fma_f32 v[62:63], v[6:7], v[72:73], v[62:63] op_sel_hi:[1,0,1]
	v_pk_fma_f32 v[60:61], v[14:15], v[72:73], v[60:61] op_sel_hi:[1,0,1]
	;; [unrolled: 1-line block ×4, first 2 shown]
	v_pk_fma_f32 v[6:7], v[6:7], v[72:73], v[62:63] op_sel:[1,1,0] op_sel_hi:[0,1,1] neg_lo:[1,0,0]
	v_pk_fma_f32 v[14:15], v[14:15], v[72:73], v[60:61] op_sel:[1,1,0] op_sel_hi:[0,1,1] neg_lo:[1,0,0]
	;; [unrolled: 1-line block ×4, first 2 shown]
	v_mov_b32_e32 v92, v75
	v_pk_fma_f32 v[6:7], v[8:9], v[74:75], v[6:7] op_sel_hi:[1,0,1]
	v_pk_fma_f32 v[8:9], v[16:17], v[74:75], v[14:15] op_sel_hi:[1,0,1]
	;; [unrolled: 1-line block ×8, first 2 shown]
	s_waitcnt vmcnt(0)
	v_pk_fma_f32 v[6:7], v[10:11], v[76:77], v[6:7] op_sel_hi:[1,0,1]
	v_pk_fma_f32 v[8:9], v[18:19], v[76:77], v[8:9] op_sel_hi:[1,0,1]
	;; [unrolled: 1-line block ×4, first 2 shown]
	v_pk_fma_f32 v[6:7], v[10:11], v[76:77], v[6:7] op_sel:[1,1,0] op_sel_hi:[0,1,1] neg_lo:[1,0,0]
	v_pk_fma_f32 v[8:9], v[18:19], v[76:77], v[8:9] op_sel:[1,1,0] op_sel_hi:[0,1,1] neg_lo:[1,0,0]
	v_pk_fma_f32 v[10:11], v[22:23], v[76:77], v[14:15] op_sel:[1,1,0] op_sel_hi:[0,1,1] neg_lo:[1,0,0]
	v_pk_fma_f32 v[14:15], v[64:65], v[76:77], v[16:17] op_sel:[1,1,0] op_sel_hi:[0,1,1] neg_lo:[1,0,0]
	v_mov_b32_e32 v94, v79
	v_pk_fma_f32 v[6:7], v[12:13], v[78:79], v[6:7] op_sel_hi:[1,0,1]
	v_pk_fma_f32 v[8:9], v[20:21], v[78:79], v[8:9] op_sel_hi:[1,0,1]
	;; [unrolled: 1-line block ×8, first 2 shown]
	s_andn2_b64 exec, exec, s[14:15]
	s_cbranch_execnz .LBB53_15
; %bb.16:
	s_or_b64 exec, exec, s[14:15]
.LBB53_17:
	s_or_b64 exec, exec, s[10:11]
	s_mov_b64 s[10:11], 0x5f
	v_cmp_lt_u64_e32 vcc, s[10:11], v[0:1]
	s_and_saveexec_b64 s[10:11], vcc
	s_cbranch_execz .LBB53_21
; %bb.18:
	v_lshl_add_u64 v[0:1], v[32:33], 3, s[12:13]
	s_mov_b64 s[14:15], 0x200
	v_lshl_add_u64 v[34:35], v[0:1], 0, s[14:15]
	s_mov_b64 s[14:15], 0
	s_mov_b64 s[16:17], 0x1000
	;; [unrolled: 1-line block ×3, first 2 shown]
	s_movk_i32 s28, 0x2000
	s_mov_b64 s[20:21], 0x3000
	s_movk_i32 s29, 0x3000
	s_mov_b64 s[22:23], 0x80
	s_mov_b64 s[24:25], 0x400
	;; [unrolled: 1-line block ×3, first 2 shown]
.LBB53_19:                              ; =>This Inner Loop Header: Depth=1
	global_load_dwordx2 v[0:1], v[34:35], off offset:-512
	v_lshl_add_u64 v[90:91], v[30:31], 0, s[16:17]
	v_lshl_add_u64 v[32:33], v[32:33], 0, s[22:23]
	s_waitcnt vmcnt(0)
	v_sub_co_u32_e32 v0, vcc, v0, v48
	s_nop 1
	v_subb_co_u32_e32 v1, vcc, v1, v49, vcc
	v_lshlrev_b64 v[0:1], 5, v[0:1]
	v_lshl_add_u64 v[4:5], s[2:3], 0, v[0:1]
	global_load_dwordx4 v[0:3], v[4:5], off offset:16
	global_load_dwordx4 v[12:15], v[4:5], off
	global_load_dwordx2 v[6:7], v[34:35], off offset:-256
	s_waitcnt vmcnt(2)
	v_mov_b32_e32 v88, v3
	s_waitcnt vmcnt(1)
	v_mov_b32_e32 v38, v15
	s_waitcnt vmcnt(0)
	v_sub_co_u32_e32 v4, vcc, v6, v48
	s_nop 1
	v_subb_co_u32_e32 v5, vcc, v7, v49, vcc
	v_lshlrev_b64 v[4:5], 5, v[4:5]
	v_lshl_add_u64 v[36:37], s[2:3], 0, v[4:5]
	global_load_dwordx4 v[4:7], v[36:37], off offset:16
	global_load_dwordx4 v[8:11], v[36:37], off
	global_load_dwordx4 v[24:27], v[30:31], off offset:48
	global_load_dwordx4 v[64:67], v[30:31], off offset:32
	;; [unrolled: 1-line block ×3, first 2 shown]
	global_load_dwordx4 v[20:23], v[30:31], off
	s_waitcnt vmcnt(2)
	v_pk_fma_f32 v[60:61], v[64:65], v[12:13], v[60:61] op_sel_hi:[1,0,1]
	s_nop 0
	v_pk_fma_f32 v[60:61], v[64:65], v[12:13], v[60:61] op_sel:[1,1,0] op_sel_hi:[0,1,1] neg_lo:[1,0,0]
	s_waitcnt vmcnt(0)
	v_pk_fma_f32 v[36:37], v[20:21], v[12:13], v[62:63] op_sel_hi:[1,0,1]
	v_pk_fma_f32 v[60:61], v[66:67], v[14:15], v[60:61] op_sel_hi:[1,0,1]
	v_pk_fma_f32 v[20:21], v[20:21], v[12:13], v[36:37] op_sel:[1,1,0] op_sel_hi:[0,1,1] neg_lo:[1,0,0]
	v_xor_b32_e32 v36, 0x80000000, v23
	v_pk_fma_f32 v[20:21], v[22:23], v[14:15], v[20:21] op_sel_hi:[1,0,1]
	v_mov_b32_e32 v37, v22
	v_pk_fma_f32 v[20:21], v[36:37], v[38:39], v[20:21] op_sel_hi:[1,0,1]
	v_add_co_u32_e32 v36, vcc, s28, v30
	v_pk_fma_f32 v[20:21], v[16:17], v[0:1], v[20:21] op_sel_hi:[1,0,1]
	s_nop 0
	v_addc_co_u32_e32 v37, vcc, 0, v31, vcc
	v_pk_fma_f32 v[16:17], v[16:17], v[0:1], v[20:21] op_sel:[1,1,0] op_sel_hi:[0,1,1] neg_lo:[1,0,0]
	v_xor_b32_e32 v20, 0x80000000, v19
	v_pk_fma_f32 v[16:17], v[18:19], v[2:3], v[16:17] op_sel_hi:[1,0,1]
	v_mov_b32_e32 v21, v18
	v_pk_fma_f32 v[62:63], v[20:21], v[88:89], v[16:17] op_sel_hi:[1,0,1]
	global_load_dwordx4 v[68:71], v[36:37], off offset:-4096
	global_load_dwordx4 v[16:19], v[90:91], off offset:48
	global_load_dwordx4 v[20:23], v[90:91], off offset:32
	;; [unrolled: 1-line block ×3, first 2 shown]
	s_waitcnt vmcnt(3)
	v_pk_fma_f32 v[62:63], v[68:69], v[8:9], v[62:63] op_sel_hi:[1,0,1]
	s_nop 0
	v_pk_fma_f32 v[68:69], v[68:69], v[8:9], v[62:63] op_sel:[1,1,0] op_sel_hi:[0,1,1] neg_lo:[1,0,0]
	v_xor_b32_e32 v62, 0x80000000, v67
	v_mov_b32_e32 v63, v66
	v_pk_fma_f32 v[60:61], v[62:63], v[38:39], v[60:61] op_sel_hi:[1,0,1]
	s_nop 0
	v_pk_fma_f32 v[60:61], v[24:25], v[0:1], v[60:61] op_sel_hi:[1,0,1]
	s_nop 0
	v_pk_fma_f32 v[24:25], v[24:25], v[0:1], v[60:61] op_sel:[1,1,0] op_sel_hi:[0,1,1] neg_lo:[1,0,0]
	v_xor_b32_e32 v60, 0x80000000, v27
	v_pk_fma_f32 v[24:25], v[26:27], v[2:3], v[24:25] op_sel_hi:[1,0,1]
	v_mov_b32_e32 v61, v26
	v_pk_fma_f32 v[24:25], v[60:61], v[88:89], v[24:25] op_sel_hi:[1,0,1]
	s_waitcnt vmcnt(1)
	v_pk_fma_f32 v[24:25], v[20:21], v[8:9], v[24:25] op_sel_hi:[1,0,1]
	s_nop 0
	v_pk_fma_f32 v[20:21], v[20:21], v[8:9], v[24:25] op_sel:[1,1,0] op_sel_hi:[0,1,1] neg_lo:[1,0,0]
	global_load_dwordx4 v[24:27], v[30:31], off offset:112
	global_load_dwordx4 v[60:63], v[30:31], off offset:96
	;; [unrolled: 1-line block ×4, first 2 shown]
	v_pk_fma_f32 v[20:21], v[22:23], v[10:11], v[20:21] op_sel_hi:[1,0,1]
	s_waitcnt vmcnt(2)
	v_pk_fma_f32 v[56:57], v[60:61], v[12:13], v[56:57] op_sel_hi:[1,0,1]
	s_waitcnt vmcnt(0)
	v_pk_fma_f32 v[58:59], v[76:77], v[12:13], v[58:59] op_sel_hi:[1,0,1]
	s_nop 0
	v_pk_fma_f32 v[58:59], v[76:77], v[12:13], v[58:59] op_sel:[1,1,0] op_sel_hi:[0,1,1] neg_lo:[1,0,0]
	v_xor_b32_e32 v76, 0x80000000, v79
	v_pk_fma_f32 v[58:59], v[78:79], v[14:15], v[58:59] op_sel_hi:[1,0,1]
	v_mov_b32_e32 v77, v78
	v_pk_fma_f32 v[58:59], v[76:77], v[38:39], v[58:59] op_sel_hi:[1,0,1]
	v_pk_fma_f32 v[12:13], v[60:61], v[12:13], v[56:57] op_sel:[1,1,0] op_sel_hi:[0,1,1] neg_lo:[1,0,0]
	v_pk_fma_f32 v[58:59], v[64:65], v[0:1], v[58:59] op_sel_hi:[1,0,1]
	v_xor_b32_e32 v56, 0x80000000, v63
	v_pk_fma_f32 v[58:59], v[64:65], v[0:1], v[58:59] op_sel:[1,1,0] op_sel_hi:[0,1,1] neg_lo:[1,0,0]
	v_xor_b32_e32 v64, 0x80000000, v67
	v_pk_fma_f32 v[58:59], v[66:67], v[2:3], v[58:59] op_sel_hi:[1,0,1]
	v_mov_b32_e32 v65, v66
	v_pk_fma_f32 v[58:59], v[64:65], v[88:89], v[58:59] op_sel_hi:[1,0,1]
	global_load_dwordx4 v[64:67], v[90:91], off offset:112
	global_load_dwordx4 v[76:79], v[90:91], off offset:96
	;; [unrolled: 1-line block ×4, first 2 shown]
	v_pk_fma_f32 v[12:13], v[62:63], v[14:15], v[12:13] op_sel_hi:[1,0,1]
	v_mov_b32_e32 v57, v62
	v_pk_fma_f32 v[12:13], v[56:57], v[38:39], v[12:13] op_sel_hi:[1,0,1]
	v_lshl_add_u64 v[38:39], v[30:31], 0, s[18:19]
	v_pk_fma_f32 v[12:13], v[24:25], v[0:1], v[12:13] op_sel_hi:[1,0,1]
	s_waitcnt vmcnt(0)
	v_pk_fma_f32 v[58:59], v[84:85], v[8:9], v[58:59] op_sel_hi:[1,0,1]
	v_pk_fma_f32 v[0:1], v[24:25], v[0:1], v[12:13] op_sel:[1,1,0] op_sel_hi:[0,1,1] neg_lo:[1,0,0]
	v_xor_b32_e32 v12, 0x80000000, v27
	v_pk_fma_f32 v[0:1], v[26:27], v[2:3], v[0:1] op_sel_hi:[1,0,1]
	v_mov_b32_e32 v13, v26
	v_pk_fma_f32 v[0:1], v[12:13], v[88:89], v[0:1] op_sel_hi:[1,0,1]
	v_pk_fma_f32 v[84:85], v[84:85], v[8:9], v[58:59] op_sel:[1,1,0] op_sel_hi:[0,1,1] neg_lo:[1,0,0]
	v_pk_fma_f32 v[0:1], v[76:77], v[8:9], v[0:1] op_sel_hi:[1,0,1]
	v_pk_fma_f32 v[12:13], v[70:71], v[10:11], v[68:69] op_sel_hi:[1,0,1]
	v_pk_fma_f32 v[62:63], v[76:77], v[8:9], v[0:1] op_sel:[1,1,0] op_sel_hi:[0,1,1] neg_lo:[1,0,0]
	global_load_dwordx2 v[0:1], v[34:35], off
	v_mov_b32_e32 v76, v11
	v_mov_b32_e32 v88, v7
	s_waitcnt vmcnt(0)
	v_sub_co_u32_e32 v0, vcc, v0, v48
	s_nop 1
	v_subb_co_u32_e32 v1, vcc, v1, v49, vcc
	v_lshlrev_b64 v[0:1], 5, v[0:1]
	v_lshl_add_u64 v[8:9], s[2:3], 0, v[0:1]
	global_load_dwordx4 v[0:3], v[8:9], off offset:16
	global_load_dwordx4 v[58:61], v[8:9], off
	v_xor_b32_e32 v8, 0x80000000, v71
	v_mov_b32_e32 v9, v70
	v_pk_fma_f32 v[8:9], v[8:9], v[76:77], v[12:13] op_sel_hi:[1,0,1]
	v_xor_b32_e32 v12, 0x80000000, v75
	v_pk_fma_f32 v[8:9], v[72:73], v[4:5], v[8:9] op_sel_hi:[1,0,1]
	v_mov_b32_e32 v13, v74
	v_pk_fma_f32 v[8:9], v[72:73], v[4:5], v[8:9] op_sel:[1,1,0] op_sel_hi:[0,1,1] neg_lo:[1,0,0]
	v_pk_fma_f32 v[8:9], v[74:75], v[6:7], v[8:9] op_sel_hi:[1,0,1]
	s_waitcnt vmcnt(0)
	v_mov_b32_e32 v90, v61
	v_pk_fma_f32 v[8:9], v[12:13], v[88:89], v[8:9] op_sel_hi:[1,0,1]
	global_load_dwordx4 v[68:71], v[36:37], off
	global_load_dwordx4 v[12:15], v[38:39], off offset:48
	global_load_dwordx4 v[72:75], v[38:39], off offset:32
	;; [unrolled: 1-line block ×3, first 2 shown]
	s_waitcnt vmcnt(3)
	v_pk_fma_f32 v[8:9], v[68:69], v[58:59], v[8:9] op_sel_hi:[1,0,1]
	s_nop 0
	v_pk_fma_f32 v[8:9], v[68:69], v[58:59], v[8:9] op_sel:[1,1,0] op_sel_hi:[0,1,1] neg_lo:[1,0,0]
	v_xor_b32_e32 v36, 0x80000000, v71
	v_pk_fma_f32 v[8:9], v[70:71], v[60:61], v[8:9] op_sel_hi:[1,0,1]
	v_mov_b32_e32 v37, v70
	v_pk_fma_f32 v[8:9], v[36:37], v[90:91], v[8:9] op_sel_hi:[1,0,1]
	s_waitcnt vmcnt(0)
	v_xor_b32_e32 v92, 0x80000000, v25
	v_pk_fma_f32 v[94:95], v[24:25], v[0:1], v[8:9] op_sel_hi:[1,0,1]
	v_xor_b32_e32 v8, 0x80000000, v23
	v_mov_b32_e32 v9, v22
	v_pk_fma_f32 v[8:9], v[8:9], v[76:77], v[20:21] op_sel_hi:[1,0,1]
	v_mov_b32_e32 v93, v24
	v_pk_fma_f32 v[8:9], v[16:17], v[4:5], v[8:9] op_sel_hi:[1,0,1]
	v_xor_b32_e32 v24, 0x80000000, v27
	v_pk_fma_f32 v[8:9], v[16:17], v[4:5], v[8:9] op_sel:[1,1,0] op_sel_hi:[0,1,1] neg_lo:[1,0,0]
	v_xor_b32_e32 v16, 0x80000000, v19
	v_pk_fma_f32 v[8:9], v[18:19], v[6:7], v[8:9] op_sel_hi:[1,0,1]
	v_mov_b32_e32 v17, v18
	v_pk_fma_f32 v[8:9], v[16:17], v[88:89], v[8:9] op_sel_hi:[1,0,1]
	v_xor_b32_e32 v16, 0x80000000, v75
	v_pk_fma_f32 v[8:9], v[72:73], v[58:59], v[8:9] op_sel_hi:[1,0,1]
	v_mov_b32_e32 v17, v74
	v_pk_fma_f32 v[8:9], v[72:73], v[58:59], v[8:9] op_sel:[1,1,0] op_sel_hi:[0,1,1] neg_lo:[1,0,0]
	v_pk_fma_f32 v[8:9], v[74:75], v[60:61], v[8:9] op_sel_hi:[1,0,1]
	v_pk_fma_f32 v[18:19], v[86:87], v[10:11], v[84:85] op_sel_hi:[1,0,1]
	;; [unrolled: 1-line block ×5, first 2 shown]
	v_xor_b32_e32 v16, 0x80000000, v87
	v_mov_b32_e32 v17, v86
	v_pk_fma_f32 v[16:17], v[16:17], v[76:77], v[18:19] op_sel_hi:[1,0,1]
	v_xor_b32_e32 v18, 0x80000000, v83
	v_pk_fma_f32 v[16:17], v[80:81], v[4:5], v[16:17] op_sel_hi:[1,0,1]
	v_mov_b32_e32 v19, v82
	v_pk_fma_f32 v[16:17], v[80:81], v[4:5], v[16:17] op_sel:[1,1,0] op_sel_hi:[0,1,1] neg_lo:[1,0,0]
	v_pk_fma_f32 v[16:17], v[82:83], v[6:7], v[16:17] op_sel_hi:[1,0,1]
	v_mov_b32_e32 v25, v26
	v_pk_fma_f32 v[56:57], v[18:19], v[88:89], v[16:17] op_sel_hi:[1,0,1]
	global_load_dwordx4 v[16:19], v[38:39], off offset:112
	global_load_dwordx4 v[68:71], v[38:39], off offset:96
	;; [unrolled: 1-line block ×4, first 2 shown]
	v_mov_b32_e32 v80, v3
	v_lshl_add_u64 v[82:83], v[30:31], 0, s[20:21]
	v_xor_b32_e32 v8, 0x80000000, v13
	v_mov_b32_e32 v9, v12
	v_pk_fma_f32 v[8:9], v[8:9], v[0:1], v[36:37] op_sel:[0,1,0]
	s_waitcnt vmcnt(0)
	v_pk_fma_f32 v[38:39], v[72:73], v[58:59], v[56:57] op_sel_hi:[1,0,1]
	s_nop 0
	v_pk_fma_f32 v[38:39], v[72:73], v[58:59], v[38:39] op_sel:[1,1,0] op_sel_hi:[0,1,1] neg_lo:[1,0,0]
	v_xor_b32_e32 v72, 0x80000000, v79
	v_mov_b32_e32 v73, v78
	v_pk_fma_f32 v[10:11], v[72:73], v[76:77], v[10:11] op_sel_hi:[1,0,1]
	v_xor_b32_e32 v56, 0x80000000, v75
	v_pk_fma_f32 v[10:11], v[64:65], v[4:5], v[10:11] op_sel_hi:[1,0,1]
	v_pk_fma_f32 v[38:39], v[74:75], v[60:61], v[38:39] op_sel_hi:[1,0,1]
	v_pk_fma_f32 v[4:5], v[64:65], v[4:5], v[10:11] op_sel:[1,1,0] op_sel_hi:[0,1,1] neg_lo:[1,0,0]
	v_xor_b32_e32 v10, 0x80000000, v67
	v_pk_fma_f32 v[4:5], v[66:67], v[6:7], v[4:5] op_sel_hi:[1,0,1]
	v_mov_b32_e32 v11, v66
	v_pk_fma_f32 v[4:5], v[10:11], v[88:89], v[4:5] op_sel_hi:[1,0,1]
	global_load_dwordx2 v[10:11], v[34:35], off offset:256
	v_pk_fma_f32 v[4:5], v[68:69], v[58:59], v[4:5] op_sel_hi:[1,0,1]
	v_xor_b32_e32 v6, 0x80000000, v71
	v_pk_fma_f32 v[4:5], v[68:69], v[58:59], v[4:5] op_sel:[1,1,0] op_sel_hi:[0,1,1] neg_lo:[1,0,0]
	v_pk_fma_f32 v[4:5], v[70:71], v[60:61], v[4:5] op_sel_hi:[1,0,1]
	v_mov_b32_e32 v7, v70
	v_mov_b32_e32 v57, v74
	v_pk_fma_f32 v[8:9], v[14:15], v[2:3], v[8:9] op_sel_hi:[1,0,1]
	v_pk_fma_f32 v[56:57], v[56:57], v[90:91], v[38:39] op_sel_hi:[1,0,1]
	v_xor_b32_e32 v38, 0x80000000, v21
	v_pk_fma_f32 v[56:57], v[20:21], v[0:1], v[56:57] op_sel_hi:[1,0,1]
	v_mov_b32_e32 v39, v20
	v_pk_fma_f32 v[6:7], v[6:7], v[90:91], v[4:5] op_sel_hi:[1,0,1]
	v_xor_b32_e32 v4, 0x80000000, v17
	v_pk_fma_f32 v[6:7], v[16:17], v[0:1], v[6:7] op_sel_hi:[1,0,1]
	v_mov_b32_e32 v5, v16
	v_lshl_add_u64 v[34:35], v[34:35], 0, s[24:25]
	s_waitcnt vmcnt(0)
	v_sub_co_u32_e32 v10, vcc, v10, v48
	s_nop 1
	v_subb_co_u32_e32 v11, vcc, v11, v49, vcc
	v_lshlrev_b64 v[10:11], 5, v[10:11]
	v_lshl_add_u64 v[10:11], s[2:3], 0, v[10:11]
	global_load_dwordx4 v[64:67], v[10:11], off offset:16
	global_load_dwordx4 v[68:71], v[10:11], off
	v_pk_fma_f32 v[10:11], v[92:93], v[0:1], v[94:95] op_sel:[0,1,0]
	v_add_co_u32_e32 v62, vcc, s29, v30
	v_pk_fma_f32 v[10:11], v[26:27], v[2:3], v[10:11] op_sel_hi:[1,0,1]
	s_nop 0
	v_addc_co_u32_e32 v63, vcc, 0, v31, vcc
	v_pk_fma_f32 v[10:11], v[24:25], v[80:81], v[10:11] op_sel_hi:[1,0,1]
	global_load_dwordx4 v[24:27], v[62:63], off
	global_load_dwordx4 v[58:61], v[82:83], off offset:48
	global_load_dwordx4 v[72:75], v[82:83], off offset:32
	;; [unrolled: 1-line block ×3, first 2 shown]
	v_cmp_ge_i64_e32 vcc, v[32:33], v[52:53]
	v_lshl_add_u64 v[30:31], v[30:31], 0, s[26:27]
	s_or_b64 s[14:15], vcc, s[14:15]
	s_waitcnt vmcnt(4)
	v_mov_b32_e32 v84, v71
	s_waitcnt vmcnt(3)
	v_pk_fma_f32 v[10:11], v[24:25], v[68:69], v[10:11] op_sel_hi:[1,0,1]
	s_nop 0
	v_pk_fma_f32 v[10:11], v[24:25], v[68:69], v[10:11] op_sel:[1,1,0] op_sel_hi:[0,1,1] neg_lo:[1,0,0]
	v_xor_b32_e32 v24, 0x80000000, v27
	v_pk_fma_f32 v[10:11], v[26:27], v[70:71], v[10:11] op_sel_hi:[1,0,1]
	v_mov_b32_e32 v25, v26
	v_pk_fma_f32 v[10:11], v[24:25], v[84:85], v[10:11] op_sel_hi:[1,0,1]
	s_waitcnt vmcnt(0)
	v_xor_b32_e32 v24, 0x80000000, v79
	v_pk_fma_f32 v[10:11], v[76:77], v[64:65], v[10:11] op_sel_hi:[1,0,1]
	v_mov_b32_e32 v25, v78
	v_pk_fma_f32 v[10:11], v[76:77], v[64:65], v[10:11] op_sel:[1,1,0] op_sel_hi:[0,1,1] neg_lo:[1,0,0]
	v_pk_fma_f32 v[10:11], v[78:79], v[66:67], v[10:11] op_sel_hi:[1,0,1]
	v_mov_b32_e32 v76, v67
	v_pk_fma_f32 v[62:63], v[24:25], v[76:77], v[10:11] op_sel_hi:[1,0,1]
	v_xor_b32_e32 v10, 0x80000000, v15
	v_mov_b32_e32 v11, v14
	v_pk_fma_f32 v[8:9], v[10:11], v[80:81], v[8:9] op_sel_hi:[1,0,1]
	v_xor_b32_e32 v10, 0x80000000, v75
	v_pk_fma_f32 v[8:9], v[72:73], v[68:69], v[8:9] op_sel_hi:[1,0,1]
	v_mov_b32_e32 v11, v74
	v_pk_fma_f32 v[8:9], v[72:73], v[68:69], v[8:9] op_sel:[1,1,0] op_sel_hi:[0,1,1] neg_lo:[1,0,0]
	v_pk_fma_f32 v[8:9], v[74:75], v[70:71], v[8:9] op_sel_hi:[1,0,1]
	s_nop 0
	v_pk_fma_f32 v[8:9], v[10:11], v[84:85], v[8:9] op_sel_hi:[1,0,1]
	v_xor_b32_e32 v10, 0x80000000, v61
	v_pk_fma_f32 v[8:9], v[58:59], v[64:65], v[8:9] op_sel_hi:[1,0,1]
	v_mov_b32_e32 v11, v60
	v_pk_fma_f32 v[8:9], v[58:59], v[64:65], v[8:9] op_sel:[1,1,0] op_sel_hi:[0,1,1] neg_lo:[1,0,0]
	v_pk_fma_f32 v[8:9], v[60:61], v[66:67], v[8:9] op_sel_hi:[1,0,1]
	s_nop 0
	v_pk_fma_f32 v[60:61], v[10:11], v[76:77], v[8:9] op_sel_hi:[1,0,1]
	v_pk_fma_f32 v[8:9], v[38:39], v[0:1], v[56:57] op_sel:[0,1,0]
	v_xor_b32_e32 v10, 0x80000000, v23
	v_pk_fma_f32 v[8:9], v[22:23], v[2:3], v[8:9] op_sel_hi:[1,0,1]
	v_mov_b32_e32 v11, v22
	v_pk_fma_f32 v[36:37], v[10:11], v[80:81], v[8:9] op_sel_hi:[1,0,1]
	global_load_dwordx4 v[8:11], v[82:83], off offset:112
	global_load_dwordx4 v[12:15], v[82:83], off offset:96
	;; [unrolled: 1-line block ×4, first 2 shown]
	v_pk_fma_f32 v[0:1], v[4:5], v[0:1], v[6:7] op_sel:[0,1,0]
	v_xor_b32_e32 v4, 0x80000000, v19
	v_pk_fma_f32 v[0:1], v[18:19], v[2:3], v[0:1] op_sel_hi:[1,0,1]
	v_mov_b32_e32 v5, v18
	v_pk_fma_f32 v[0:1], v[4:5], v[80:81], v[0:1] op_sel_hi:[1,0,1]
	s_waitcnt vmcnt(2)
	v_xor_b32_e32 v2, 0x80000000, v15
	v_pk_fma_f32 v[0:1], v[12:13], v[68:69], v[0:1] op_sel_hi:[1,0,1]
	s_waitcnt vmcnt(0)
	v_pk_fma_f32 v[36:37], v[24:25], v[68:69], v[36:37] op_sel_hi:[1,0,1]
	v_pk_fma_f32 v[0:1], v[12:13], v[68:69], v[0:1] op_sel:[1,1,0] op_sel_hi:[0,1,1] neg_lo:[1,0,0]
	v_pk_fma_f32 v[24:25], v[24:25], v[68:69], v[36:37] op_sel:[1,1,0] op_sel_hi:[0,1,1] neg_lo:[1,0,0]
	v_xor_b32_e32 v36, 0x80000000, v27
	v_pk_fma_f32 v[24:25], v[26:27], v[70:71], v[24:25] op_sel_hi:[1,0,1]
	v_mov_b32_e32 v37, v26
	v_pk_fma_f32 v[0:1], v[14:15], v[70:71], v[0:1] op_sel_hi:[1,0,1]
	v_mov_b32_e32 v3, v14
	v_pk_fma_f32 v[24:25], v[36:37], v[84:85], v[24:25] op_sel_hi:[1,0,1]
	v_pk_fma_f32 v[0:1], v[2:3], v[84:85], v[0:1] op_sel_hi:[1,0,1]
	;; [unrolled: 1-line block ×4, first 2 shown]
	v_pk_fma_f32 v[20:21], v[20:21], v[64:65], v[24:25] op_sel:[1,1,0] op_sel_hi:[0,1,1] neg_lo:[1,0,0]
	v_pk_fma_f32 v[0:1], v[8:9], v[64:65], v[0:1] op_sel:[1,1,0] op_sel_hi:[0,1,1] neg_lo:[1,0,0]
	v_xor_b32_e32 v24, 0x80000000, v23
	v_pk_fma_f32 v[20:21], v[22:23], v[66:67], v[20:21] op_sel_hi:[1,0,1]
	v_mov_b32_e32 v25, v22
	v_xor_b32_e32 v2, 0x80000000, v11
	v_pk_fma_f32 v[0:1], v[10:11], v[66:67], v[0:1] op_sel_hi:[1,0,1]
	v_mov_b32_e32 v3, v10
	v_pk_fma_f32 v[58:59], v[24:25], v[76:77], v[20:21] op_sel_hi:[1,0,1]
	v_pk_fma_f32 v[56:57], v[2:3], v[76:77], v[0:1] op_sel_hi:[1,0,1]
	s_andn2_b64 exec, exec, s[14:15]
	s_cbranch_execnz .LBB53_19
; %bb.20:
	s_or_b64 exec, exec, s[14:15]
.LBB53_21:
	s_or_b64 exec, exec, s[10:11]
	v_mov_b32_e32 v47, v63
.LBB53_22:
	s_or_b64 exec, exec, s[8:9]
	s_cbranch_execz .LBB53_24
	s_branch .LBB53_35
.LBB53_23:
                                        ; implicit-def: $vgpr62
                                        ; implicit-def: $vgpr57
                                        ; implicit-def: $vgpr59
                                        ; implicit-def: $vgpr61
.LBB53_24:
	v_mov_b32_e32 v47, 0
	v_mov_b32_e32 v62, 0
	;; [unrolled: 1-line block ×8, first 2 shown]
	s_and_saveexec_b64 s[8:9], s[4:5]
	s_cbranch_execz .LBB53_34
; %bb.25:
	v_or_b32_e32 v0, 32, v46
	v_sub_co_u32_e32 v0, vcc, v0, v48
	v_not_b32_e32 v3, v29
	s_nop 0
	v_subb_co_u32_e32 v1, vcc, 0, v49, vcc
	v_lshl_add_u64 v[0:1], v[0:1], 0, v[28:29]
	v_cmp_gt_i64_e32 vcc, v[0:1], v[52:53]
	v_not_b32_e32 v2, v28
	v_mov_b32_e32 v61, 0
	v_cndmask_b32_e32 v1, v53, v1, vcc
	v_cndmask_b32_e32 v0, v52, v0, vcc
	v_sub_co_u32_e32 v4, vcc, v48, v46
	s_mov_b64 s[4:5], 0x60
	s_nop 0
	v_subbrev_co_u32_e32 v5, vcc, 0, v49, vcc
	v_lshl_add_u64 v[2:3], v[4:5], 0, v[2:3]
	v_lshl_add_u64 v[0:1], v[2:3], 0, v[0:1]
	v_and_b32_e32 v60, 0x60, v0
	v_cmp_ne_u64_e32 vcc, s[4:5], v[60:61]
	v_mov_b32_e32 v60, v61
	v_mov_b32_e32 v59, v61
	;; [unrolled: 1-line block ×7, first 2 shown]
	s_and_saveexec_b64 s[4:5], vcc
	s_cbranch_execz .LBB53_29
; %bb.26:
	v_lshrrev_b32_e32 v2, 5, v0
	v_add_u32_e32 v2, 1, v2
	v_and_b32_e32 v4, 3, v2
	v_sub_co_u32_e32 v4, vcc, 0, v4
	v_mov_b32_e32 v60, 0
	s_nop 0
	v_subb_co_u32_e64 v5, s[14:15], 0, 0, vcc
	v_lshl_add_u64 v[2:3], v[50:51], 3, s[12:13]
	s_mov_b64 s[10:11], 0
	s_mov_b64 s[14:15], 0x1000
	s_mov_b64 s[16:17], 0x100
	v_mov_b32_e32 v61, v60
	v_mov_b32_e32 v58, v60
	;; [unrolled: 1-line block ×7, first 2 shown]
.LBB53_27:                              ; =>This Inner Loop Header: Depth=1
	global_load_dwordx2 v[34:35], v[2:3], off
	global_load_dwordx4 v[6:9], v[54:55], off offset:16
	global_load_dwordx4 v[10:13], v[54:55], off
	global_load_dwordx4 v[14:17], v[54:55], off offset:48
	global_load_dwordx4 v[18:21], v[54:55], off offset:32
	global_load_dwordx4 v[22:25], v[54:55], off offset:80
	global_load_dwordx4 v[26:29], v[54:55], off offset:64
	global_load_dwordx4 v[30:33], v[54:55], off offset:96
	v_lshl_add_u64 v[4:5], v[4:5], 0, 1
	v_lshl_add_u64 v[50:51], v[50:51], 0, 32
	;; [unrolled: 1-line block ×3, first 2 shown]
	s_waitcnt vmcnt(7)
	v_sub_co_u32_e32 v34, vcc, v34, v48
	s_nop 1
	v_subb_co_u32_e32 v35, vcc, v35, v49, vcc
	v_lshlrev_b64 v[34:35], 5, v[34:35]
	v_lshl_add_u64 v[38:39], s[2:3], 0, v[34:35]
	global_load_dwordx4 v[34:37], v[38:39], off offset:16
	global_load_dwordx4 v[64:67], v[38:39], off
	global_load_dwordx4 v[68:71], v[54:55], off offset:112
	s_waitcnt vmcnt(8)
	v_xor_b32_e32 v38, 0x80000000, v13
	v_mov_b32_e32 v39, v12
	v_xor_b32_e32 v78, 0x80000000, v9
	v_mov_b32_e32 v79, v8
	s_waitcnt vmcnt(6)
	v_xor_b32_e32 v72, 0x80000000, v21
	v_mov_b32_e32 v73, v20
	v_xor_b32_e32 v80, 0x80000000, v17
	v_mov_b32_e32 v81, v16
	;; [unrolled: 5-line block ×3, first 2 shown]
	v_cmp_eq_u64_e32 vcc, 0, v[4:5]
	s_waitcnt vmcnt(3)
	v_xor_b32_e32 v76, 0x80000000, v33
	v_mov_b32_e32 v77, v32
	v_lshl_add_u64 v[54:55], v[54:55], 0, s[14:15]
	s_or_b64 s[10:11], vcc, s[10:11]
	s_waitcnt vmcnt(2)
	v_mov_b32_e32 v88, v37
	s_waitcnt vmcnt(1)
	v_pk_fma_f32 v[62:63], v[10:11], v[64:65], v[62:63] op_sel_hi:[1,0,1]
	v_pk_fma_f32 v[12:13], v[12:13], v[64:65], v[60:61] op_sel_hi:[1,0,1]
	;; [unrolled: 1-line block ×4, first 2 shown]
	v_pk_fma_f32 v[10:11], v[10:11], v[64:65], v[62:63] op_sel:[1,1,0] op_sel_hi:[0,1,1] neg_lo:[1,0,0]
	v_pk_fma_f32 v[12:13], v[38:39], v[64:65], v[12:13] op_sel:[0,1,0]
	v_pk_fma_f32 v[6:7], v[6:7], v[64:65], v[58:59] op_sel:[1,1,0] op_sel_hi:[0,1,1] neg_lo:[1,0,0]
	v_pk_fma_f32 v[8:9], v[78:79], v[64:65], v[8:9] op_sel:[0,1,0]
	v_mov_b32_e32 v86, v67
	v_pk_fma_f32 v[10:11], v[18:19], v[66:67], v[10:11] op_sel_hi:[1,0,1]
	v_pk_fma_f32 v[12:13], v[20:21], v[66:67], v[12:13] op_sel_hi:[1,0,1]
	;; [unrolled: 1-line block ×4, first 2 shown]
	v_pk_fma_f32 v[10:11], v[18:19], v[86:87], v[10:11] op_sel:[1,0,0] op_sel_hi:[0,0,1] neg_lo:[1,0,0]
	v_pk_fma_f32 v[12:13], v[72:73], v[86:87], v[12:13] op_sel_hi:[1,0,1]
	v_pk_fma_f32 v[6:7], v[14:15], v[86:87], v[6:7] op_sel:[1,0,0] op_sel_hi:[0,0,1] neg_lo:[1,0,0]
	v_pk_fma_f32 v[8:9], v[80:81], v[86:87], v[8:9] op_sel_hi:[1,0,1]
	v_pk_fma_f32 v[10:11], v[26:27], v[34:35], v[10:11] op_sel_hi:[1,0,1]
	v_pk_fma_f32 v[12:13], v[28:29], v[34:35], v[12:13] op_sel_hi:[1,0,1]
	v_pk_fma_f32 v[6:7], v[22:23], v[34:35], v[6:7] op_sel_hi:[1,0,1]
	v_pk_fma_f32 v[8:9], v[24:25], v[34:35], v[8:9] op_sel_hi:[1,0,1]
	v_pk_fma_f32 v[10:11], v[26:27], v[34:35], v[10:11] op_sel:[1,1,0] op_sel_hi:[0,1,1] neg_lo:[1,0,0]
	v_pk_fma_f32 v[12:13], v[74:75], v[34:35], v[12:13] op_sel:[0,1,0]
	v_pk_fma_f32 v[6:7], v[22:23], v[34:35], v[6:7] op_sel:[1,1,0] op_sel_hi:[0,1,1] neg_lo:[1,0,0]
	v_pk_fma_f32 v[8:9], v[82:83], v[34:35], v[8:9] op_sel:[0,1,0]
	s_waitcnt vmcnt(0)
	v_xor_b32_e32 v84, 0x80000000, v71
	v_mov_b32_e32 v85, v70
	v_pk_fma_f32 v[10:11], v[30:31], v[36:37], v[10:11] op_sel_hi:[1,0,1]
	v_pk_fma_f32 v[12:13], v[32:33], v[36:37], v[12:13] op_sel_hi:[1,0,1]
	;; [unrolled: 1-line block ×4, first 2 shown]
	v_pk_fma_f32 v[62:63], v[30:31], v[88:89], v[10:11] op_sel:[1,0,0] op_sel_hi:[0,0,1] neg_lo:[1,0,0]
	v_pk_fma_f32 v[60:61], v[76:77], v[88:89], v[12:13] op_sel_hi:[1,0,1]
	v_pk_fma_f32 v[58:59], v[68:69], v[88:89], v[6:7] op_sel:[1,0,0] op_sel_hi:[0,0,1] neg_lo:[1,0,0]
	v_pk_fma_f32 v[56:57], v[84:85], v[88:89], v[8:9] op_sel_hi:[1,0,1]
	s_andn2_b64 exec, exec, s[10:11]
	s_cbranch_execnz .LBB53_27
; %bb.28:
	s_or_b64 exec, exec, s[10:11]
.LBB53_29:
	s_or_b64 exec, exec, s[4:5]
	s_mov_b64 s[4:5], 0x5f
	v_cmp_lt_u64_e32 vcc, s[4:5], v[0:1]
	s_and_saveexec_b64 s[4:5], vcc
	s_cbranch_execz .LBB53_33
; %bb.30:
	v_lshl_add_u64 v[0:1], v[50:51], 3, s[12:13]
	s_mov_b64 s[10:11], 0x200
	v_lshl_add_u64 v[64:65], v[0:1], 0, s[10:11]
	s_mov_b64 s[10:11], 0
	s_mov_b64 s[12:13], 0x1000
	s_mov_b64 s[14:15], 0x2000
	s_movk_i32 s24, 0x2000
	s_mov_b64 s[16:17], 0x3000
	s_movk_i32 s25, 0x3000
	s_mov_b64 s[18:19], 0x80
	s_mov_b64 s[20:21], 0x400
	s_mov_b64 s[22:23], 0x4000
.LBB53_31:                              ; =>This Inner Loop Header: Depth=1
	global_load_dwordx4 v[28:31], v[54:55], off
	global_load_dwordx2 v[70:71], v[64:65], off offset:-512
	global_load_dwordx4 v[24:27], v[54:55], off offset:16
	global_load_dwordx4 v[8:11], v[54:55], off offset:48
	;; [unrolled: 1-line block ×7, first 2 shown]
	v_add_co_u32_e32 v98, vcc, s24, v54
	v_lshl_add_u64 v[74:75], v[54:55], 0, s[12:13]
	s_nop 0
	v_addc_co_u32_e32 v99, vcc, 0, v55, vcc
	v_add_co_u32_e32 v80, vcc, s25, v54
	global_load_dwordx2 v[76:77], v[64:65], off offset:-256
	global_load_dwordx2 v[66:67], v[64:65], off
	global_load_dwordx2 v[68:69], v[64:65], off offset:256
	v_addc_co_u32_e32 v81, vcc, 0, v55, vcc
	global_load_dwordx4 v[32:35], v[74:75], off offset:48
	global_load_dwordx4 v[36:39], v[74:75], off offset:32
	global_load_dwordx4 v[82:85], v[74:75], off offset:16
	global_load_dwordx4 v[86:89], v[98:99], off offset:-4096
	v_lshl_add_u64 v[72:73], v[54:55], 0, s[14:15]
	v_lshl_add_u64 v[78:79], v[54:55], 0, s[16:17]
	;; [unrolled: 1-line block ×5, first 2 shown]
	s_waitcnt vmcnt(15)
	v_xor_b32_e32 v100, 0x80000000, v31
	s_waitcnt vmcnt(14)
	v_sub_co_u32_e32 v70, vcc, v70, v48
	v_mov_b32_e32 v101, v30
	s_nop 0
	v_subb_co_u32_e32 v71, vcc, v71, v49, vcc
	v_lshlrev_b64 v[70:71], 5, v[70:71]
	v_lshl_add_u64 v[70:71], s[2:3], 0, v[70:71]
	global_load_dwordx4 v[90:93], v[70:71], off
	global_load_dwordx4 v[94:97], v[70:71], off offset:16
	s_waitcnt vmcnt(15)
	v_xor_b32_e32 v70, 0x80000000, v27
	v_mov_b32_e32 v71, v26
	s_waitcnt vmcnt(14)
	v_xor_b32_e32 v104, 0x80000000, v11
	v_mov_b32_e32 v105, v10
	s_waitcnt vmcnt(8)
	v_sub_co_u32_e32 v76, vcc, v76, v48
	s_nop 1
	v_subb_co_u32_e32 v77, vcc, v77, v49, vcc
	s_waitcnt vmcnt(7)
	v_sub_co_u32_e32 v66, vcc, v66, v48
	s_waitcnt vmcnt(1)
	v_pk_fma_f32 v[62:63], v[28:29], v[90:91], v[62:63] op_sel_hi:[1,0,1]
	v_pk_fma_f32 v[60:61], v[30:31], v[90:91], v[60:61] op_sel_hi:[1,0,1]
	v_pk_fma_f32 v[62:63], v[28:29], v[90:91], v[62:63] op_sel:[1,1,0] op_sel_hi:[0,1,1] neg_lo:[1,0,0]
	v_pk_fma_f32 v[28:29], v[24:25], v[90:91], v[58:59] op_sel_hi:[1,0,1]
	v_pk_fma_f32 v[26:27], v[26:27], v[90:91], v[56:57] op_sel_hi:[1,0,1]
	v_pk_fma_f32 v[24:25], v[24:25], v[90:91], v[28:29] op_sel:[1,1,0] op_sel_hi:[0,1,1] neg_lo:[1,0,0]
	v_pk_fma_f32 v[60:61], v[100:101], v[90:91], v[60:61] op_sel:[0,1,0]
	v_pk_fma_f32 v[26:27], v[70:71], v[90:91], v[26:27] op_sel:[0,1,0]
	v_pk_fma_f32 v[62:63], v[12:13], v[92:93], v[62:63] op_sel_hi:[1,0,1]
	v_mov_b32_e32 v102, v93
	v_xor_b32_e32 v70, 0x80000000, v15
	v_mov_b32_e32 v71, v14
	v_pk_fma_f32 v[14:15], v[14:15], v[92:93], v[60:61] op_sel_hi:[1,0,1]
	v_pk_fma_f32 v[24:25], v[8:9], v[92:93], v[24:25] op_sel_hi:[1,0,1]
	;; [unrolled: 1-line block ×3, first 2 shown]
	v_pk_fma_f32 v[12:13], v[12:13], v[102:103], v[62:63] op_sel:[1,0,0] op_sel_hi:[0,0,1] neg_lo:[1,0,0]
	v_pk_fma_f32 v[8:9], v[8:9], v[102:103], v[24:25] op_sel:[1,0,0] op_sel_hi:[0,0,1] neg_lo:[1,0,0]
	v_pk_fma_f32 v[10:11], v[70:71], v[102:103], v[14:15] op_sel_hi:[1,0,1]
	v_pk_fma_f32 v[14:15], v[104:105], v[102:103], v[100:101] op_sel_hi:[1,0,1]
	s_waitcnt vmcnt(0)
	v_pk_fma_f32 v[12:13], v[20:21], v[94:95], v[12:13] op_sel_hi:[1,0,1]
	global_load_dwordx4 v[28:31], v[74:75], off offset:112
	global_load_dwordx4 v[56:59], v[74:75], off offset:96
	;; [unrolled: 1-line block ×4, first 2 shown]
	v_xor_b32_e32 v70, 0x80000000, v23
	v_mov_b32_e32 v71, v22
	v_pk_fma_f32 v[74:75], v[22:23], v[94:95], v[10:11] op_sel_hi:[1,0,1]
	v_pk_fma_f32 v[100:101], v[20:21], v[94:95], v[12:13] op_sel:[1,1,0] op_sel_hi:[0,1,1] neg_lo:[1,0,0]
	v_xor_b32_e32 v12, 0x80000000, v19
	v_mov_b32_e32 v13, v18
	v_pk_fma_f32 v[8:9], v[16:17], v[94:95], v[8:9] op_sel_hi:[1,0,1]
	v_pk_fma_f32 v[14:15], v[18:19], v[94:95], v[14:15] op_sel_hi:[1,0,1]
	v_pk_fma_f32 v[16:17], v[16:17], v[94:95], v[8:9] op_sel:[1,1,0] op_sel_hi:[0,1,1] neg_lo:[1,0,0]
	v_pk_fma_f32 v[18:19], v[70:71], v[94:95], v[74:75] op_sel:[0,1,0]
	v_pk_fma_f32 v[70:71], v[12:13], v[94:95], v[14:15] op_sel:[0,1,0]
	v_pk_fma_f32 v[74:75], v[4:5], v[96:97], v[100:101] op_sel_hi:[1,0,1]
	v_mov_b32_e32 v94, v97
	v_pk_fma_f32 v[18:19], v[6:7], v[96:97], v[18:19] op_sel_hi:[1,0,1]
	v_pk_fma_f32 v[16:17], v[0:1], v[96:97], v[16:17] op_sel_hi:[1,0,1]
	;; [unrolled: 1-line block ×3, first 2 shown]
	v_xor_b32_e32 v96, 0x80000000, v7
	v_mov_b32_e32 v97, v6
	v_pk_fma_f32 v[74:75], v[4:5], v[94:95], v[74:75] op_sel:[1,0,0] op_sel_hi:[0,0,1] neg_lo:[1,0,0]
	global_load_dwordx4 v[4:7], v[98:99], off
	v_xor_b32_e32 v98, 0x80000000, v3
	v_mov_b32_e32 v99, v2
	v_lshlrev_b64 v[2:3], 5, v[76:77]
	v_pk_fma_f32 v[100:101], v[0:1], v[94:95], v[16:17] op_sel:[1,0,0] op_sel_hi:[0,0,1] neg_lo:[1,0,0]
	v_lshl_add_u64 v[16:17], s[2:3], 0, v[2:3]
	global_load_dwordx4 v[0:3], v[16:17], off
	v_pk_fma_f32 v[76:77], v[96:97], v[94:95], v[18:19] op_sel_hi:[1,0,1]
	global_load_dwordx4 v[16:19], v[16:17], off offset:16
	v_pk_fma_f32 v[70:71], v[98:99], v[94:95], v[70:71] op_sel_hi:[1,0,1]
	v_xor_b32_e32 v102, 0x80000000, v89
	v_mov_b32_e32 v103, v88
	v_xor_b32_e32 v94, 0x80000000, v85
	v_mov_b32_e32 v95, v84
	v_subb_co_u32_e32 v67, vcc, v67, v49, vcc
	v_lshlrev_b64 v[66:67], 5, v[66:67]
	global_load_dwordx4 v[24:27], v[72:73], off offset:32
	global_load_dwordx4 v[20:23], v[72:73], off offset:16
	v_lshl_add_u64 v[66:67], s[2:3], 0, v[66:67]
	global_load_dwordx4 v[8:11], v[72:73], off offset:112
	global_load_dwordx4 v[12:15], v[72:73], off offset:96
	v_cmp_ge_i64_e32 vcc, v[50:51], v[52:53]
	s_or_b64 s[10:11], vcc, s[10:11]
	v_sub_co_u32_e32 v68, vcc, v68, v48
	s_waitcnt vmcnt(5)
	v_pk_fma_f32 v[74:75], v[86:87], v[0:1], v[74:75] op_sel_hi:[1,0,1]
	v_pk_fma_f32 v[88:89], v[88:89], v[0:1], v[76:77] op_sel_hi:[1,0,1]
	v_pk_fma_f32 v[86:87], v[86:87], v[0:1], v[74:75] op_sel:[1,1,0] op_sel_hi:[0,1,1] neg_lo:[1,0,0]
	v_pk_fma_f32 v[96:97], v[82:83], v[0:1], v[100:101] op_sel_hi:[1,0,1]
	v_pk_fma_f32 v[98:99], v[84:85], v[0:1], v[70:71] op_sel_hi:[1,0,1]
	v_pk_fma_f32 v[96:97], v[82:83], v[0:1], v[96:97] op_sel:[1,1,0] op_sel_hi:[0,1,1] neg_lo:[1,0,0]
	v_pk_fma_f32 v[88:89], v[102:103], v[0:1], v[88:89] op_sel:[0,1,0]
	v_pk_fma_f32 v[0:1], v[94:95], v[0:1], v[98:99] op_sel:[0,1,0]
	v_pk_fma_f32 v[86:87], v[36:37], v[2:3], v[86:87] op_sel_hi:[1,0,1]
	v_mov_b32_e32 v98, v3
	v_xor_b32_e32 v94, 0x80000000, v39
	v_mov_b32_e32 v95, v38
	v_pk_fma_f32 v[38:39], v[38:39], v[2:3], v[88:89] op_sel_hi:[1,0,1]
	v_pk_fma_f32 v[88:89], v[32:33], v[2:3], v[96:97] op_sel_hi:[1,0,1]
	;; [unrolled: 1-line block ×3, first 2 shown]
	v_pk_fma_f32 v[86:87], v[36:37], v[98:99], v[86:87] op_sel:[1,0,0] op_sel_hi:[0,0,1] neg_lo:[1,0,0]
	v_xor_b32_e32 v36, 0x80000000, v35
	v_mov_b32_e32 v37, v34
	v_pk_fma_f32 v[88:89], v[32:33], v[98:99], v[88:89] op_sel:[1,0,0] op_sel_hi:[0,0,1] neg_lo:[1,0,0]
	v_pk_fma_f32 v[94:95], v[94:95], v[98:99], v[38:39] op_sel_hi:[1,0,1]
	v_pk_fma_f32 v[96:97], v[36:37], v[98:99], v[96:97] op_sel_hi:[1,0,1]
	s_waitcnt vmcnt(4)
	v_pk_fma_f32 v[86:87], v[90:91], v[16:17], v[86:87] op_sel_hi:[1,0,1]
	v_xor_b32_e32 v98, 0x80000000, v93
	v_mov_b32_e32 v99, v92
	v_pk_fma_f32 v[92:93], v[92:93], v[16:17], v[94:95] op_sel_hi:[1,0,1]
	v_pk_fma_f32 v[90:91], v[90:91], v[16:17], v[86:87] op_sel:[1,1,0] op_sel_hi:[0,1,1] neg_lo:[1,0,0]
	v_xor_b32_e32 v94, 0x80000000, v63
	v_mov_b32_e32 v95, v62
	v_pk_fma_f32 v[86:87], v[60:61], v[16:17], v[88:89] op_sel_hi:[1,0,1]
	v_pk_fma_f32 v[96:97], v[62:63], v[16:17], v[96:97] op_sel_hi:[1,0,1]
	v_pk_fma_f32 v[100:101], v[60:61], v[16:17], v[86:87] op_sel:[1,1,0] op_sel_hi:[0,1,1] neg_lo:[1,0,0]
	v_pk_fma_f32 v[92:93], v[98:99], v[16:17], v[92:93] op_sel:[0,1,0]
	v_pk_fma_f32 v[16:17], v[94:95], v[16:17], v[96:97] op_sel:[0,1,0]
	v_pk_fma_f32 v[90:91], v[56:57], v[18:19], v[90:91] op_sel_hi:[1,0,1]
	v_mov_b32_e32 v98, v19
	v_xor_b32_e32 v94, 0x80000000, v59
	v_mov_b32_e32 v95, v58
	v_pk_fma_f32 v[58:59], v[58:59], v[18:19], v[92:93] op_sel_hi:[1,0,1]
	v_pk_fma_f32 v[92:93], v[28:29], v[18:19], v[100:101] op_sel_hi:[1,0,1]
	;; [unrolled: 1-line block ×3, first 2 shown]
	v_pk_fma_f32 v[100:101], v[56:57], v[98:99], v[90:91] op_sel:[1,0,0] op_sel_hi:[0,0,1] neg_lo:[1,0,0]
	v_xor_b32_e32 v56, 0x80000000, v31
	v_mov_b32_e32 v57, v30
	global_load_dwordx4 v[74:77], v[72:73], off offset:80
	global_load_dwordx4 v[82:85], v[72:73], off offset:48
	;; [unrolled: 1-line block ×8, first 2 shown]
	v_pk_fma_f32 v[102:103], v[28:29], v[98:99], v[92:93] op_sel:[1,0,0] op_sel_hi:[0,0,1] neg_lo:[1,0,0]
	global_load_dwordx4 v[70:73], v[72:73], off offset:64
	v_pk_fma_f32 v[94:95], v[94:95], v[98:99], v[58:59] op_sel_hi:[1,0,1]
	global_load_dwordx4 v[28:31], v[78:79], off offset:64
	v_pk_fma_f32 v[96:97], v[56:57], v[98:99], v[96:97] op_sel_hi:[1,0,1]
	global_load_dwordx4 v[56:59], v[66:67], off
	global_load_dwordx4 v[90:93], v[66:67], off offset:16
	v_subb_co_u32_e32 v69, vcc, v69, v49, vcc
	v_xor_b32_e32 v78, 0x80000000, v7
	v_mov_b32_e32 v79, v6
	s_waitcnt vmcnt(1)
	v_pk_fma_f32 v[66:67], v[4:5], v[56:57], v[100:101] op_sel_hi:[1,0,1]
	v_pk_fma_f32 v[98:99], v[20:21], v[56:57], v[102:103] op_sel_hi:[1,0,1]
	;; [unrolled: 1-line block ×3, first 2 shown]
	v_pk_fma_f32 v[66:67], v[4:5], v[56:57], v[66:67] op_sel:[1,1,0] op_sel_hi:[0,1,1] neg_lo:[1,0,0]
	global_load_dwordx4 v[4:7], v[80:81], off
	v_xor_b32_e32 v80, 0x80000000, v23
	v_mov_b32_e32 v81, v22
	v_pk_fma_f32 v[22:23], v[22:23], v[56:57], v[96:97] op_sel_hi:[1,0,1]
	v_pk_fma_f32 v[96:97], v[20:21], v[56:57], v[98:99] op_sel:[1,1,0] op_sel_hi:[0,1,1] neg_lo:[1,0,0]
	v_lshlrev_b64 v[20:21], 5, v[68:69]
	v_lshl_add_u64 v[68:69], s[2:3], 0, v[20:21]
	v_pk_fma_f32 v[78:79], v[78:79], v[56:57], v[94:95] op_sel:[0,1,0]
	v_pk_fma_f32 v[56:57], v[80:81], v[56:57], v[22:23] op_sel:[0,1,0]
	global_load_dwordx4 v[20:23], v[68:69], off
	v_xor_b32_e32 v98, 0x80000000, v27
	v_mov_b32_e32 v99, v26
	v_mov_b32_e32 v101, v84
	v_pk_fma_f32 v[66:67], v[24:25], v[58:59], v[66:67] op_sel_hi:[1,0,1]
	v_pk_fma_f32 v[26:27], v[26:27], v[58:59], v[78:79] op_sel_hi:[1,0,1]
	;; [unrolled: 1-line block ×4, first 2 shown]
	v_mov_b32_e32 v84, v59
	global_load_dwordx4 v[56:59], v[68:69], off offset:16
	v_xor_b32_e32 v100, 0x80000000, v85
	v_pk_fma_f32 v[24:25], v[24:25], v[84:85], v[66:67] op_sel:[1,0,0] op_sel_hi:[0,0,1] neg_lo:[1,0,0]
	v_pk_fma_f32 v[78:79], v[82:83], v[84:85], v[78:79] op_sel:[1,0,0] op_sel_hi:[0,0,1] neg_lo:[1,0,0]
	v_pk_fma_f32 v[26:27], v[98:99], v[84:85], v[26:27] op_sel_hi:[1,0,1]
	v_pk_fma_f32 v[80:81], v[100:101], v[84:85], v[80:81] op_sel_hi:[1,0,1]
	v_xor_b32_e32 v66, 0x80000000, v71
	v_xor_b32_e32 v68, 0x80000000, v73
	;; [unrolled: 1-line block ×3, first 2 shown]
	v_mov_b32_e32 v67, v70
	v_mov_b32_e32 v69, v72
	v_xor_b32_e32 v94, 0x80000000, v77
	v_mov_b32_e32 v83, v74
	v_mov_b32_e32 v95, v76
	s_waitcnt vmcnt(3)
	v_pk_fma_f32 v[24:25], v[70:71], v[90:91], v[24:25] op_sel_hi:[1,0,1]
	v_pk_fma_f32 v[26:27], v[72:73], v[90:91], v[26:27] op_sel_hi:[1,0,1]
	;; [unrolled: 1-line block ×4, first 2 shown]
	v_pk_fma_f32 v[24:25], v[66:67], v[90:91], v[24:25] op_sel:[0,1,0]
	v_pk_fma_f32 v[26:27], v[68:69], v[90:91], v[26:27] op_sel:[0,1,0]
	;; [unrolled: 1-line block ×4, first 2 shown]
	v_xor_b32_e32 v96, 0x80000000, v15
	v_mov_b32_e32 v97, v14
	v_xor_b32_e32 v72, 0x80000000, v11
	v_mov_b32_e32 v73, v10
	v_mov_b32_e32 v90, v93
	v_pk_fma_f32 v[24:25], v[12:13], v[92:93], v[24:25] op_sel_hi:[1,0,1]
	v_pk_fma_f32 v[14:15], v[14:15], v[92:93], v[26:27] op_sel_hi:[1,0,1]
	v_pk_fma_f32 v[26:27], v[8:9], v[92:93], v[74:75] op_sel_hi:[1,0,1]
	v_pk_fma_f32 v[10:11], v[10:11], v[92:93], v[76:77] op_sel_hi:[1,0,1]
	v_pk_fma_f32 v[12:13], v[12:13], v[90:91], v[24:25] op_sel:[1,0,0] op_sel_hi:[0,0,1] neg_lo:[1,0,0]
	v_pk_fma_f32 v[8:9], v[8:9], v[90:91], v[26:27] op_sel:[1,0,0] op_sel_hi:[0,0,1] neg_lo:[1,0,0]
	v_pk_fma_f32 v[14:15], v[96:97], v[90:91], v[14:15] op_sel_hi:[1,0,1]
	v_pk_fma_f32 v[10:11], v[72:73], v[90:91], v[10:11] op_sel_hi:[1,0,1]
	v_xor_b32_e32 v78, 0x80000000, v39
	v_mov_b32_e32 v79, v38
	v_xor_b32_e32 v84, 0x80000000, v35
	v_mov_b32_e32 v85, v34
	;; [unrolled: 2-line block ×7, first 2 shown]
	s_waitcnt vmcnt(2)
	v_xor_b32_e32 v82, 0x80000000, v7
	v_mov_b32_e32 v83, v6
	s_waitcnt vmcnt(1)
	v_pk_fma_f32 v[12:13], v[4:5], v[20:21], v[12:13] op_sel_hi:[1,0,1]
	v_pk_fma_f32 v[6:7], v[6:7], v[20:21], v[14:15] op_sel_hi:[1,0,1]
	;; [unrolled: 1-line block ×4, first 2 shown]
	v_pk_fma_f32 v[4:5], v[4:5], v[20:21], v[12:13] op_sel:[1,1,0] op_sel_hi:[0,1,1] neg_lo:[1,0,0]
	v_pk_fma_f32 v[6:7], v[82:83], v[20:21], v[6:7] op_sel:[0,1,0]
	v_pk_fma_f32 v[8:9], v[36:37], v[20:21], v[8:9] op_sel:[1,1,0] op_sel_hi:[0,1,1] neg_lo:[1,0,0]
	v_pk_fma_f32 v[10:11], v[78:79], v[20:21], v[10:11] op_sel:[0,1,0]
	v_mov_b32_e32 v74, v23
	v_pk_fma_f32 v[4:5], v[32:33], v[22:23], v[4:5] op_sel_hi:[1,0,1]
	v_pk_fma_f32 v[6:7], v[34:35], v[22:23], v[6:7] op_sel_hi:[1,0,1]
	;; [unrolled: 1-line block ×4, first 2 shown]
	v_pk_fma_f32 v[4:5], v[32:33], v[74:75], v[4:5] op_sel:[1,0,0] op_sel_hi:[0,0,1] neg_lo:[1,0,0]
	v_pk_fma_f32 v[6:7], v[84:85], v[74:75], v[6:7] op_sel_hi:[1,0,1]
	v_pk_fma_f32 v[0:1], v[0:1], v[74:75], v[8:9] op_sel:[1,0,0] op_sel_hi:[0,0,1] neg_lo:[1,0,0]
	v_pk_fma_f32 v[2:3], v[80:81], v[74:75], v[2:3] op_sel_hi:[1,0,1]
	s_waitcnt vmcnt(0)
	v_pk_fma_f32 v[4:5], v[28:29], v[56:57], v[4:5] op_sel_hi:[1,0,1]
	v_pk_fma_f32 v[6:7], v[30:31], v[56:57], v[6:7] op_sel_hi:[1,0,1]
	;; [unrolled: 1-line block ×4, first 2 shown]
	v_pk_fma_f32 v[4:5], v[28:29], v[56:57], v[4:5] op_sel:[1,1,0] op_sel_hi:[0,1,1] neg_lo:[1,0,0]
	v_pk_fma_f32 v[6:7], v[98:99], v[56:57], v[6:7] op_sel:[0,1,0]
	v_pk_fma_f32 v[0:1], v[16:17], v[56:57], v[0:1] op_sel:[1,1,0] op_sel_hi:[0,1,1] neg_lo:[1,0,0]
	v_pk_fma_f32 v[2:3], v[66:67], v[56:57], v[2:3] op_sel:[0,1,0]
	v_mov_b32_e32 v76, v59
	v_pk_fma_f32 v[4:5], v[60:61], v[58:59], v[4:5] op_sel_hi:[1,0,1]
	v_pk_fma_f32 v[6:7], v[62:63], v[58:59], v[6:7] op_sel_hi:[1,0,1]
	;; [unrolled: 1-line block ×4, first 2 shown]
	v_pk_fma_f32 v[62:63], v[60:61], v[76:77], v[4:5] op_sel:[1,0,0] op_sel_hi:[0,0,1] neg_lo:[1,0,0]
	v_pk_fma_f32 v[60:61], v[70:71], v[76:77], v[6:7] op_sel_hi:[1,0,1]
	v_pk_fma_f32 v[58:59], v[86:87], v[76:77], v[0:1] op_sel:[1,0,0] op_sel_hi:[0,0,1] neg_lo:[1,0,0]
	v_pk_fma_f32 v[56:57], v[68:69], v[76:77], v[2:3] op_sel_hi:[1,0,1]
	s_andn2_b64 exec, exec, s[10:11]
	s_cbranch_execnz .LBB53_31
; %bb.32:
	s_or_b64 exec, exec, s[10:11]
.LBB53_33:
	s_or_b64 exec, exec, s[4:5]
	v_mov_b32_e32 v47, v63
.LBB53_34:
	s_or_b64 exec, exec, s[8:9]
.LBB53_35:
	v_mov_b32_dpp v6, v61 row_shr:1 row_mask:0xf bank_mask:0xf
	v_add_f32_e32 v6, v61, v6
	v_mov_b32_dpp v0, v62 row_shr:1 row_mask:0xf bank_mask:0xf
	v_mov_b32_dpp v2, v47 row_shr:1 row_mask:0xf bank_mask:0xf
	v_mov_b32_dpp v7, v6 row_shr:2 row_mask:0xf bank_mask:0xf
	v_add_f32_e32 v6, v6, v7
	v_mov_b32_dpp v4, v60 row_shr:1 row_mask:0xf bank_mask:0xf
	v_add_f32_e32 v0, v62, v0
	v_mov_b32_dpp v7, v6 row_shr:4 row_mask:0xf bank_mask:0xe
	v_add_f32_e32 v6, v6, v7
	v_add_f32_e32 v2, v47, v2
	v_add_f32_e32 v4, v60, v4
	v_mov_b32_dpp v7, v6 row_shr:8 row_mask:0xf bank_mask:0xc
	v_add_f32_e32 v7, v6, v7
	v_mov_b32_dpp v6, v58 row_shr:1 row_mask:0xf bank_mask:0xf
	v_add_f32_e32 v6, v58, v6
	v_mov_b32_dpp v1, v0 row_shr:2 row_mask:0xf bank_mask:0xf
	v_mov_b32_dpp v3, v2 row_shr:2 row_mask:0xf bank_mask:0xf
	v_mov_b32_dpp v9, v6 row_shr:2 row_mask:0xf bank_mask:0xf
	v_add_f32_e32 v6, v6, v9
	v_mov_b32_dpp v5, v4 row_shr:2 row_mask:0xf bank_mask:0xf
	v_add_f32_e32 v0, v0, v1
	v_mov_b32_dpp v9, v6 row_shr:4 row_mask:0xf bank_mask:0xe
	v_add_f32_e32 v6, v6, v9
	v_add_f32_e32 v2, v2, v3
	v_add_f32_e32 v4, v4, v5
	v_mov_b32_dpp v9, v6 row_shr:8 row_mask:0xf bank_mask:0xc
	v_add_f32_e32 v9, v6, v9
	;; [unrolled: 14-line block ×4, first 2 shown]
	v_mov_b32_dpp v6, v57 row_shr:1 row_mask:0xf bank_mask:0xf
	v_add_f32_e32 v6, v57, v6
	v_mov_b32_dpp v1, v0 row_bcast:15 row_mask:0xa bank_mask:0xf
	v_mov_b32_dpp v3, v2 row_bcast:15 row_mask:0xa bank_mask:0xf
	v_mov_b32_dpp v12, v6 row_shr:2 row_mask:0xf bank_mask:0xf
	v_add_f32_e32 v6, v6, v12
	v_mov_b32_dpp v5, v4 row_bcast:15 row_mask:0xa bank_mask:0xf
	v_mov_b32_dpp v8, v7 row_bcast:15 row_mask:0xa bank_mask:0xf
	;; [unrolled: 4-line block ×3, first 2 shown]
	v_mov_b32_dpp v12, v6 row_shr:8 row_mask:0xf bank_mask:0xc
	v_add_f32_e32 v17, v6, v12
	v_mov_b32_dpp v16, v15 row_bcast:15 row_mask:0xa bank_mask:0xf
	v_cmp_eq_u32_e32 vcc, 31, v46
	v_mov_b32_dpp v18, v17 row_bcast:15 row_mask:0xa bank_mask:0xf
	s_and_b64 exec, exec, vcc
	s_cbranch_execz .LBB53_6
; %bb.36:
	s_load_dwordx2 s[0:1], s[0:1], 0x58
	v_cmp_eq_f32_e32 vcc, 0, v42
	s_xor_b64 s[2:3], s[6:7], -1
	v_add_f32_e32 v6, v0, v1
	v_add_f32_e32 v14, v2, v3
	v_add_f32_e32 v4, v4, v5
	v_add_f32_e32 v12, v7, v8
	v_add_f32_e32 v2, v9, v10
	v_add_f32_e32 v10, v11, v13
	v_add_f32_e32 v0, v15, v16
	v_add_f32_e32 v8, v17, v18
	s_and_b64 s[2:3], vcc, s[2:3]
	v_lshlrev_b64 v[16:17], 5, v[44:45]
	s_and_saveexec_b64 s[4:5], s[2:3]
	s_xor_b64 s[2:3], exec, s[4:5]
	s_cbranch_execz .LBB53_38
; %bb.37:
	v_xor_b32_e32 v18, 0x80000000, v41
	v_mov_b32_e32 v19, v40
	v_pk_mul_f32 v[14:15], v[14:15], v[18:19] op_sel_hi:[0,1]
	v_pk_fma_f32 v[14:15], v[40:41], v[6:7], v[14:15] op_sel_hi:[1,0,1]
	v_pk_mul_f32 v[6:7], v[12:13], v[18:19] op_sel_hi:[0,1]
	s_waitcnt lgkmcnt(0)
	v_lshl_add_u64 v[20:21], s[0:1], 0, v[16:17]
	v_pk_fma_f32 v[16:17], v[40:41], v[4:5], v[6:7] op_sel_hi:[1,0,1]
	v_pk_mul_f32 v[4:5], v[10:11], v[18:19] op_sel_hi:[0,1]
	v_pk_fma_f32 v[2:3], v[40:41], v[2:3], v[4:5] op_sel_hi:[1,0,1]
	v_pk_mul_f32 v[4:5], v[8:9], v[18:19] op_sel_hi:[0,1]
	v_pk_fma_f32 v[4:5], v[40:41], v[0:1], v[4:5] op_sel_hi:[1,0,1]
	global_store_dwordx4 v[20:21], v[14:17], off
	global_store_dwordx4 v[20:21], v[2:5], off offset:16
                                        ; implicit-def: $vgpr6
                                        ; implicit-def: $vgpr14
                                        ; implicit-def: $vgpr4
                                        ; implicit-def: $vgpr12
                                        ; implicit-def: $vgpr2
                                        ; implicit-def: $vgpr10
                                        ; implicit-def: $vgpr0
                                        ; implicit-def: $vgpr8
                                        ; implicit-def: $vgpr40_vgpr41
                                        ; implicit-def: $vgpr42_vgpr43
                                        ; implicit-def: $vgpr16_vgpr17
.LBB53_38:
	s_andn2_saveexec_b64 s[2:3], s[2:3]
	s_cbranch_execz .LBB53_6
; %bb.39:
	s_waitcnt lgkmcnt(0)
	v_lshl_add_u64 v[24:25], s[0:1], 0, v[16:17]
	global_load_dwordx4 v[16:19], v[24:25], off
	global_load_dwordx4 v[20:23], v[24:25], off offset:16
	v_xor_b32_e32 v26, 0x80000000, v41
	v_mov_b32_e32 v27, v40
	v_pk_mul_f32 v[14:15], v[14:15], v[26:27] op_sel_hi:[0,1]
	v_pk_mul_f32 v[12:13], v[12:13], v[26:27] op_sel_hi:[0,1]
	;; [unrolled: 1-line block ×4, first 2 shown]
	v_pk_fma_f32 v[6:7], v[40:41], v[6:7], v[14:15] op_sel_hi:[1,0,1]
	v_pk_fma_f32 v[4:5], v[40:41], v[4:5], v[12:13] op_sel_hi:[1,0,1]
	v_xor_b32_e32 v28, 0x80000000, v43
	v_mov_b32_e32 v29, v42
	v_pk_fma_f32 v[2:3], v[40:41], v[2:3], v[10:11] op_sel_hi:[1,0,1]
	v_pk_fma_f32 v[0:1], v[40:41], v[0:1], v[8:9] op_sel_hi:[1,0,1]
	s_waitcnt vmcnt(1)
	v_pk_fma_f32 v[6:7], v[42:43], v[16:17], v[6:7] op_sel_hi:[1,0,1]
	v_pk_fma_f32 v[4:5], v[42:43], v[18:19], v[4:5] op_sel_hi:[1,0,1]
	v_mov_b32_e32 v8, v19
	s_waitcnt vmcnt(0)
	v_pk_fma_f32 v[10:11], v[42:43], v[20:21], v[2:3] op_sel_hi:[1,0,1]
	v_pk_fma_f32 v[12:13], v[42:43], v[22:23], v[0:1] op_sel_hi:[1,0,1]
	v_mov_b32_e32 v14, v23
	v_pk_fma_f32 v[0:1], v[28:29], v[16:17], v[6:7] op_sel:[0,1,0]
	v_pk_fma_f32 v[2:3], v[28:29], v[8:9], v[4:5] op_sel_hi:[1,0,1]
	v_pk_fma_f32 v[4:5], v[28:29], v[20:21], v[10:11] op_sel:[0,1,0]
	v_pk_fma_f32 v[6:7], v[28:29], v[14:15], v[12:13] op_sel_hi:[1,0,1]
	global_store_dwordx4 v[24:25], v[0:3], off
	global_store_dwordx4 v[24:25], v[4:7], off offset:16
	s_endpgm
	.section	.rodata,"a",@progbits
	.p2align	6, 0x0
	.amdhsa_kernel _ZN9rocsparseL18bsrxmvn_4x4_kernelILj128ELj32E21rocsparse_complex_numIfEllS2_S2_S2_EEvT3_20rocsparse_direction_NS_24const_host_device_scalarIT1_EES3_PKS3_PKT2_SC_S9_PKT4_PKT5_S7_PT6_21rocsparse_index_base_b
		.amdhsa_group_segment_fixed_size 0
		.amdhsa_private_segment_fixed_size 0
		.amdhsa_kernarg_size 104
		.amdhsa_user_sgpr_count 2
		.amdhsa_user_sgpr_dispatch_ptr 0
		.amdhsa_user_sgpr_queue_ptr 0
		.amdhsa_user_sgpr_kernarg_segment_ptr 1
		.amdhsa_user_sgpr_dispatch_id 0
		.amdhsa_user_sgpr_kernarg_preload_length 0
		.amdhsa_user_sgpr_kernarg_preload_offset 0
		.amdhsa_user_sgpr_private_segment_size 0
		.amdhsa_uses_dynamic_stack 0
		.amdhsa_enable_private_segment 0
		.amdhsa_system_sgpr_workgroup_id_x 1
		.amdhsa_system_sgpr_workgroup_id_y 0
		.amdhsa_system_sgpr_workgroup_id_z 0
		.amdhsa_system_sgpr_workgroup_info 0
		.amdhsa_system_vgpr_workitem_id 0
		.amdhsa_next_free_vgpr 106
		.amdhsa_next_free_sgpr 30
		.amdhsa_accum_offset 108
		.amdhsa_reserve_vcc 1
		.amdhsa_float_round_mode_32 0
		.amdhsa_float_round_mode_16_64 0
		.amdhsa_float_denorm_mode_32 3
		.amdhsa_float_denorm_mode_16_64 3
		.amdhsa_dx10_clamp 1
		.amdhsa_ieee_mode 1
		.amdhsa_fp16_overflow 0
		.amdhsa_tg_split 0
		.amdhsa_exception_fp_ieee_invalid_op 0
		.amdhsa_exception_fp_denorm_src 0
		.amdhsa_exception_fp_ieee_div_zero 0
		.amdhsa_exception_fp_ieee_overflow 0
		.amdhsa_exception_fp_ieee_underflow 0
		.amdhsa_exception_fp_ieee_inexact 0
		.amdhsa_exception_int_div_zero 0
	.end_amdhsa_kernel
	.section	.text._ZN9rocsparseL18bsrxmvn_4x4_kernelILj128ELj32E21rocsparse_complex_numIfEllS2_S2_S2_EEvT3_20rocsparse_direction_NS_24const_host_device_scalarIT1_EES3_PKS3_PKT2_SC_S9_PKT4_PKT5_S7_PT6_21rocsparse_index_base_b,"axG",@progbits,_ZN9rocsparseL18bsrxmvn_4x4_kernelILj128ELj32E21rocsparse_complex_numIfEllS2_S2_S2_EEvT3_20rocsparse_direction_NS_24const_host_device_scalarIT1_EES3_PKS3_PKT2_SC_S9_PKT4_PKT5_S7_PT6_21rocsparse_index_base_b,comdat
.Lfunc_end53:
	.size	_ZN9rocsparseL18bsrxmvn_4x4_kernelILj128ELj32E21rocsparse_complex_numIfEllS2_S2_S2_EEvT3_20rocsparse_direction_NS_24const_host_device_scalarIT1_EES3_PKS3_PKT2_SC_S9_PKT4_PKT5_S7_PT6_21rocsparse_index_base_b, .Lfunc_end53-_ZN9rocsparseL18bsrxmvn_4x4_kernelILj128ELj32E21rocsparse_complex_numIfEllS2_S2_S2_EEvT3_20rocsparse_direction_NS_24const_host_device_scalarIT1_EES3_PKS3_PKT2_SC_S9_PKT4_PKT5_S7_PT6_21rocsparse_index_base_b
                                        ; -- End function
	.set _ZN9rocsparseL18bsrxmvn_4x4_kernelILj128ELj32E21rocsparse_complex_numIfEllS2_S2_S2_EEvT3_20rocsparse_direction_NS_24const_host_device_scalarIT1_EES3_PKS3_PKT2_SC_S9_PKT4_PKT5_S7_PT6_21rocsparse_index_base_b.num_vgpr, 106
	.set _ZN9rocsparseL18bsrxmvn_4x4_kernelILj128ELj32E21rocsparse_complex_numIfEllS2_S2_S2_EEvT3_20rocsparse_direction_NS_24const_host_device_scalarIT1_EES3_PKS3_PKT2_SC_S9_PKT4_PKT5_S7_PT6_21rocsparse_index_base_b.num_agpr, 0
	.set _ZN9rocsparseL18bsrxmvn_4x4_kernelILj128ELj32E21rocsparse_complex_numIfEllS2_S2_S2_EEvT3_20rocsparse_direction_NS_24const_host_device_scalarIT1_EES3_PKS3_PKT2_SC_S9_PKT4_PKT5_S7_PT6_21rocsparse_index_base_b.numbered_sgpr, 30
	.set _ZN9rocsparseL18bsrxmvn_4x4_kernelILj128ELj32E21rocsparse_complex_numIfEllS2_S2_S2_EEvT3_20rocsparse_direction_NS_24const_host_device_scalarIT1_EES3_PKS3_PKT2_SC_S9_PKT4_PKT5_S7_PT6_21rocsparse_index_base_b.num_named_barrier, 0
	.set _ZN9rocsparseL18bsrxmvn_4x4_kernelILj128ELj32E21rocsparse_complex_numIfEllS2_S2_S2_EEvT3_20rocsparse_direction_NS_24const_host_device_scalarIT1_EES3_PKS3_PKT2_SC_S9_PKT4_PKT5_S7_PT6_21rocsparse_index_base_b.private_seg_size, 0
	.set _ZN9rocsparseL18bsrxmvn_4x4_kernelILj128ELj32E21rocsparse_complex_numIfEllS2_S2_S2_EEvT3_20rocsparse_direction_NS_24const_host_device_scalarIT1_EES3_PKS3_PKT2_SC_S9_PKT4_PKT5_S7_PT6_21rocsparse_index_base_b.uses_vcc, 1
	.set _ZN9rocsparseL18bsrxmvn_4x4_kernelILj128ELj32E21rocsparse_complex_numIfEllS2_S2_S2_EEvT3_20rocsparse_direction_NS_24const_host_device_scalarIT1_EES3_PKS3_PKT2_SC_S9_PKT4_PKT5_S7_PT6_21rocsparse_index_base_b.uses_flat_scratch, 0
	.set _ZN9rocsparseL18bsrxmvn_4x4_kernelILj128ELj32E21rocsparse_complex_numIfEllS2_S2_S2_EEvT3_20rocsparse_direction_NS_24const_host_device_scalarIT1_EES3_PKS3_PKT2_SC_S9_PKT4_PKT5_S7_PT6_21rocsparse_index_base_b.has_dyn_sized_stack, 0
	.set _ZN9rocsparseL18bsrxmvn_4x4_kernelILj128ELj32E21rocsparse_complex_numIfEllS2_S2_S2_EEvT3_20rocsparse_direction_NS_24const_host_device_scalarIT1_EES3_PKS3_PKT2_SC_S9_PKT4_PKT5_S7_PT6_21rocsparse_index_base_b.has_recursion, 0
	.set _ZN9rocsparseL18bsrxmvn_4x4_kernelILj128ELj32E21rocsparse_complex_numIfEllS2_S2_S2_EEvT3_20rocsparse_direction_NS_24const_host_device_scalarIT1_EES3_PKS3_PKT2_SC_S9_PKT4_PKT5_S7_PT6_21rocsparse_index_base_b.has_indirect_call, 0
	.section	.AMDGPU.csdata,"",@progbits
; Kernel info:
; codeLenInByte = 7496
; TotalNumSgprs: 36
; NumVgprs: 106
; NumAgprs: 0
; TotalNumVgprs: 106
; ScratchSize: 0
; MemoryBound: 0
; FloatMode: 240
; IeeeMode: 1
; LDSByteSize: 0 bytes/workgroup (compile time only)
; SGPRBlocks: 4
; VGPRBlocks: 13
; NumSGPRsForWavesPerEU: 36
; NumVGPRsForWavesPerEU: 106
; AccumOffset: 108
; Occupancy: 4
; WaveLimiterHint : 1
; COMPUTE_PGM_RSRC2:SCRATCH_EN: 0
; COMPUTE_PGM_RSRC2:USER_SGPR: 2
; COMPUTE_PGM_RSRC2:TRAP_HANDLER: 0
; COMPUTE_PGM_RSRC2:TGID_X_EN: 1
; COMPUTE_PGM_RSRC2:TGID_Y_EN: 0
; COMPUTE_PGM_RSRC2:TGID_Z_EN: 0
; COMPUTE_PGM_RSRC2:TIDIG_COMP_CNT: 0
; COMPUTE_PGM_RSRC3_GFX90A:ACCUM_OFFSET: 26
; COMPUTE_PGM_RSRC3_GFX90A:TG_SPLIT: 0
	.section	.text._ZN9rocsparseL18bsrxmvn_4x4_kernelILj128ELj64E21rocsparse_complex_numIfEllS2_S2_S2_EEvT3_20rocsparse_direction_NS_24const_host_device_scalarIT1_EES3_PKS3_PKT2_SC_S9_PKT4_PKT5_S7_PT6_21rocsparse_index_base_b,"axG",@progbits,_ZN9rocsparseL18bsrxmvn_4x4_kernelILj128ELj64E21rocsparse_complex_numIfEllS2_S2_S2_EEvT3_20rocsparse_direction_NS_24const_host_device_scalarIT1_EES3_PKS3_PKT2_SC_S9_PKT4_PKT5_S7_PT6_21rocsparse_index_base_b,comdat
	.globl	_ZN9rocsparseL18bsrxmvn_4x4_kernelILj128ELj64E21rocsparse_complex_numIfEllS2_S2_S2_EEvT3_20rocsparse_direction_NS_24const_host_device_scalarIT1_EES3_PKS3_PKT2_SC_S9_PKT4_PKT5_S7_PT6_21rocsparse_index_base_b ; -- Begin function _ZN9rocsparseL18bsrxmvn_4x4_kernelILj128ELj64E21rocsparse_complex_numIfEllS2_S2_S2_EEvT3_20rocsparse_direction_NS_24const_host_device_scalarIT1_EES3_PKS3_PKT2_SC_S9_PKT4_PKT5_S7_PT6_21rocsparse_index_base_b
	.p2align	8
	.type	_ZN9rocsparseL18bsrxmvn_4x4_kernelILj128ELj64E21rocsparse_complex_numIfEllS2_S2_S2_EEvT3_20rocsparse_direction_NS_24const_host_device_scalarIT1_EES3_PKS3_PKT2_SC_S9_PKT4_PKT5_S7_PT6_21rocsparse_index_base_b,@function
_ZN9rocsparseL18bsrxmvn_4x4_kernelILj128ELj64E21rocsparse_complex_numIfEllS2_S2_S2_EEvT3_20rocsparse_direction_NS_24const_host_device_scalarIT1_EES3_PKS3_PKT2_SC_S9_PKT4_PKT5_S7_PT6_21rocsparse_index_base_b: ; @_ZN9rocsparseL18bsrxmvn_4x4_kernelILj128ELj64E21rocsparse_complex_numIfEllS2_S2_S2_EEvT3_20rocsparse_direction_NS_24const_host_device_scalarIT1_EES3_PKS3_PKT2_SC_S9_PKT4_PKT5_S7_PT6_21rocsparse_index_base_b
; %bb.0:
	s_load_dwordx4 s[8:11], s[0:1], 0x10
	s_load_dwordx2 s[12:13], s[0:1], 0x60
	s_add_u32 s3, s0, 16
	s_addc_u32 s6, s1, 0
	s_load_dwordx2 s[4:5], s[0:1], 0x50
	s_add_u32 s7, s0, 0x50
	s_addc_u32 s14, s1, 0
	s_waitcnt lgkmcnt(0)
	s_bitcmp1_b32 s13, 0
	s_cselect_b32 s3, s3, s8
	s_cselect_b32 s6, s6, s9
	v_mov_b32_e32 v2, s3
	s_cselect_b32 s3, s14, s5
	s_cselect_b32 s4, s7, s4
	v_mov_b32_e32 v3, s6
	v_mov_b32_e32 v4, s4
	;; [unrolled: 1-line block ×3, first 2 shown]
	flat_load_dwordx2 v[44:45], v[2:3]
	flat_load_dwordx2 v[46:47], v[4:5]
	s_waitcnt vmcnt(0) lgkmcnt(0)
	v_cmp_neq_f32_e32 vcc, 0, v44
	v_cmp_neq_f32_e64 s[4:5], 0, v45
	v_cmp_neq_f32_e64 s[8:9], 1.0, v46
	v_cmp_neq_f32_e64 s[6:7], 0, v47
	s_or_b64 s[4:5], vcc, s[4:5]
	s_or_b64 s[8:9], s[8:9], s[6:7]
	s_or_b64 s[4:5], s[4:5], s[8:9]
	s_and_saveexec_b64 s[8:9], s[4:5]
	s_cbranch_execz .LBB54_6
; %bb.1:
	s_load_dwordx2 s[4:5], s[0:1], 0x20
	v_lshrrev_b32_e32 v1, 6, v0
	v_lshl_or_b32 v2, s2, 1, v1
	v_mov_b32_e32 v3, 0
	s_mov_b64 s[2:3], 0
	s_waitcnt lgkmcnt(0)
	s_cmp_lg_u64 s[4:5], 0
	s_cbranch_scc0 .LBB54_7
; %bb.2:
	v_cmp_gt_i64_e32 vcc, s[10:11], v[2:3]
                                        ; implicit-def: $vgpr48_vgpr49
                                        ; implicit-def: $vgpr52_vgpr53
	s_and_saveexec_b64 s[8:9], vcc
	s_xor_b64 s[8:9], exec, s[8:9]
	s_cbranch_execz .LBB54_4
; %bb.3:
	v_lshl_add_u64 v[4:5], v[2:3], 3, s[4:5]
	global_load_dwordx2 v[4:5], v[4:5], off
	s_mov_b32 s13, 0
	s_mov_b64 s[2:3], exec
	v_mov_b64_e32 v[52:53], s[12:13]
	s_waitcnt vmcnt(0)
	v_subrev_co_u32_e32 v48, vcc, s12, v4
	s_nop 1
	v_subbrev_co_u32_e32 v49, vcc, 0, v5, vcc
.LBB54_4:
	s_or_b64 exec, exec, s[8:9]
.LBB54_5:
	s_and_b64 exec, exec, s[2:3]
	s_cbranch_execnz .LBB54_11
.LBB54_6:
	s_endpgm
.LBB54_7:
                                        ; implicit-def: $vgpr48_vgpr49
                                        ; implicit-def: $vgpr52_vgpr53
	s_cbranch_execz .LBB54_5
; %bb.8:
	s_load_dwordx2 s[4:5], s[0:1], 0x0
	s_waitcnt lgkmcnt(0)
	v_cmp_gt_i64_e32 vcc, s[4:5], v[2:3]
	s_and_saveexec_b64 s[4:5], vcc
; %bb.9:
	s_mov_b32 s13, 0
	s_or_b64 s[2:3], s[2:3], exec
; %bb.10:
	s_or_b64 exec, exec, s[4:5]
	v_mov_b64_e32 v[52:53], s[12:13]
	v_mov_b64_e32 v[48:49], v[2:3]
	s_and_b64 exec, exec, s[2:3]
	s_cbranch_execz .LBB54_6
.LBB54_11:
	s_load_dwordx8 s[8:15], s[0:1], 0x28
	v_lshlrev_b64 v[2:3], 3, v[48:49]
	v_and_b32_e32 v50, 63, v0
	v_mov_b32_e32 v51, 0
	s_waitcnt lgkmcnt(0)
	v_lshl_add_u64 v[4:5], s[8:9], 0, v[2:3]
	s_cmp_eq_u64 s[10:11], 0
	v_lshl_add_u64 v[2:3], s[10:11], 0, v[2:3]
	global_load_dwordx2 v[28:29], v[4:5], off
	v_lshl_add_u64 v[4:5], v[4:5], 0, 8
	s_cselect_b64 vcc, -1, 0
	v_cndmask_b32_e32 v3, v3, v5, vcc
	v_cndmask_b32_e32 v2, v2, v4, vcc
	global_load_dwordx2 v[2:3], v[2:3], off
	s_load_dword s4, s[0:1], 0x8
	s_load_dwordx2 s[2:3], s[0:1], 0x48
	s_waitcnt lgkmcnt(0)
	s_cmp_eq_u32 s4, 1
	s_waitcnt vmcnt(1)
	v_sub_co_u32_e32 v0, vcc, v28, v52
	s_nop 1
	v_subb_co_u32_e32 v1, vcc, v29, v53, vcc
	v_lshl_add_u64 v[54:55], v[0:1], 0, v[50:51]
	s_waitcnt vmcnt(0)
	v_sub_co_u32_e32 v56, vcc, v2, v52
	v_lshlrev_b64 v[0:1], 7, v[54:55]
	s_nop 0
	v_subb_co_u32_e32 v57, vcc, v3, v53, vcc
	v_lshl_add_u64 v[58:59], s[14:15], 0, v[0:1]
	v_cmp_lt_i64_e64 s[4:5], v[54:55], v[56:57]
	s_cbranch_scc1 .LBB54_23
; %bb.12:
	v_mov_b32_e32 v66, v51
	v_mov_b32_e32 v61, v51
	;; [unrolled: 1-line block ×7, first 2 shown]
	s_and_saveexec_b64 s[8:9], s[4:5]
	s_cbranch_execz .LBB54_22
; %bb.13:
	v_or_b32_e32 v0, 64, v50
	v_sub_co_u32_e32 v0, vcc, v0, v52
	v_not_b32_e32 v3, v29
	s_nop 0
	v_subb_co_u32_e32 v1, vcc, 0, v53, vcc
	v_lshl_add_u64 v[0:1], v[0:1], 0, v[28:29]
	v_cmp_gt_i64_e32 vcc, v[0:1], v[56:57]
	v_not_b32_e32 v2, v28
	v_mov_b32_e32 v65, 0
	v_cndmask_b32_e32 v1, v57, v1, vcc
	v_cndmask_b32_e32 v0, v56, v0, vcc
	v_sub_co_u32_e32 v4, vcc, v52, v50
	s_mov_b64 s[10:11], 0xc0
	s_nop 0
	v_subbrev_co_u32_e32 v5, vcc, 0, v53, vcc
	v_lshl_add_u64 v[2:3], v[4:5], 0, v[2:3]
	v_lshl_add_u64 v[0:1], v[2:3], 0, v[0:1]
	v_and_b32_e32 v64, 0xc0, v0
	v_cmp_ne_u64_e32 vcc, s[10:11], v[64:65]
	v_mov_b32_e32 v64, v65
	v_mov_b32_e32 v63, v65
	;; [unrolled: 1-line block ×7, first 2 shown]
	v_mov_b64_e32 v[30:31], v[58:59]
	v_mov_b64_e32 v[32:33], v[54:55]
	s_and_saveexec_b64 s[10:11], vcc
	s_cbranch_execz .LBB54_17
; %bb.14:
	v_lshrrev_b32_e32 v2, 6, v0
	v_add_u32_e32 v2, 1, v2
	v_and_b32_e32 v4, 3, v2
	v_sub_co_u32_e32 v4, vcc, 0, v4
	v_mov_b32_e32 v64, 0
	s_nop 0
	v_subb_co_u32_e64 v5, s[16:17], 0, 0, vcc
	v_lshl_add_u64 v[2:3], v[54:55], 3, s[12:13]
	s_mov_b64 s[14:15], 0
	s_mov_b64 s[16:17], 0x2000
	;; [unrolled: 1-line block ×3, first 2 shown]
	v_mov_b64_e32 v[32:33], v[54:55]
	v_mov_b64_e32 v[30:31], v[58:59]
	v_mov_b32_e32 v65, v64
	v_mov_b32_e32 v62, v64
	;; [unrolled: 1-line block ×7, first 2 shown]
.LBB54_15:                              ; =>This Inner Loop Header: Depth=1
	global_load_dwordx2 v[26:27], v[2:3], off
	global_load_dwordx4 v[6:9], v[30:31], off
	global_load_dwordx4 v[10:13], v[30:31], off offset:16
	global_load_dwordx4 v[14:17], v[30:31], off offset:32
	;; [unrolled: 1-line block ×7, first 2 shown]
	v_lshl_add_u64 v[4:5], v[4:5], 0, 1
	v_lshl_add_u64 v[30:31], v[30:31], 0, s[16:17]
	;; [unrolled: 1-line block ×4, first 2 shown]
	s_waitcnt vmcnt(8)
	v_sub_co_u32_e32 v26, vcc, v26, v52
	s_nop 1
	v_subb_co_u32_e32 v27, vcc, v27, v53, vcc
	v_lshlrev_b64 v[26:27], 5, v[26:27]
	v_lshl_add_u64 v[26:27], s[2:3], 0, v[26:27]
	global_load_dwordx4 v[72:75], v[26:27], off
	global_load_dwordx4 v[76:79], v[26:27], off offset:16
	s_waitcnt vmcnt(9)
	v_xor_b32_e32 v26, 0x80000000, v9
	v_mov_b32_e32 v27, v8
	s_waitcnt vmcnt(7)
	v_xor_b32_e32 v80, 0x80000000, v17
	v_mov_b32_e32 v81, v16
	;; [unrolled: 3-line block ×4, first 2 shown]
	v_cmp_eq_u64_e32 vcc, 0, v[4:5]
	v_xor_b32_e32 v42, 0x80000000, v13
	v_mov_b32_e32 v43, v12
	v_xor_b32_e32 v82, 0x80000000, v21
	v_mov_b32_e32 v83, v20
	;; [unrolled: 2-line block ×4, first 2 shown]
	s_or_b64 s[14:15], vcc, s[14:15]
	s_waitcnt vmcnt(1)
	v_pk_fma_f32 v[66:67], v[6:7], v[72:73], v[66:67] op_sel_hi:[1,0,1]
	v_pk_fma_f32 v[64:65], v[14:15], v[72:73], v[64:65] op_sel_hi:[1,0,1]
	;; [unrolled: 1-line block ×4, first 2 shown]
	v_pk_fma_f32 v[6:7], v[6:7], v[72:73], v[66:67] op_sel:[1,1,0] op_sel_hi:[0,1,1] neg_lo:[1,0,0]
	v_pk_fma_f32 v[14:15], v[14:15], v[72:73], v[64:65] op_sel:[1,1,0] op_sel_hi:[0,1,1] neg_lo:[1,0,0]
	;; [unrolled: 1-line block ×4, first 2 shown]
	v_mov_b32_e32 v92, v75
	v_pk_fma_f32 v[6:7], v[8:9], v[74:75], v[6:7] op_sel_hi:[1,0,1]
	v_pk_fma_f32 v[8:9], v[16:17], v[74:75], v[14:15] op_sel_hi:[1,0,1]
	v_pk_fma_f32 v[14:15], v[36:37], v[74:75], v[34:35] op_sel_hi:[1,0,1]
	v_pk_fma_f32 v[16:17], v[70:71], v[74:75], v[60:61] op_sel_hi:[1,0,1]
	v_pk_fma_f32 v[6:7], v[26:27], v[92:93], v[6:7] op_sel_hi:[1,0,1]
	v_pk_fma_f32 v[8:9], v[80:81], v[92:93], v[8:9] op_sel_hi:[1,0,1]
	v_pk_fma_f32 v[14:15], v[84:85], v[92:93], v[14:15] op_sel_hi:[1,0,1]
	v_pk_fma_f32 v[16:17], v[88:89], v[92:93], v[16:17] op_sel_hi:[1,0,1]
	s_waitcnt vmcnt(0)
	v_pk_fma_f32 v[6:7], v[10:11], v[76:77], v[6:7] op_sel_hi:[1,0,1]
	v_pk_fma_f32 v[8:9], v[18:19], v[76:77], v[8:9] op_sel_hi:[1,0,1]
	;; [unrolled: 1-line block ×4, first 2 shown]
	v_pk_fma_f32 v[6:7], v[10:11], v[76:77], v[6:7] op_sel:[1,1,0] op_sel_hi:[0,1,1] neg_lo:[1,0,0]
	v_pk_fma_f32 v[8:9], v[18:19], v[76:77], v[8:9] op_sel:[1,1,0] op_sel_hi:[0,1,1] neg_lo:[1,0,0]
	;; [unrolled: 1-line block ×4, first 2 shown]
	v_mov_b32_e32 v94, v79
	v_pk_fma_f32 v[6:7], v[12:13], v[78:79], v[6:7] op_sel_hi:[1,0,1]
	v_pk_fma_f32 v[8:9], v[20:21], v[78:79], v[8:9] op_sel_hi:[1,0,1]
	;; [unrolled: 1-line block ×8, first 2 shown]
	s_andn2_b64 exec, exec, s[14:15]
	s_cbranch_execnz .LBB54_15
; %bb.16:
	s_or_b64 exec, exec, s[14:15]
.LBB54_17:
	s_or_b64 exec, exec, s[10:11]
	s_mov_b64 s[10:11], 0xbf
	v_cmp_lt_u64_e32 vcc, s[10:11], v[0:1]
	s_and_saveexec_b64 s[10:11], vcc
	s_cbranch_execz .LBB54_21
; %bb.18:
	v_lshl_add_u64 v[0:1], v[32:33], 3, s[12:13]
	s_mov_b64 s[14:15], 0x400
	v_lshl_add_u64 v[34:35], v[0:1], 0, s[14:15]
	s_mov_b64 s[14:15], 0
	s_mov_b64 s[16:17], 0x2000
	s_movk_i32 s28, 0x2000
	s_mov_b64 s[18:19], 0x4000
	s_movk_i32 s29, 0x4000
	s_mov_b64 s[20:21], 0x6000
	s_movk_i32 s30, 0x6000
	s_mov_b64 s[22:23], 0x100
	s_mov_b64 s[24:25], 0x800
	;; [unrolled: 1-line block ×3, first 2 shown]
.LBB54_19:                              ; =>This Inner Loop Header: Depth=1
	global_load_dwordx2 v[0:1], v[34:35], off offset:-1024
	v_lshl_add_u64 v[86:87], v[30:31], 0, s[16:17]
	v_lshl_add_u64 v[32:33], v[32:33], 0, s[22:23]
	s_waitcnt vmcnt(0)
	v_sub_co_u32_e32 v0, vcc, v0, v52
	s_nop 1
	v_subb_co_u32_e32 v1, vcc, v1, v53, vcc
	v_lshlrev_b64 v[0:1], 5, v[0:1]
	v_lshl_add_u64 v[4:5], s[2:3], 0, v[0:1]
	global_load_dwordx4 v[0:3], v[4:5], off offset:16
	global_load_dwordx4 v[12:15], v[4:5], off
	global_load_dwordx2 v[6:7], v[34:35], off offset:-512
	s_waitcnt vmcnt(2)
	v_mov_b32_e32 v84, v3
	s_waitcnt vmcnt(1)
	v_mov_b32_e32 v82, v15
	s_waitcnt vmcnt(0)
	v_sub_co_u32_e32 v4, vcc, v6, v52
	s_nop 1
	v_subb_co_u32_e32 v5, vcc, v7, v53, vcc
	v_lshlrev_b64 v[4:5], 5, v[4:5]
	v_lshl_add_u64 v[40:41], s[2:3], 0, v[4:5]
	global_load_dwordx4 v[4:7], v[40:41], off offset:16
	global_load_dwordx4 v[8:11], v[40:41], off
	global_load_dwordx4 v[24:27], v[30:31], off offset:48
	global_load_dwordx4 v[36:39], v[30:31], off offset:32
	;; [unrolled: 1-line block ×3, first 2 shown]
	global_load_dwordx4 v[20:23], v[30:31], off
	v_add_co_u32_e32 v72, vcc, s28, v30
	s_waitcnt vmcnt(2)
	v_pk_fma_f32 v[64:65], v[36:37], v[12:13], v[64:65] op_sel_hi:[1,0,1]
	v_addc_co_u32_e32 v73, vcc, 0, v31, vcc
	s_waitcnt vmcnt(0)
	v_pk_fma_f32 v[40:41], v[20:21], v[12:13], v[66:67] op_sel_hi:[1,0,1]
	v_pk_fma_f32 v[36:37], v[36:37], v[12:13], v[64:65] op_sel:[1,1,0] op_sel_hi:[0,1,1] neg_lo:[1,0,0]
	v_pk_fma_f32 v[20:21], v[20:21], v[12:13], v[40:41] op_sel:[1,1,0] op_sel_hi:[0,1,1] neg_lo:[1,0,0]
	v_xor_b32_e32 v40, 0x80000000, v23
	v_pk_fma_f32 v[20:21], v[22:23], v[14:15], v[20:21] op_sel_hi:[1,0,1]
	v_mov_b32_e32 v41, v22
	v_pk_fma_f32 v[20:21], v[40:41], v[82:83], v[20:21] op_sel_hi:[1,0,1]
	v_xor_b32_e32 v64, 0x80000000, v39
	v_pk_fma_f32 v[20:21], v[16:17], v[0:1], v[20:21] op_sel_hi:[1,0,1]
	v_pk_fma_f32 v[36:37], v[38:39], v[14:15], v[36:37] op_sel_hi:[1,0,1]
	v_pk_fma_f32 v[16:17], v[16:17], v[0:1], v[20:21] op_sel:[1,1,0] op_sel_hi:[0,1,1] neg_lo:[1,0,0]
	v_xor_b32_e32 v20, 0x80000000, v19
	v_pk_fma_f32 v[16:17], v[18:19], v[2:3], v[16:17] op_sel_hi:[1,0,1]
	v_mov_b32_e32 v21, v18
	v_pk_fma_f32 v[70:71], v[20:21], v[84:85], v[16:17] op_sel_hi:[1,0,1]
	global_load_dwordx4 v[40:43], v[72:73], off
	global_load_dwordx4 v[16:19], v[86:87], off offset:48
	global_load_dwordx4 v[20:23], v[86:87], off offset:32
	;; [unrolled: 1-line block ×3, first 2 shown]
	v_mov_b32_e32 v65, v38
	v_pk_fma_f32 v[36:37], v[64:65], v[82:83], v[36:37] op_sel_hi:[1,0,1]
	s_waitcnt vmcnt(3)
	v_pk_fma_f32 v[70:71], v[40:41], v[8:9], v[70:71] op_sel_hi:[1,0,1]
	v_pk_fma_f32 v[36:37], v[24:25], v[0:1], v[36:37] op_sel_hi:[1,0,1]
	v_pk_fma_f32 v[40:41], v[40:41], v[8:9], v[70:71] op_sel:[1,1,0] op_sel_hi:[0,1,1] neg_lo:[1,0,0]
	v_pk_fma_f32 v[24:25], v[24:25], v[0:1], v[36:37] op_sel:[1,1,0] op_sel_hi:[0,1,1] neg_lo:[1,0,0]
	v_xor_b32_e32 v36, 0x80000000, v27
	v_pk_fma_f32 v[24:25], v[26:27], v[2:3], v[24:25] op_sel_hi:[1,0,1]
	v_mov_b32_e32 v37, v26
	v_pk_fma_f32 v[24:25], v[36:37], v[84:85], v[24:25] op_sel_hi:[1,0,1]
	s_waitcnt vmcnt(1)
	v_pk_fma_f32 v[24:25], v[20:21], v[8:9], v[24:25] op_sel_hi:[1,0,1]
	s_nop 0
	v_pk_fma_f32 v[20:21], v[20:21], v[8:9], v[24:25] op_sel:[1,1,0] op_sel_hi:[0,1,1] neg_lo:[1,0,0]
	global_load_dwordx4 v[24:27], v[30:31], off offset:112
	global_load_dwordx4 v[36:39], v[30:31], off offset:96
	;; [unrolled: 1-line block ×4, first 2 shown]
	v_pk_fma_f32 v[20:21], v[22:23], v[10:11], v[20:21] op_sel_hi:[1,0,1]
	s_waitcnt vmcnt(2)
	v_pk_fma_f32 v[60:61], v[36:37], v[12:13], v[60:61] op_sel_hi:[1,0,1]
	s_waitcnt vmcnt(0)
	v_pk_fma_f32 v[62:63], v[74:75], v[12:13], v[62:63] op_sel_hi:[1,0,1]
	s_nop 0
	v_pk_fma_f32 v[62:63], v[74:75], v[12:13], v[62:63] op_sel:[1,1,0] op_sel_hi:[0,1,1] neg_lo:[1,0,0]
	v_xor_b32_e32 v64, 0x80000000, v77
	v_pk_fma_f32 v[62:63], v[76:77], v[14:15], v[62:63] op_sel_hi:[1,0,1]
	v_mov_b32_e32 v65, v76
	v_pk_fma_f32 v[62:63], v[64:65], v[82:83], v[62:63] op_sel_hi:[1,0,1]
	v_xor_b32_e32 v64, 0x80000000, v73
	v_pk_fma_f32 v[62:63], v[70:71], v[0:1], v[62:63] op_sel_hi:[1,0,1]
	v_mov_b32_e32 v65, v72
	v_pk_fma_f32 v[62:63], v[70:71], v[0:1], v[62:63] op_sel:[1,1,0] op_sel_hi:[0,1,1] neg_lo:[1,0,0]
	v_pk_fma_f32 v[62:63], v[72:73], v[2:3], v[62:63] op_sel_hi:[1,0,1]
	v_pk_fma_f32 v[12:13], v[36:37], v[12:13], v[60:61] op_sel:[1,1,0] op_sel_hi:[0,1,1] neg_lo:[1,0,0]
	v_pk_fma_f32 v[88:89], v[64:65], v[84:85], v[62:63] op_sel_hi:[1,0,1]
	global_load_dwordx4 v[62:65], v[86:87], off offset:112
	global_load_dwordx4 v[70:73], v[86:87], off offset:96
	global_load_dwordx4 v[74:77], v[86:87], off offset:80
	global_load_dwordx4 v[78:81], v[86:87], off offset:64
	v_xor_b32_e32 v36, 0x80000000, v39
	v_pk_fma_f32 v[12:13], v[38:39], v[14:15], v[12:13] op_sel_hi:[1,0,1]
	v_mov_b32_e32 v37, v38
	v_pk_fma_f32 v[12:13], v[36:37], v[82:83], v[12:13] op_sel_hi:[1,0,1]
	s_waitcnt vmcnt(0)
	v_pk_fma_f32 v[86:87], v[78:79], v[8:9], v[88:89] op_sel_hi:[1,0,1]
	v_pk_fma_f32 v[12:13], v[24:25], v[0:1], v[12:13] op_sel_hi:[1,0,1]
	v_pk_fma_f32 v[78:79], v[78:79], v[8:9], v[86:87] op_sel:[1,1,0] op_sel_hi:[0,1,1] neg_lo:[1,0,0]
	v_pk_fma_f32 v[0:1], v[24:25], v[0:1], v[12:13] op_sel:[1,1,0] op_sel_hi:[0,1,1] neg_lo:[1,0,0]
	v_xor_b32_e32 v12, 0x80000000, v27
	v_pk_fma_f32 v[0:1], v[26:27], v[2:3], v[0:1] op_sel_hi:[1,0,1]
	v_mov_b32_e32 v13, v26
	v_pk_fma_f32 v[0:1], v[12:13], v[84:85], v[0:1] op_sel_hi:[1,0,1]
	v_pk_fma_f32 v[12:13], v[42:43], v[10:11], v[40:41] op_sel_hi:[1,0,1]
	;; [unrolled: 1-line block ×3, first 2 shown]
	v_mov_b32_e32 v86, v7
	v_pk_fma_f32 v[60:61], v[70:71], v[8:9], v[0:1] op_sel:[1,1,0] op_sel_hi:[0,1,1] neg_lo:[1,0,0]
	global_load_dwordx2 v[0:1], v[34:35], off
	v_mov_b32_e32 v70, v11
	v_lshl_add_u64 v[88:89], v[30:31], 0, s[18:19]
	s_waitcnt vmcnt(0)
	v_sub_co_u32_e32 v0, vcc, v0, v52
	s_nop 1
	v_subb_co_u32_e32 v1, vcc, v1, v53, vcc
	v_lshlrev_b64 v[0:1], 5, v[0:1]
	v_lshl_add_u64 v[8:9], s[2:3], 0, v[0:1]
	global_load_dwordx4 v[0:3], v[8:9], off offset:16
	global_load_dwordx4 v[82:85], v[8:9], off
	v_xor_b32_e32 v8, 0x80000000, v43
	v_mov_b32_e32 v9, v42
	v_pk_fma_f32 v[8:9], v[8:9], v[70:71], v[12:13] op_sel_hi:[1,0,1]
	v_xor_b32_e32 v12, 0x80000000, v69
	v_pk_fma_f32 v[8:9], v[66:67], v[4:5], v[8:9] op_sel_hi:[1,0,1]
	v_mov_b32_e32 v13, v68
	v_pk_fma_f32 v[8:9], v[66:67], v[4:5], v[8:9] op_sel:[1,1,0] op_sel_hi:[0,1,1] neg_lo:[1,0,0]
	v_add_co_u32_e32 v66, vcc, s29, v30
	v_pk_fma_f32 v[8:9], v[68:69], v[6:7], v[8:9] op_sel_hi:[1,0,1]
	s_nop 0
	v_addc_co_u32_e32 v67, vcc, 0, v31, vcc
	v_pk_fma_f32 v[8:9], v[12:13], v[86:87], v[8:9] op_sel_hi:[1,0,1]
	global_load_dwordx4 v[36:39], v[66:67], off
	global_load_dwordx4 v[12:15], v[88:89], off offset:48
	global_load_dwordx4 v[40:43], v[88:89], off offset:32
	;; [unrolled: 1-line block ×3, first 2 shown]
	s_waitcnt vmcnt(4)
	v_mov_b32_e32 v90, v85
	s_waitcnt vmcnt(3)
	v_pk_fma_f32 v[8:9], v[36:37], v[82:83], v[8:9] op_sel_hi:[1,0,1]
	s_nop 0
	v_pk_fma_f32 v[8:9], v[36:37], v[82:83], v[8:9] op_sel:[1,1,0] op_sel_hi:[0,1,1] neg_lo:[1,0,0]
	v_xor_b32_e32 v36, 0x80000000, v39
	v_pk_fma_f32 v[8:9], v[38:39], v[84:85], v[8:9] op_sel_hi:[1,0,1]
	v_mov_b32_e32 v37, v38
	v_pk_fma_f32 v[8:9], v[36:37], v[90:91], v[8:9] op_sel_hi:[1,0,1]
	s_waitcnt vmcnt(0)
	v_xor_b32_e32 v92, 0x80000000, v25
	v_pk_fma_f32 v[94:95], v[24:25], v[0:1], v[8:9] op_sel_hi:[1,0,1]
	v_xor_b32_e32 v8, 0x80000000, v23
	v_mov_b32_e32 v9, v22
	v_pk_fma_f32 v[8:9], v[8:9], v[70:71], v[20:21] op_sel_hi:[1,0,1]
	v_mov_b32_e32 v93, v24
	v_pk_fma_f32 v[8:9], v[16:17], v[4:5], v[8:9] op_sel_hi:[1,0,1]
	v_xor_b32_e32 v24, 0x80000000, v27
	v_pk_fma_f32 v[8:9], v[16:17], v[4:5], v[8:9] op_sel:[1,1,0] op_sel_hi:[0,1,1] neg_lo:[1,0,0]
	v_xor_b32_e32 v16, 0x80000000, v19
	v_pk_fma_f32 v[8:9], v[18:19], v[6:7], v[8:9] op_sel_hi:[1,0,1]
	v_mov_b32_e32 v17, v18
	v_pk_fma_f32 v[8:9], v[16:17], v[86:87], v[8:9] op_sel_hi:[1,0,1]
	v_xor_b32_e32 v16, 0x80000000, v43
	v_pk_fma_f32 v[8:9], v[40:41], v[82:83], v[8:9] op_sel_hi:[1,0,1]
	v_mov_b32_e32 v17, v42
	v_pk_fma_f32 v[8:9], v[40:41], v[82:83], v[8:9] op_sel:[1,1,0] op_sel_hi:[0,1,1] neg_lo:[1,0,0]
	v_pk_fma_f32 v[8:9], v[42:43], v[84:85], v[8:9] op_sel_hi:[1,0,1]
	v_pk_fma_f32 v[18:19], v[80:81], v[10:11], v[78:79] op_sel_hi:[1,0,1]
	;; [unrolled: 1-line block ×5, first 2 shown]
	v_xor_b32_e32 v16, 0x80000000, v81
	v_mov_b32_e32 v17, v80
	v_pk_fma_f32 v[16:17], v[16:17], v[70:71], v[18:19] op_sel_hi:[1,0,1]
	v_xor_b32_e32 v18, 0x80000000, v77
	v_pk_fma_f32 v[16:17], v[74:75], v[4:5], v[16:17] op_sel_hi:[1,0,1]
	v_mov_b32_e32 v19, v76
	v_pk_fma_f32 v[16:17], v[74:75], v[4:5], v[16:17] op_sel:[1,1,0] op_sel_hi:[0,1,1] neg_lo:[1,0,0]
	v_pk_fma_f32 v[16:17], v[76:77], v[6:7], v[16:17] op_sel_hi:[1,0,1]
	v_mov_b32_e32 v25, v26
	v_pk_fma_f32 v[42:43], v[18:19], v[86:87], v[16:17] op_sel_hi:[1,0,1]
	global_load_dwordx4 v[16:19], v[88:89], off offset:112
	global_load_dwordx4 v[66:69], v[88:89], off offset:96
	;; [unrolled: 1-line block ×4, first 2 shown]
	v_lshl_add_u64 v[80:81], v[30:31], 0, s[20:21]
	v_xor_b32_e32 v8, 0x80000000, v13
	v_mov_b32_e32 v9, v12
	v_pk_fma_f32 v[8:9], v[8:9], v[0:1], v[36:37] op_sel:[0,1,0]
	s_waitcnt vmcnt(0)
	v_pk_fma_f32 v[42:43], v[38:39], v[82:83], v[42:43] op_sel_hi:[1,0,1]
	s_nop 0
	v_pk_fma_f32 v[38:39], v[38:39], v[82:83], v[42:43] op_sel:[1,1,0] op_sel_hi:[0,1,1] neg_lo:[1,0,0]
	v_xor_b32_e32 v42, 0x80000000, v41
	v_pk_fma_f32 v[38:39], v[40:41], v[84:85], v[38:39] op_sel_hi:[1,0,1]
	v_mov_b32_e32 v43, v40
	v_pk_fma_f32 v[40:41], v[42:43], v[90:91], v[38:39] op_sel_hi:[1,0,1]
	v_xor_b32_e32 v42, 0x80000000, v73
	v_mov_b32_e32 v43, v72
	v_pk_fma_f32 v[10:11], v[42:43], v[70:71], v[10:11] op_sel_hi:[1,0,1]
	v_mov_b32_e32 v42, v3
	v_pk_fma_f32 v[10:11], v[62:63], v[4:5], v[10:11] op_sel_hi:[1,0,1]
	v_pk_fma_f32 v[8:9], v[14:15], v[2:3], v[8:9] op_sel_hi:[1,0,1]
	v_pk_fma_f32 v[4:5], v[62:63], v[4:5], v[10:11] op_sel:[1,1,0] op_sel_hi:[0,1,1] neg_lo:[1,0,0]
	v_xor_b32_e32 v10, 0x80000000, v65
	v_pk_fma_f32 v[4:5], v[64:65], v[6:7], v[4:5] op_sel_hi:[1,0,1]
	v_mov_b32_e32 v11, v64
	v_pk_fma_f32 v[4:5], v[10:11], v[86:87], v[4:5] op_sel_hi:[1,0,1]
	global_load_dwordx2 v[10:11], v[34:35], off offset:512
	v_pk_fma_f32 v[4:5], v[66:67], v[82:83], v[4:5] op_sel_hi:[1,0,1]
	v_xor_b32_e32 v6, 0x80000000, v69
	v_pk_fma_f32 v[4:5], v[66:67], v[82:83], v[4:5] op_sel:[1,1,0] op_sel_hi:[0,1,1] neg_lo:[1,0,0]
	v_pk_fma_f32 v[4:5], v[68:69], v[84:85], v[4:5] op_sel_hi:[1,0,1]
	v_mov_b32_e32 v7, v68
	v_xor_b32_e32 v38, 0x80000000, v21
	v_pk_fma_f32 v[40:41], v[20:21], v[0:1], v[40:41] op_sel_hi:[1,0,1]
	v_mov_b32_e32 v39, v20
	v_pk_fma_f32 v[6:7], v[6:7], v[90:91], v[4:5] op_sel_hi:[1,0,1]
	v_xor_b32_e32 v4, 0x80000000, v17
	v_pk_fma_f32 v[6:7], v[16:17], v[0:1], v[6:7] op_sel_hi:[1,0,1]
	v_mov_b32_e32 v5, v16
	v_lshl_add_u64 v[34:35], v[34:35], 0, s[24:25]
	s_waitcnt vmcnt(0)
	v_sub_co_u32_e32 v10, vcc, v10, v52
	s_nop 1
	v_subb_co_u32_e32 v11, vcc, v11, v53, vcc
	v_lshlrev_b64 v[10:11], 5, v[10:11]
	v_lshl_add_u64 v[10:11], s[2:3], 0, v[10:11]
	global_load_dwordx4 v[68:71], v[10:11], off offset:16
	global_load_dwordx4 v[72:75], v[10:11], off
	v_pk_fma_f32 v[10:11], v[92:93], v[0:1], v[94:95] op_sel:[0,1,0]
	v_add_co_u32_e32 v82, vcc, s30, v30
	v_pk_fma_f32 v[10:11], v[26:27], v[2:3], v[10:11] op_sel_hi:[1,0,1]
	s_nop 0
	v_addc_co_u32_e32 v83, vcc, 0, v31, vcc
	v_pk_fma_f32 v[10:11], v[24:25], v[42:43], v[10:11] op_sel_hi:[1,0,1]
	global_load_dwordx4 v[24:27], v[82:83], off
	global_load_dwordx4 v[60:63], v[80:81], off offset:48
	global_load_dwordx4 v[76:79], v[80:81], off offset:32
	;; [unrolled: 1-line block ×3, first 2 shown]
	v_cmp_ge_i64_e32 vcc, v[32:33], v[56:57]
	v_lshl_add_u64 v[30:31], v[30:31], 0, s[26:27]
	s_or_b64 s[14:15], vcc, s[14:15]
	s_waitcnt vmcnt(5)
	v_mov_b32_e32 v84, v71
	s_waitcnt vmcnt(4)
	v_mov_b32_e32 v82, v75
	s_waitcnt vmcnt(3)
	v_pk_fma_f32 v[10:11], v[24:25], v[72:73], v[10:11] op_sel_hi:[1,0,1]
	s_nop 0
	v_pk_fma_f32 v[10:11], v[24:25], v[72:73], v[10:11] op_sel:[1,1,0] op_sel_hi:[0,1,1] neg_lo:[1,0,0]
	v_xor_b32_e32 v24, 0x80000000, v27
	v_pk_fma_f32 v[10:11], v[26:27], v[74:75], v[10:11] op_sel_hi:[1,0,1]
	v_mov_b32_e32 v25, v26
	v_pk_fma_f32 v[10:11], v[24:25], v[82:83], v[10:11] op_sel_hi:[1,0,1]
	s_waitcnt vmcnt(0)
	v_xor_b32_e32 v24, 0x80000000, v67
	v_pk_fma_f32 v[10:11], v[64:65], v[68:69], v[10:11] op_sel_hi:[1,0,1]
	v_mov_b32_e32 v25, v66
	v_pk_fma_f32 v[10:11], v[64:65], v[68:69], v[10:11] op_sel:[1,1,0] op_sel_hi:[0,1,1] neg_lo:[1,0,0]
	v_pk_fma_f32 v[10:11], v[66:67], v[70:71], v[10:11] op_sel_hi:[1,0,1]
	s_nop 0
	v_pk_fma_f32 v[66:67], v[24:25], v[84:85], v[10:11] op_sel_hi:[1,0,1]
	v_xor_b32_e32 v10, 0x80000000, v15
	v_mov_b32_e32 v11, v14
	v_pk_fma_f32 v[8:9], v[10:11], v[42:43], v[8:9] op_sel_hi:[1,0,1]
	v_xor_b32_e32 v10, 0x80000000, v79
	v_pk_fma_f32 v[8:9], v[76:77], v[72:73], v[8:9] op_sel_hi:[1,0,1]
	v_mov_b32_e32 v11, v78
	v_pk_fma_f32 v[8:9], v[76:77], v[72:73], v[8:9] op_sel:[1,1,0] op_sel_hi:[0,1,1] neg_lo:[1,0,0]
	v_pk_fma_f32 v[8:9], v[78:79], v[74:75], v[8:9] op_sel_hi:[1,0,1]
	s_nop 0
	v_pk_fma_f32 v[8:9], v[10:11], v[82:83], v[8:9] op_sel_hi:[1,0,1]
	v_xor_b32_e32 v10, 0x80000000, v63
	v_pk_fma_f32 v[8:9], v[60:61], v[68:69], v[8:9] op_sel_hi:[1,0,1]
	v_mov_b32_e32 v11, v62
	v_pk_fma_f32 v[8:9], v[60:61], v[68:69], v[8:9] op_sel:[1,1,0] op_sel_hi:[0,1,1] neg_lo:[1,0,0]
	v_pk_fma_f32 v[8:9], v[62:63], v[70:71], v[8:9] op_sel_hi:[1,0,1]
	s_nop 0
	v_pk_fma_f32 v[64:65], v[10:11], v[84:85], v[8:9] op_sel_hi:[1,0,1]
	v_pk_fma_f32 v[8:9], v[38:39], v[0:1], v[40:41] op_sel:[0,1,0]
	v_xor_b32_e32 v10, 0x80000000, v23
	v_pk_fma_f32 v[8:9], v[22:23], v[2:3], v[8:9] op_sel_hi:[1,0,1]
	v_mov_b32_e32 v11, v22
	v_pk_fma_f32 v[36:37], v[10:11], v[42:43], v[8:9] op_sel_hi:[1,0,1]
	global_load_dwordx4 v[8:11], v[80:81], off offset:112
	global_load_dwordx4 v[12:15], v[80:81], off offset:96
	;; [unrolled: 1-line block ×4, first 2 shown]
	v_pk_fma_f32 v[0:1], v[4:5], v[0:1], v[6:7] op_sel:[0,1,0]
	v_xor_b32_e32 v4, 0x80000000, v19
	v_pk_fma_f32 v[0:1], v[18:19], v[2:3], v[0:1] op_sel_hi:[1,0,1]
	v_mov_b32_e32 v5, v18
	v_pk_fma_f32 v[0:1], v[4:5], v[42:43], v[0:1] op_sel_hi:[1,0,1]
	s_waitcnt vmcnt(2)
	v_xor_b32_e32 v2, 0x80000000, v15
	v_pk_fma_f32 v[0:1], v[12:13], v[72:73], v[0:1] op_sel_hi:[1,0,1]
	s_waitcnt vmcnt(0)
	v_pk_fma_f32 v[36:37], v[24:25], v[72:73], v[36:37] op_sel_hi:[1,0,1]
	v_pk_fma_f32 v[0:1], v[12:13], v[72:73], v[0:1] op_sel:[1,1,0] op_sel_hi:[0,1,1] neg_lo:[1,0,0]
	v_pk_fma_f32 v[24:25], v[24:25], v[72:73], v[36:37] op_sel:[1,1,0] op_sel_hi:[0,1,1] neg_lo:[1,0,0]
	v_xor_b32_e32 v36, 0x80000000, v27
	v_pk_fma_f32 v[24:25], v[26:27], v[74:75], v[24:25] op_sel_hi:[1,0,1]
	v_mov_b32_e32 v37, v26
	v_pk_fma_f32 v[0:1], v[14:15], v[74:75], v[0:1] op_sel_hi:[1,0,1]
	v_mov_b32_e32 v3, v14
	v_pk_fma_f32 v[24:25], v[36:37], v[82:83], v[24:25] op_sel_hi:[1,0,1]
	v_pk_fma_f32 v[0:1], v[2:3], v[82:83], v[0:1] op_sel_hi:[1,0,1]
	;; [unrolled: 1-line block ×4, first 2 shown]
	v_pk_fma_f32 v[20:21], v[20:21], v[68:69], v[24:25] op_sel:[1,1,0] op_sel_hi:[0,1,1] neg_lo:[1,0,0]
	v_pk_fma_f32 v[0:1], v[8:9], v[68:69], v[0:1] op_sel:[1,1,0] op_sel_hi:[0,1,1] neg_lo:[1,0,0]
	v_xor_b32_e32 v24, 0x80000000, v23
	v_pk_fma_f32 v[20:21], v[22:23], v[70:71], v[20:21] op_sel_hi:[1,0,1]
	v_mov_b32_e32 v25, v22
	v_xor_b32_e32 v2, 0x80000000, v11
	v_pk_fma_f32 v[0:1], v[10:11], v[70:71], v[0:1] op_sel_hi:[1,0,1]
	v_mov_b32_e32 v3, v10
	v_pk_fma_f32 v[62:63], v[24:25], v[84:85], v[20:21] op_sel_hi:[1,0,1]
	v_pk_fma_f32 v[60:61], v[2:3], v[84:85], v[0:1] op_sel_hi:[1,0,1]
	s_andn2_b64 exec, exec, s[14:15]
	s_cbranch_execnz .LBB54_19
; %bb.20:
	s_or_b64 exec, exec, s[14:15]
.LBB54_21:
	s_or_b64 exec, exec, s[10:11]
	v_mov_b32_e32 v51, v67
.LBB54_22:
	s_or_b64 exec, exec, s[8:9]
	s_cbranch_execz .LBB54_24
	s_branch .LBB54_35
.LBB54_23:
                                        ; implicit-def: $vgpr66
                                        ; implicit-def: $vgpr61
                                        ; implicit-def: $vgpr63
                                        ; implicit-def: $vgpr65
.LBB54_24:
	v_mov_b32_e32 v51, 0
	v_mov_b32_e32 v66, 0
	;; [unrolled: 1-line block ×8, first 2 shown]
	s_and_saveexec_b64 s[8:9], s[4:5]
	s_cbranch_execz .LBB54_34
; %bb.25:
	v_or_b32_e32 v0, 64, v50
	v_sub_co_u32_e32 v0, vcc, v0, v52
	v_not_b32_e32 v3, v29
	s_nop 0
	v_subb_co_u32_e32 v1, vcc, 0, v53, vcc
	v_lshl_add_u64 v[0:1], v[0:1], 0, v[28:29]
	v_cmp_gt_i64_e32 vcc, v[0:1], v[56:57]
	v_not_b32_e32 v2, v28
	v_mov_b32_e32 v65, 0
	v_cndmask_b32_e32 v1, v57, v1, vcc
	v_cndmask_b32_e32 v0, v56, v0, vcc
	v_sub_co_u32_e32 v4, vcc, v52, v50
	s_mov_b64 s[4:5], 0xc0
	s_nop 0
	v_subbrev_co_u32_e32 v5, vcc, 0, v53, vcc
	v_lshl_add_u64 v[2:3], v[4:5], 0, v[2:3]
	v_lshl_add_u64 v[0:1], v[2:3], 0, v[0:1]
	v_and_b32_e32 v64, 0xc0, v0
	v_cmp_ne_u64_e32 vcc, s[4:5], v[64:65]
	v_mov_b32_e32 v64, v65
	v_mov_b32_e32 v63, v65
	;; [unrolled: 1-line block ×7, first 2 shown]
	s_and_saveexec_b64 s[4:5], vcc
	s_cbranch_execz .LBB54_29
; %bb.26:
	v_lshrrev_b32_e32 v2, 6, v0
	v_add_u32_e32 v2, 1, v2
	v_and_b32_e32 v4, 3, v2
	v_sub_co_u32_e32 v4, vcc, 0, v4
	v_mov_b32_e32 v64, 0
	s_nop 0
	v_subb_co_u32_e64 v5, s[14:15], 0, 0, vcc
	v_lshl_add_u64 v[2:3], v[54:55], 3, s[12:13]
	s_mov_b64 s[10:11], 0
	s_mov_b64 s[14:15], 0x2000
	;; [unrolled: 1-line block ×3, first 2 shown]
	v_mov_b32_e32 v65, v64
	v_mov_b32_e32 v62, v64
	;; [unrolled: 1-line block ×7, first 2 shown]
.LBB54_27:                              ; =>This Inner Loop Header: Depth=1
	global_load_dwordx2 v[34:35], v[2:3], off
	global_load_dwordx4 v[6:9], v[58:59], off offset:16
	global_load_dwordx4 v[10:13], v[58:59], off
	global_load_dwordx4 v[14:17], v[58:59], off offset:48
	global_load_dwordx4 v[18:21], v[58:59], off offset:32
	;; [unrolled: 1-line block ×5, first 2 shown]
	v_lshl_add_u64 v[4:5], v[4:5], 0, 1
	v_lshl_add_u64 v[54:55], v[54:55], 0, 64
	;; [unrolled: 1-line block ×3, first 2 shown]
	s_waitcnt vmcnt(7)
	v_sub_co_u32_e32 v34, vcc, v34, v52
	s_nop 1
	v_subb_co_u32_e32 v35, vcc, v35, v53, vcc
	v_lshlrev_b64 v[34:35], 5, v[34:35]
	v_lshl_add_u64 v[42:43], s[2:3], 0, v[34:35]
	global_load_dwordx4 v[34:37], v[42:43], off offset:16
	global_load_dwordx4 v[38:41], v[42:43], off
	global_load_dwordx4 v[68:71], v[58:59], off offset:112
	s_waitcnt vmcnt(8)
	v_xor_b32_e32 v42, 0x80000000, v13
	v_mov_b32_e32 v43, v12
	v_xor_b32_e32 v78, 0x80000000, v9
	v_mov_b32_e32 v79, v8
	s_waitcnt vmcnt(6)
	v_xor_b32_e32 v72, 0x80000000, v21
	v_mov_b32_e32 v73, v20
	v_xor_b32_e32 v80, 0x80000000, v17
	v_mov_b32_e32 v81, v16
	;; [unrolled: 5-line block ×3, first 2 shown]
	v_cmp_eq_u64_e32 vcc, 0, v[4:5]
	s_waitcnt vmcnt(3)
	v_xor_b32_e32 v76, 0x80000000, v33
	v_mov_b32_e32 v77, v32
	v_lshl_add_u64 v[58:59], v[58:59], 0, s[14:15]
	s_or_b64 s[10:11], vcc, s[10:11]
	s_waitcnt vmcnt(2)
	v_mov_b32_e32 v88, v37
	s_waitcnt vmcnt(1)
	v_pk_fma_f32 v[66:67], v[10:11], v[38:39], v[66:67] op_sel_hi:[1,0,1]
	v_pk_fma_f32 v[12:13], v[12:13], v[38:39], v[64:65] op_sel_hi:[1,0,1]
	;; [unrolled: 1-line block ×4, first 2 shown]
	v_pk_fma_f32 v[10:11], v[10:11], v[38:39], v[66:67] op_sel:[1,1,0] op_sel_hi:[0,1,1] neg_lo:[1,0,0]
	v_pk_fma_f32 v[12:13], v[42:43], v[38:39], v[12:13] op_sel:[0,1,0]
	v_pk_fma_f32 v[6:7], v[6:7], v[38:39], v[62:63] op_sel:[1,1,0] op_sel_hi:[0,1,1] neg_lo:[1,0,0]
	v_pk_fma_f32 v[8:9], v[78:79], v[38:39], v[8:9] op_sel:[0,1,0]
	v_mov_b32_e32 v86, v41
	v_pk_fma_f32 v[10:11], v[18:19], v[40:41], v[10:11] op_sel_hi:[1,0,1]
	v_pk_fma_f32 v[12:13], v[20:21], v[40:41], v[12:13] op_sel_hi:[1,0,1]
	;; [unrolled: 1-line block ×4, first 2 shown]
	v_pk_fma_f32 v[10:11], v[18:19], v[86:87], v[10:11] op_sel:[1,0,0] op_sel_hi:[0,0,1] neg_lo:[1,0,0]
	v_pk_fma_f32 v[12:13], v[72:73], v[86:87], v[12:13] op_sel_hi:[1,0,1]
	v_pk_fma_f32 v[6:7], v[14:15], v[86:87], v[6:7] op_sel:[1,0,0] op_sel_hi:[0,0,1] neg_lo:[1,0,0]
	v_pk_fma_f32 v[8:9], v[80:81], v[86:87], v[8:9] op_sel_hi:[1,0,1]
	v_pk_fma_f32 v[10:11], v[26:27], v[34:35], v[10:11] op_sel_hi:[1,0,1]
	;; [unrolled: 1-line block ×5, first 2 shown]
	v_pk_fma_f32 v[10:11], v[26:27], v[34:35], v[10:11] op_sel:[1,1,0] op_sel_hi:[0,1,1] neg_lo:[1,0,0]
	v_pk_fma_f32 v[12:13], v[74:75], v[34:35], v[12:13] op_sel:[0,1,0]
	v_pk_fma_f32 v[6:7], v[22:23], v[34:35], v[6:7] op_sel:[1,1,0] op_sel_hi:[0,1,1] neg_lo:[1,0,0]
	v_pk_fma_f32 v[8:9], v[82:83], v[34:35], v[8:9] op_sel:[0,1,0]
	s_waitcnt vmcnt(0)
	v_xor_b32_e32 v84, 0x80000000, v71
	v_mov_b32_e32 v85, v70
	v_pk_fma_f32 v[10:11], v[30:31], v[36:37], v[10:11] op_sel_hi:[1,0,1]
	v_pk_fma_f32 v[12:13], v[32:33], v[36:37], v[12:13] op_sel_hi:[1,0,1]
	;; [unrolled: 1-line block ×4, first 2 shown]
	v_pk_fma_f32 v[66:67], v[30:31], v[88:89], v[10:11] op_sel:[1,0,0] op_sel_hi:[0,0,1] neg_lo:[1,0,0]
	v_pk_fma_f32 v[64:65], v[76:77], v[88:89], v[12:13] op_sel_hi:[1,0,1]
	v_pk_fma_f32 v[62:63], v[68:69], v[88:89], v[6:7] op_sel:[1,0,0] op_sel_hi:[0,0,1] neg_lo:[1,0,0]
	v_pk_fma_f32 v[60:61], v[84:85], v[88:89], v[8:9] op_sel_hi:[1,0,1]
	s_andn2_b64 exec, exec, s[10:11]
	s_cbranch_execnz .LBB54_27
; %bb.28:
	s_or_b64 exec, exec, s[10:11]
.LBB54_29:
	s_or_b64 exec, exec, s[4:5]
	s_mov_b64 s[4:5], 0xbf
	v_cmp_lt_u64_e32 vcc, s[4:5], v[0:1]
	s_and_saveexec_b64 s[4:5], vcc
	s_cbranch_execz .LBB54_33
; %bb.30:
	v_lshl_add_u64 v[0:1], v[54:55], 3, s[12:13]
	s_mov_b64 s[10:11], 0x400
	v_lshl_add_u64 v[68:69], v[0:1], 0, s[10:11]
	s_mov_b64 s[10:11], 0
	s_mov_b64 s[12:13], 0x2000
	s_movk_i32 s24, 0x2000
	s_mov_b64 s[14:15], 0x4000
	s_movk_i32 s25, 0x4000
	;; [unrolled: 2-line block ×3, first 2 shown]
	s_mov_b64 s[18:19], 0x100
	s_mov_b64 s[20:21], 0x800
	;; [unrolled: 1-line block ×3, first 2 shown]
.LBB54_31:                              ; =>This Inner Loop Header: Depth=1
	global_load_dwordx4 v[28:31], v[58:59], off
	global_load_dwordx2 v[74:75], v[68:69], off offset:-1024
	global_load_dwordx4 v[24:27], v[58:59], off offset:16
	global_load_dwordx4 v[8:11], v[58:59], off offset:48
	global_load_dwordx4 v[12:15], v[58:59], off offset:32
	global_load_dwordx4 v[0:3], v[58:59], off offset:112
	global_load_dwordx4 v[4:7], v[58:59], off offset:96
	global_load_dwordx4 v[16:19], v[58:59], off offset:80
	global_load_dwordx4 v[20:23], v[58:59], off offset:64
	v_add_co_u32_e32 v90, vcc, s24, v58
	v_lshl_add_u64 v[78:79], v[58:59], 0, s[12:13]
	s_nop 0
	v_addc_co_u32_e32 v91, vcc, 0, v59, vcc
	v_add_co_u32_e32 v98, vcc, s25, v58
	global_load_dwordx2 v[80:81], v[68:69], off offset:-512
	global_load_dwordx2 v[70:71], v[68:69], off
	global_load_dwordx2 v[72:73], v[68:69], off offset:512
	v_addc_co_u32_e32 v99, vcc, 0, v59, vcc
	v_add_co_u32_e32 v84, vcc, s26, v58
	global_load_dwordx4 v[36:39], v[78:79], off offset:48
	global_load_dwordx4 v[40:43], v[78:79], off offset:32
	;; [unrolled: 1-line block ×3, first 2 shown]
	global_load_dwordx4 v[86:89], v[90:91], off
	v_addc_co_u32_e32 v85, vcc, 0, v59, vcc
	v_lshl_add_u64 v[76:77], v[58:59], 0, s[14:15]
	v_lshl_add_u64 v[82:83], v[58:59], 0, s[16:17]
	;; [unrolled: 1-line block ×5, first 2 shown]
	s_waitcnt vmcnt(15)
	v_xor_b32_e32 v100, 0x80000000, v31
	s_waitcnt vmcnt(14)
	v_sub_co_u32_e32 v74, vcc, v74, v52
	v_mov_b32_e32 v101, v30
	s_nop 0
	v_subb_co_u32_e32 v75, vcc, v75, v53, vcc
	v_lshlrev_b64 v[74:75], 5, v[74:75]
	v_lshl_add_u64 v[74:75], s[2:3], 0, v[74:75]
	global_load_dwordx4 v[90:93], v[74:75], off
	global_load_dwordx4 v[94:97], v[74:75], off offset:16
	s_waitcnt vmcnt(15)
	v_xor_b32_e32 v74, 0x80000000, v27
	v_mov_b32_e32 v75, v26
	s_waitcnt vmcnt(14)
	v_xor_b32_e32 v104, 0x80000000, v11
	v_mov_b32_e32 v105, v10
	s_waitcnt vmcnt(8)
	v_sub_co_u32_e32 v80, vcc, v80, v52
	s_nop 1
	v_subb_co_u32_e32 v81, vcc, v81, v53, vcc
	s_waitcnt vmcnt(7)
	v_sub_co_u32_e32 v70, vcc, v70, v52
	s_waitcnt vmcnt(1)
	v_pk_fma_f32 v[66:67], v[28:29], v[90:91], v[66:67] op_sel_hi:[1,0,1]
	v_pk_fma_f32 v[64:65], v[30:31], v[90:91], v[64:65] op_sel_hi:[1,0,1]
	v_pk_fma_f32 v[66:67], v[28:29], v[90:91], v[66:67] op_sel:[1,1,0] op_sel_hi:[0,1,1] neg_lo:[1,0,0]
	v_pk_fma_f32 v[28:29], v[24:25], v[90:91], v[62:63] op_sel_hi:[1,0,1]
	v_pk_fma_f32 v[26:27], v[26:27], v[90:91], v[60:61] op_sel_hi:[1,0,1]
	v_pk_fma_f32 v[24:25], v[24:25], v[90:91], v[28:29] op_sel:[1,1,0] op_sel_hi:[0,1,1] neg_lo:[1,0,0]
	v_pk_fma_f32 v[64:65], v[100:101], v[90:91], v[64:65] op_sel:[0,1,0]
	v_pk_fma_f32 v[26:27], v[74:75], v[90:91], v[26:27] op_sel:[0,1,0]
	v_pk_fma_f32 v[66:67], v[12:13], v[92:93], v[66:67] op_sel_hi:[1,0,1]
	v_mov_b32_e32 v102, v93
	v_xor_b32_e32 v74, 0x80000000, v15
	v_mov_b32_e32 v75, v14
	v_pk_fma_f32 v[14:15], v[14:15], v[92:93], v[64:65] op_sel_hi:[1,0,1]
	v_pk_fma_f32 v[24:25], v[8:9], v[92:93], v[24:25] op_sel_hi:[1,0,1]
	;; [unrolled: 1-line block ×3, first 2 shown]
	v_pk_fma_f32 v[12:13], v[12:13], v[102:103], v[66:67] op_sel:[1,0,0] op_sel_hi:[0,0,1] neg_lo:[1,0,0]
	v_pk_fma_f32 v[8:9], v[8:9], v[102:103], v[24:25] op_sel:[1,0,0] op_sel_hi:[0,0,1] neg_lo:[1,0,0]
	v_pk_fma_f32 v[10:11], v[74:75], v[102:103], v[14:15] op_sel_hi:[1,0,1]
	v_pk_fma_f32 v[14:15], v[104:105], v[102:103], v[100:101] op_sel_hi:[1,0,1]
	s_waitcnt vmcnt(0)
	v_pk_fma_f32 v[12:13], v[20:21], v[94:95], v[12:13] op_sel_hi:[1,0,1]
	global_load_dwordx4 v[28:31], v[78:79], off offset:16
	global_load_dwordx4 v[90:93], v[78:79], off offset:64
	;; [unrolled: 1-line block ×4, first 2 shown]
	v_xor_b32_e32 v74, 0x80000000, v23
	v_mov_b32_e32 v75, v22
	v_pk_fma_f32 v[78:79], v[22:23], v[94:95], v[10:11] op_sel_hi:[1,0,1]
	v_pk_fma_f32 v[100:101], v[20:21], v[94:95], v[12:13] op_sel:[1,1,0] op_sel_hi:[0,1,1] neg_lo:[1,0,0]
	v_xor_b32_e32 v12, 0x80000000, v19
	v_mov_b32_e32 v13, v18
	v_pk_fma_f32 v[8:9], v[16:17], v[94:95], v[8:9] op_sel_hi:[1,0,1]
	v_pk_fma_f32 v[14:15], v[18:19], v[94:95], v[14:15] op_sel_hi:[1,0,1]
	v_pk_fma_f32 v[16:17], v[16:17], v[94:95], v[8:9] op_sel:[1,1,0] op_sel_hi:[0,1,1] neg_lo:[1,0,0]
	v_pk_fma_f32 v[18:19], v[74:75], v[94:95], v[78:79] op_sel:[0,1,0]
	v_pk_fma_f32 v[74:75], v[12:13], v[94:95], v[14:15] op_sel:[0,1,0]
	v_pk_fma_f32 v[78:79], v[4:5], v[96:97], v[100:101] op_sel_hi:[1,0,1]
	v_mov_b32_e32 v94, v97
	v_pk_fma_f32 v[18:19], v[6:7], v[96:97], v[18:19] op_sel_hi:[1,0,1]
	v_pk_fma_f32 v[16:17], v[0:1], v[96:97], v[16:17] op_sel_hi:[1,0,1]
	;; [unrolled: 1-line block ×3, first 2 shown]
	v_xor_b32_e32 v96, 0x80000000, v7
	v_mov_b32_e32 v97, v6
	v_pk_fma_f32 v[78:79], v[4:5], v[94:95], v[78:79] op_sel:[1,0,0] op_sel_hi:[0,0,1] neg_lo:[1,0,0]
	global_load_dwordx4 v[4:7], v[98:99], off
	v_xor_b32_e32 v98, 0x80000000, v3
	v_mov_b32_e32 v99, v2
	v_lshlrev_b64 v[2:3], 5, v[80:81]
	v_pk_fma_f32 v[100:101], v[0:1], v[94:95], v[16:17] op_sel:[1,0,0] op_sel_hi:[0,0,1] neg_lo:[1,0,0]
	v_lshl_add_u64 v[16:17], s[2:3], 0, v[2:3]
	global_load_dwordx4 v[0:3], v[16:17], off
	v_pk_fma_f32 v[80:81], v[96:97], v[94:95], v[18:19] op_sel_hi:[1,0,1]
	global_load_dwordx4 v[16:19], v[16:17], off offset:16
	v_pk_fma_f32 v[74:75], v[98:99], v[94:95], v[74:75] op_sel_hi:[1,0,1]
	v_xor_b32_e32 v102, 0x80000000, v89
	v_mov_b32_e32 v103, v88
	v_subb_co_u32_e32 v71, vcc, v71, v53, vcc
	v_lshlrev_b64 v[70:71], 5, v[70:71]
	global_load_dwordx4 v[24:27], v[76:77], off offset:32
	global_load_dwordx4 v[20:23], v[76:77], off offset:16
	v_lshl_add_u64 v[70:71], s[2:3], 0, v[70:71]
	global_load_dwordx4 v[8:11], v[76:77], off offset:112
	global_load_dwordx4 v[12:15], v[76:77], off offset:96
	v_cmp_ge_i64_e32 vcc, v[54:55], v[56:57]
	s_or_b64 s[10:11], vcc, s[10:11]
	v_sub_co_u32_e32 v72, vcc, v72, v52
	s_waitcnt vmcnt(10)
	v_xor_b32_e32 v94, 0x80000000, v31
	v_mov_b32_e32 v95, v30
	v_subb_co_u32_e32 v73, vcc, v73, v53, vcc
	s_waitcnt vmcnt(5)
	v_pk_fma_f32 v[78:79], v[86:87], v[0:1], v[78:79] op_sel_hi:[1,0,1]
	v_pk_fma_f32 v[88:89], v[88:89], v[0:1], v[80:81] op_sel_hi:[1,0,1]
	v_pk_fma_f32 v[86:87], v[86:87], v[0:1], v[78:79] op_sel:[1,1,0] op_sel_hi:[0,1,1] neg_lo:[1,0,0]
	v_pk_fma_f32 v[96:97], v[28:29], v[0:1], v[100:101] op_sel_hi:[1,0,1]
	v_pk_fma_f32 v[98:99], v[30:31], v[0:1], v[74:75] op_sel_hi:[1,0,1]
	v_pk_fma_f32 v[96:97], v[28:29], v[0:1], v[96:97] op_sel:[1,1,0] op_sel_hi:[0,1,1] neg_lo:[1,0,0]
	v_pk_fma_f32 v[88:89], v[102:103], v[0:1], v[88:89] op_sel:[0,1,0]
	v_pk_fma_f32 v[0:1], v[94:95], v[0:1], v[98:99] op_sel:[0,1,0]
	v_pk_fma_f32 v[86:87], v[40:41], v[2:3], v[86:87] op_sel_hi:[1,0,1]
	v_mov_b32_e32 v98, v3
	v_xor_b32_e32 v94, 0x80000000, v43
	v_mov_b32_e32 v95, v42
	v_pk_fma_f32 v[42:43], v[42:43], v[2:3], v[88:89] op_sel_hi:[1,0,1]
	v_pk_fma_f32 v[88:89], v[36:37], v[2:3], v[96:97] op_sel_hi:[1,0,1]
	;; [unrolled: 1-line block ×3, first 2 shown]
	v_pk_fma_f32 v[86:87], v[40:41], v[98:99], v[86:87] op_sel:[1,0,0] op_sel_hi:[0,0,1] neg_lo:[1,0,0]
	v_xor_b32_e32 v40, 0x80000000, v39
	v_mov_b32_e32 v41, v38
	v_pk_fma_f32 v[88:89], v[36:37], v[98:99], v[88:89] op_sel:[1,0,0] op_sel_hi:[0,0,1] neg_lo:[1,0,0]
	v_pk_fma_f32 v[94:95], v[94:95], v[98:99], v[42:43] op_sel_hi:[1,0,1]
	v_pk_fma_f32 v[96:97], v[40:41], v[98:99], v[96:97] op_sel_hi:[1,0,1]
	s_waitcnt vmcnt(4)
	v_pk_fma_f32 v[86:87], v[90:91], v[16:17], v[86:87] op_sel_hi:[1,0,1]
	v_xor_b32_e32 v98, 0x80000000, v93
	v_mov_b32_e32 v99, v92
	v_pk_fma_f32 v[92:93], v[92:93], v[16:17], v[94:95] op_sel_hi:[1,0,1]
	v_pk_fma_f32 v[90:91], v[90:91], v[16:17], v[86:87] op_sel:[1,1,0] op_sel_hi:[0,1,1] neg_lo:[1,0,0]
	v_xor_b32_e32 v94, 0x80000000, v67
	v_mov_b32_e32 v95, v66
	v_pk_fma_f32 v[86:87], v[64:65], v[16:17], v[88:89] op_sel_hi:[1,0,1]
	v_pk_fma_f32 v[96:97], v[66:67], v[16:17], v[96:97] op_sel_hi:[1,0,1]
	v_pk_fma_f32 v[100:101], v[64:65], v[16:17], v[86:87] op_sel:[1,1,0] op_sel_hi:[0,1,1] neg_lo:[1,0,0]
	v_pk_fma_f32 v[92:93], v[98:99], v[16:17], v[92:93] op_sel:[0,1,0]
	v_pk_fma_f32 v[16:17], v[94:95], v[16:17], v[96:97] op_sel:[0,1,0]
	v_pk_fma_f32 v[90:91], v[60:61], v[18:19], v[90:91] op_sel_hi:[1,0,1]
	v_mov_b32_e32 v98, v19
	v_xor_b32_e32 v94, 0x80000000, v63
	v_mov_b32_e32 v95, v62
	v_pk_fma_f32 v[62:63], v[62:63], v[18:19], v[92:93] op_sel_hi:[1,0,1]
	v_pk_fma_f32 v[92:93], v[32:33], v[18:19], v[100:101] op_sel_hi:[1,0,1]
	;; [unrolled: 1-line block ×3, first 2 shown]
	v_pk_fma_f32 v[100:101], v[60:61], v[98:99], v[90:91] op_sel:[1,0,0] op_sel_hi:[0,0,1] neg_lo:[1,0,0]
	v_xor_b32_e32 v60, 0x80000000, v35
	v_mov_b32_e32 v61, v34
	global_load_dwordx4 v[78:81], v[76:77], off offset:80
	global_load_dwordx4 v[28:31], v[76:77], off offset:48
	;; [unrolled: 1-line block ×8, first 2 shown]
	v_pk_fma_f32 v[102:103], v[32:33], v[98:99], v[92:93] op_sel:[1,0,0] op_sel_hi:[0,0,1] neg_lo:[1,0,0]
	global_load_dwordx4 v[74:77], v[76:77], off offset:64
	v_pk_fma_f32 v[94:95], v[94:95], v[98:99], v[62:63] op_sel_hi:[1,0,1]
	global_load_dwordx4 v[32:35], v[82:83], off offset:64
	v_pk_fma_f32 v[96:97], v[60:61], v[98:99], v[96:97] op_sel_hi:[1,0,1]
	global_load_dwordx4 v[60:63], v[70:71], off
	global_load_dwordx4 v[90:93], v[70:71], off offset:16
	v_xor_b32_e32 v82, 0x80000000, v7
	v_mov_b32_e32 v83, v6
	s_waitcnt vmcnt(1)
	v_pk_fma_f32 v[70:71], v[4:5], v[60:61], v[100:101] op_sel_hi:[1,0,1]
	v_pk_fma_f32 v[98:99], v[20:21], v[60:61], v[102:103] op_sel_hi:[1,0,1]
	;; [unrolled: 1-line block ×3, first 2 shown]
	v_pk_fma_f32 v[70:71], v[4:5], v[60:61], v[70:71] op_sel:[1,1,0] op_sel_hi:[0,1,1] neg_lo:[1,0,0]
	global_load_dwordx4 v[4:7], v[84:85], off
	v_xor_b32_e32 v84, 0x80000000, v23
	v_mov_b32_e32 v85, v22
	v_pk_fma_f32 v[22:23], v[22:23], v[60:61], v[96:97] op_sel_hi:[1,0,1]
	v_pk_fma_f32 v[96:97], v[20:21], v[60:61], v[98:99] op_sel:[1,1,0] op_sel_hi:[0,1,1] neg_lo:[1,0,0]
	v_lshlrev_b64 v[20:21], 5, v[72:73]
	v_lshl_add_u64 v[72:73], s[2:3], 0, v[20:21]
	v_pk_fma_f32 v[82:83], v[82:83], v[60:61], v[94:95] op_sel:[0,1,0]
	v_pk_fma_f32 v[60:61], v[84:85], v[60:61], v[22:23] op_sel:[0,1,0]
	global_load_dwordx4 v[20:23], v[72:73], off
	v_xor_b32_e32 v98, 0x80000000, v27
	v_mov_b32_e32 v99, v26
	v_xor_b32_e32 v100, 0x80000000, v31
	v_mov_b32_e32 v101, v30
	v_pk_fma_f32 v[70:71], v[24:25], v[62:63], v[70:71] op_sel_hi:[1,0,1]
	v_pk_fma_f32 v[26:27], v[26:27], v[62:63], v[82:83] op_sel_hi:[1,0,1]
	;; [unrolled: 1-line block ×4, first 2 shown]
	v_mov_b32_e32 v84, v63
	global_load_dwordx4 v[60:63], v[72:73], off offset:16
	v_pk_fma_f32 v[24:25], v[24:25], v[84:85], v[70:71] op_sel:[1,0,0] op_sel_hi:[0,0,1] neg_lo:[1,0,0]
	v_pk_fma_f32 v[28:29], v[28:29], v[84:85], v[82:83] op_sel:[1,0,0] op_sel_hi:[0,0,1] neg_lo:[1,0,0]
	v_pk_fma_f32 v[26:27], v[98:99], v[84:85], v[26:27] op_sel_hi:[1,0,1]
	v_pk_fma_f32 v[30:31], v[100:101], v[84:85], v[30:31] op_sel_hi:[1,0,1]
	v_xor_b32_e32 v70, 0x80000000, v75
	v_xor_b32_e32 v72, 0x80000000, v77
	v_xor_b32_e32 v82, 0x80000000, v79
	v_mov_b32_e32 v71, v74
	v_mov_b32_e32 v73, v76
	v_xor_b32_e32 v94, 0x80000000, v81
	v_mov_b32_e32 v83, v78
	v_mov_b32_e32 v95, v80
	s_waitcnt vmcnt(3)
	v_pk_fma_f32 v[24:25], v[74:75], v[90:91], v[24:25] op_sel_hi:[1,0,1]
	v_pk_fma_f32 v[26:27], v[76:77], v[90:91], v[26:27] op_sel_hi:[1,0,1]
	;; [unrolled: 1-line block ×4, first 2 shown]
	v_pk_fma_f32 v[24:25], v[70:71], v[90:91], v[24:25] op_sel:[0,1,0]
	v_pk_fma_f32 v[26:27], v[72:73], v[90:91], v[26:27] op_sel:[0,1,0]
	v_pk_fma_f32 v[28:29], v[82:83], v[90:91], v[28:29] op_sel:[0,1,0]
	v_pk_fma_f32 v[30:31], v[94:95], v[90:91], v[30:31] op_sel:[0,1,0]
	v_xor_b32_e32 v96, 0x80000000, v15
	v_mov_b32_e32 v97, v14
	v_xor_b32_e32 v76, 0x80000000, v11
	v_mov_b32_e32 v77, v10
	v_mov_b32_e32 v90, v93
	v_pk_fma_f32 v[24:25], v[12:13], v[92:93], v[24:25] op_sel_hi:[1,0,1]
	v_pk_fma_f32 v[14:15], v[14:15], v[92:93], v[26:27] op_sel_hi:[1,0,1]
	;; [unrolled: 1-line block ×4, first 2 shown]
	v_pk_fma_f32 v[12:13], v[12:13], v[90:91], v[24:25] op_sel:[1,0,0] op_sel_hi:[0,0,1] neg_lo:[1,0,0]
	v_pk_fma_f32 v[8:9], v[8:9], v[90:91], v[26:27] op_sel:[1,0,0] op_sel_hi:[0,0,1] neg_lo:[1,0,0]
	v_pk_fma_f32 v[14:15], v[96:97], v[90:91], v[14:15] op_sel_hi:[1,0,1]
	v_pk_fma_f32 v[10:11], v[76:77], v[90:91], v[10:11] op_sel_hi:[1,0,1]
	v_xor_b32_e32 v78, 0x80000000, v43
	v_mov_b32_e32 v79, v42
	v_xor_b32_e32 v84, 0x80000000, v39
	v_mov_b32_e32 v85, v38
	;; [unrolled: 2-line block ×7, first 2 shown]
	s_waitcnt vmcnt(2)
	v_xor_b32_e32 v82, 0x80000000, v7
	v_mov_b32_e32 v83, v6
	s_waitcnt vmcnt(1)
	v_pk_fma_f32 v[12:13], v[4:5], v[20:21], v[12:13] op_sel_hi:[1,0,1]
	v_pk_fma_f32 v[6:7], v[6:7], v[20:21], v[14:15] op_sel_hi:[1,0,1]
	;; [unrolled: 1-line block ×4, first 2 shown]
	v_pk_fma_f32 v[4:5], v[4:5], v[20:21], v[12:13] op_sel:[1,1,0] op_sel_hi:[0,1,1] neg_lo:[1,0,0]
	v_pk_fma_f32 v[6:7], v[82:83], v[20:21], v[6:7] op_sel:[0,1,0]
	v_pk_fma_f32 v[8:9], v[40:41], v[20:21], v[8:9] op_sel:[1,1,0] op_sel_hi:[0,1,1] neg_lo:[1,0,0]
	v_pk_fma_f32 v[10:11], v[78:79], v[20:21], v[10:11] op_sel:[0,1,0]
	v_mov_b32_e32 v28, v23
	v_pk_fma_f32 v[4:5], v[36:37], v[22:23], v[4:5] op_sel_hi:[1,0,1]
	v_pk_fma_f32 v[6:7], v[38:39], v[22:23], v[6:7] op_sel_hi:[1,0,1]
	;; [unrolled: 1-line block ×4, first 2 shown]
	v_pk_fma_f32 v[4:5], v[36:37], v[28:29], v[4:5] op_sel:[1,0,0] op_sel_hi:[0,0,1] neg_lo:[1,0,0]
	v_pk_fma_f32 v[6:7], v[84:85], v[28:29], v[6:7] op_sel_hi:[1,0,1]
	v_pk_fma_f32 v[0:1], v[0:1], v[28:29], v[8:9] op_sel:[1,0,0] op_sel_hi:[0,0,1] neg_lo:[1,0,0]
	v_pk_fma_f32 v[2:3], v[80:81], v[28:29], v[2:3] op_sel_hi:[1,0,1]
	s_waitcnt vmcnt(0)
	v_pk_fma_f32 v[4:5], v[32:33], v[60:61], v[4:5] op_sel_hi:[1,0,1]
	v_pk_fma_f32 v[6:7], v[34:35], v[60:61], v[6:7] op_sel_hi:[1,0,1]
	;; [unrolled: 1-line block ×4, first 2 shown]
	v_pk_fma_f32 v[4:5], v[32:33], v[60:61], v[4:5] op_sel:[1,1,0] op_sel_hi:[0,1,1] neg_lo:[1,0,0]
	v_pk_fma_f32 v[6:7], v[98:99], v[60:61], v[6:7] op_sel:[0,1,0]
	v_pk_fma_f32 v[0:1], v[16:17], v[60:61], v[0:1] op_sel:[1,1,0] op_sel_hi:[0,1,1] neg_lo:[1,0,0]
	v_pk_fma_f32 v[2:3], v[70:71], v[60:61], v[2:3] op_sel:[0,1,0]
	v_mov_b32_e32 v30, v63
	v_pk_fma_f32 v[4:5], v[64:65], v[62:63], v[4:5] op_sel_hi:[1,0,1]
	v_pk_fma_f32 v[6:7], v[66:67], v[62:63], v[6:7] op_sel_hi:[1,0,1]
	;; [unrolled: 1-line block ×4, first 2 shown]
	v_pk_fma_f32 v[66:67], v[64:65], v[30:31], v[4:5] op_sel:[1,0,0] op_sel_hi:[0,0,1] neg_lo:[1,0,0]
	v_pk_fma_f32 v[64:65], v[74:75], v[30:31], v[6:7] op_sel_hi:[1,0,1]
	v_pk_fma_f32 v[62:63], v[86:87], v[30:31], v[0:1] op_sel:[1,0,0] op_sel_hi:[0,0,1] neg_lo:[1,0,0]
	v_pk_fma_f32 v[60:61], v[72:73], v[30:31], v[2:3] op_sel_hi:[1,0,1]
	s_andn2_b64 exec, exec, s[10:11]
	s_cbranch_execnz .LBB54_31
; %bb.32:
	s_or_b64 exec, exec, s[10:11]
.LBB54_33:
	s_or_b64 exec, exec, s[4:5]
	v_mov_b32_e32 v51, v67
.LBB54_34:
	s_or_b64 exec, exec, s[8:9]
.LBB54_35:
	v_mov_b32_dpp v6, v65 row_shr:1 row_mask:0xf bank_mask:0xf
	v_add_f32_e32 v6, v65, v6
	v_mov_b32_dpp v0, v66 row_shr:1 row_mask:0xf bank_mask:0xf
	v_mov_b32_dpp v2, v51 row_shr:1 row_mask:0xf bank_mask:0xf
	;; [unrolled: 1-line block ×3, first 2 shown]
	v_add_f32_e32 v6, v6, v7
	v_mov_b32_dpp v4, v64 row_shr:1 row_mask:0xf bank_mask:0xf
	v_add_f32_e32 v0, v66, v0
	v_mov_b32_dpp v7, v6 row_shr:4 row_mask:0xf bank_mask:0xe
	v_add_f32_e32 v6, v6, v7
	v_add_f32_e32 v2, v51, v2
	;; [unrolled: 1-line block ×3, first 2 shown]
	v_mov_b32_dpp v7, v6 row_shr:8 row_mask:0xf bank_mask:0xc
	v_add_f32_e32 v6, v6, v7
	v_mov_b32_dpp v1, v0 row_shr:2 row_mask:0xf bank_mask:0xf
	v_mov_b32_dpp v3, v2 row_shr:2 row_mask:0xf bank_mask:0xf
	v_mov_b32_dpp v7, v6 row_bcast:15 row_mask:0xa bank_mask:0xf
	v_add_f32_e32 v7, v6, v7
	v_mov_b32_dpp v6, v62 row_shr:1 row_mask:0xf bank_mask:0xf
	v_add_f32_e32 v6, v62, v6
	v_mov_b32_dpp v5, v4 row_shr:2 row_mask:0xf bank_mask:0xf
	;; [unrolled: 2-line block ×3, first 2 shown]
	v_add_f32_e32 v6, v6, v9
	v_add_f32_e32 v2, v2, v3
	v_add_f32_e32 v4, v4, v5
	v_mov_b32_dpp v9, v6 row_shr:4 row_mask:0xf bank_mask:0xe
	v_add_f32_e32 v6, v6, v9
	v_mov_b32_dpp v1, v0 row_shr:4 row_mask:0xf bank_mask:0xe
	v_mov_b32_dpp v3, v2 row_shr:4 row_mask:0xf bank_mask:0xe
	v_mov_b32_dpp v9, v6 row_shr:8 row_mask:0xf bank_mask:0xc
	v_add_f32_e32 v6, v6, v9
	v_mov_b32_dpp v5, v4 row_shr:4 row_mask:0xf bank_mask:0xe
	v_add_f32_e32 v0, v0, v1
	v_mov_b32_dpp v9, v6 row_bcast:15 row_mask:0xa bank_mask:0xf
	v_add_f32_e32 v9, v6, v9
	v_mov_b32_dpp v6, v63 row_shr:1 row_mask:0xf bank_mask:0xf
	v_add_f32_e32 v6, v63, v6
	v_add_f32_e32 v2, v2, v3
	v_add_f32_e32 v4, v4, v5
	v_mov_b32_dpp v11, v6 row_shr:2 row_mask:0xf bank_mask:0xf
	v_add_f32_e32 v6, v6, v11
	v_mov_b32_dpp v1, v0 row_shr:8 row_mask:0xf bank_mask:0xc
	v_mov_b32_dpp v3, v2 row_shr:8 row_mask:0xf bank_mask:0xc
	;; [unrolled: 1-line block ×3, first 2 shown]
	v_add_f32_e32 v6, v6, v11
	v_mov_b32_dpp v5, v4 row_shr:8 row_mask:0xf bank_mask:0xc
	v_add_f32_e32 v0, v0, v1
	v_mov_b32_dpp v11, v6 row_shr:8 row_mask:0xf bank_mask:0xc
	v_add_f32_e32 v6, v6, v11
	v_add_f32_e32 v2, v2, v3
	;; [unrolled: 1-line block ×3, first 2 shown]
	v_mov_b32_dpp v11, v6 row_bcast:15 row_mask:0xa bank_mask:0xf
	v_add_f32_e32 v11, v6, v11
	v_mov_b32_dpp v6, v60 row_shr:1 row_mask:0xf bank_mask:0xf
	v_add_f32_e32 v6, v60, v6
	v_mov_b32_dpp v1, v0 row_bcast:15 row_mask:0xa bank_mask:0xf
	v_mov_b32_dpp v3, v2 row_bcast:15 row_mask:0xa bank_mask:0xf
	v_mov_b32_dpp v12, v6 row_shr:2 row_mask:0xf bank_mask:0xf
	v_add_f32_e32 v6, v6, v12
	v_mov_b32_dpp v5, v4 row_bcast:15 row_mask:0xa bank_mask:0xf
	v_add_f32_e32 v0, v0, v1
	v_mov_b32_dpp v12, v6 row_shr:4 row_mask:0xf bank_mask:0xe
	v_add_f32_e32 v6, v6, v12
	v_add_f32_e32 v2, v2, v3
	;; [unrolled: 1-line block ×3, first 2 shown]
	v_mov_b32_dpp v12, v6 row_shr:8 row_mask:0xf bank_mask:0xc
	v_add_f32_e32 v6, v6, v12
	v_mov_b32_dpp v1, v0 row_bcast:31 row_mask:0xc bank_mask:0xf
	v_mov_b32_dpp v3, v2 row_bcast:31 row_mask:0xc bank_mask:0xf
	;; [unrolled: 1-line block ×3, first 2 shown]
	v_add_f32_e32 v15, v6, v12
	v_mov_b32_dpp v6, v61 row_shr:1 row_mask:0xf bank_mask:0xf
	v_add_f32_e32 v6, v61, v6
	v_mov_b32_dpp v5, v4 row_bcast:31 row_mask:0xc bank_mask:0xf
	v_mov_b32_dpp v8, v7 row_bcast:31 row_mask:0xc bank_mask:0xf
	v_mov_b32_dpp v12, v6 row_shr:2 row_mask:0xf bank_mask:0xf
	v_add_f32_e32 v6, v6, v12
	v_mov_b32_dpp v10, v9 row_bcast:31 row_mask:0xc bank_mask:0xf
	v_mov_b32_dpp v13, v11 row_bcast:31 row_mask:0xc bank_mask:0xf
	v_mov_b32_dpp v12, v6 row_shr:4 row_mask:0xf bank_mask:0xe
	v_add_f32_e32 v6, v6, v12
	v_mov_b32_dpp v16, v15 row_bcast:31 row_mask:0xc bank_mask:0xf
	v_cmp_eq_u32_e32 vcc, 63, v50
	v_mov_b32_dpp v12, v6 row_shr:8 row_mask:0xf bank_mask:0xc
	v_add_f32_e32 v6, v6, v12
	s_nop 1
	v_mov_b32_dpp v12, v6 row_bcast:15 row_mask:0xa bank_mask:0xf
	v_add_f32_e32 v17, v6, v12
	s_nop 1
	v_mov_b32_dpp v18, v17 row_bcast:31 row_mask:0xc bank_mask:0xf
	s_and_b64 exec, exec, vcc
	s_cbranch_execz .LBB54_6
; %bb.36:
	s_load_dwordx2 s[0:1], s[0:1], 0x58
	v_cmp_eq_f32_e32 vcc, 0, v46
	s_xor_b64 s[2:3], s[6:7], -1
	v_add_f32_e32 v6, v0, v1
	v_add_f32_e32 v14, v2, v3
	;; [unrolled: 1-line block ×8, first 2 shown]
	s_and_b64 s[2:3], vcc, s[2:3]
	v_lshlrev_b64 v[16:17], 5, v[48:49]
	s_and_saveexec_b64 s[4:5], s[2:3]
	s_xor_b64 s[2:3], exec, s[4:5]
	s_cbranch_execz .LBB54_38
; %bb.37:
	v_xor_b32_e32 v18, 0x80000000, v45
	v_mov_b32_e32 v19, v44
	v_pk_mul_f32 v[14:15], v[14:15], v[18:19] op_sel_hi:[0,1]
	v_pk_fma_f32 v[14:15], v[44:45], v[6:7], v[14:15] op_sel_hi:[1,0,1]
	v_pk_mul_f32 v[6:7], v[12:13], v[18:19] op_sel_hi:[0,1]
	s_waitcnt lgkmcnt(0)
	v_lshl_add_u64 v[20:21], s[0:1], 0, v[16:17]
	v_pk_fma_f32 v[16:17], v[44:45], v[4:5], v[6:7] op_sel_hi:[1,0,1]
	v_pk_mul_f32 v[4:5], v[10:11], v[18:19] op_sel_hi:[0,1]
	v_pk_fma_f32 v[2:3], v[44:45], v[2:3], v[4:5] op_sel_hi:[1,0,1]
	v_pk_mul_f32 v[4:5], v[8:9], v[18:19] op_sel_hi:[0,1]
	v_pk_fma_f32 v[4:5], v[44:45], v[0:1], v[4:5] op_sel_hi:[1,0,1]
	global_store_dwordx4 v[20:21], v[14:17], off
	global_store_dwordx4 v[20:21], v[2:5], off offset:16
                                        ; implicit-def: $vgpr6
                                        ; implicit-def: $vgpr14
                                        ; implicit-def: $vgpr4
                                        ; implicit-def: $vgpr12
                                        ; implicit-def: $vgpr2
                                        ; implicit-def: $vgpr10
                                        ; implicit-def: $vgpr0
                                        ; implicit-def: $vgpr8
                                        ; implicit-def: $vgpr44_vgpr45
                                        ; implicit-def: $vgpr46_vgpr47
                                        ; implicit-def: $vgpr16_vgpr17
.LBB54_38:
	s_andn2_saveexec_b64 s[2:3], s[2:3]
	s_cbranch_execz .LBB54_6
; %bb.39:
	s_waitcnt lgkmcnt(0)
	v_lshl_add_u64 v[24:25], s[0:1], 0, v[16:17]
	global_load_dwordx4 v[16:19], v[24:25], off
	global_load_dwordx4 v[20:23], v[24:25], off offset:16
	v_xor_b32_e32 v26, 0x80000000, v45
	v_mov_b32_e32 v27, v44
	v_pk_mul_f32 v[14:15], v[14:15], v[26:27] op_sel_hi:[0,1]
	v_pk_mul_f32 v[12:13], v[12:13], v[26:27] op_sel_hi:[0,1]
	;; [unrolled: 1-line block ×4, first 2 shown]
	v_pk_fma_f32 v[6:7], v[44:45], v[6:7], v[14:15] op_sel_hi:[1,0,1]
	v_pk_fma_f32 v[4:5], v[44:45], v[4:5], v[12:13] op_sel_hi:[1,0,1]
	v_xor_b32_e32 v28, 0x80000000, v47
	v_mov_b32_e32 v29, v46
	v_pk_fma_f32 v[2:3], v[44:45], v[2:3], v[10:11] op_sel_hi:[1,0,1]
	v_pk_fma_f32 v[0:1], v[44:45], v[0:1], v[8:9] op_sel_hi:[1,0,1]
	s_waitcnt vmcnt(1)
	v_pk_fma_f32 v[6:7], v[46:47], v[16:17], v[6:7] op_sel_hi:[1,0,1]
	v_pk_fma_f32 v[4:5], v[46:47], v[18:19], v[4:5] op_sel_hi:[1,0,1]
	v_mov_b32_e32 v8, v19
	s_waitcnt vmcnt(0)
	v_pk_fma_f32 v[10:11], v[46:47], v[20:21], v[2:3] op_sel_hi:[1,0,1]
	v_pk_fma_f32 v[12:13], v[46:47], v[22:23], v[0:1] op_sel_hi:[1,0,1]
	v_mov_b32_e32 v14, v23
	v_pk_fma_f32 v[0:1], v[28:29], v[16:17], v[6:7] op_sel:[0,1,0]
	v_pk_fma_f32 v[2:3], v[28:29], v[8:9], v[4:5] op_sel_hi:[1,0,1]
	v_pk_fma_f32 v[4:5], v[28:29], v[20:21], v[10:11] op_sel:[0,1,0]
	v_pk_fma_f32 v[6:7], v[28:29], v[14:15], v[12:13] op_sel_hi:[1,0,1]
	global_store_dwordx4 v[24:25], v[0:3], off
	global_store_dwordx4 v[24:25], v[4:7], off offset:16
	s_endpgm
	.section	.rodata,"a",@progbits
	.p2align	6, 0x0
	.amdhsa_kernel _ZN9rocsparseL18bsrxmvn_4x4_kernelILj128ELj64E21rocsparse_complex_numIfEllS2_S2_S2_EEvT3_20rocsparse_direction_NS_24const_host_device_scalarIT1_EES3_PKS3_PKT2_SC_S9_PKT4_PKT5_S7_PT6_21rocsparse_index_base_b
		.amdhsa_group_segment_fixed_size 0
		.amdhsa_private_segment_fixed_size 0
		.amdhsa_kernarg_size 104
		.amdhsa_user_sgpr_count 2
		.amdhsa_user_sgpr_dispatch_ptr 0
		.amdhsa_user_sgpr_queue_ptr 0
		.amdhsa_user_sgpr_kernarg_segment_ptr 1
		.amdhsa_user_sgpr_dispatch_id 0
		.amdhsa_user_sgpr_kernarg_preload_length 0
		.amdhsa_user_sgpr_kernarg_preload_offset 0
		.amdhsa_user_sgpr_private_segment_size 0
		.amdhsa_uses_dynamic_stack 0
		.amdhsa_enable_private_segment 0
		.amdhsa_system_sgpr_workgroup_id_x 1
		.amdhsa_system_sgpr_workgroup_id_y 0
		.amdhsa_system_sgpr_workgroup_id_z 0
		.amdhsa_system_sgpr_workgroup_info 0
		.amdhsa_system_vgpr_workitem_id 0
		.amdhsa_next_free_vgpr 106
		.amdhsa_next_free_sgpr 31
		.amdhsa_accum_offset 108
		.amdhsa_reserve_vcc 1
		.amdhsa_float_round_mode_32 0
		.amdhsa_float_round_mode_16_64 0
		.amdhsa_float_denorm_mode_32 3
		.amdhsa_float_denorm_mode_16_64 3
		.amdhsa_dx10_clamp 1
		.amdhsa_ieee_mode 1
		.amdhsa_fp16_overflow 0
		.amdhsa_tg_split 0
		.amdhsa_exception_fp_ieee_invalid_op 0
		.amdhsa_exception_fp_denorm_src 0
		.amdhsa_exception_fp_ieee_div_zero 0
		.amdhsa_exception_fp_ieee_overflow 0
		.amdhsa_exception_fp_ieee_underflow 0
		.amdhsa_exception_fp_ieee_inexact 0
		.amdhsa_exception_int_div_zero 0
	.end_amdhsa_kernel
	.section	.text._ZN9rocsparseL18bsrxmvn_4x4_kernelILj128ELj64E21rocsparse_complex_numIfEllS2_S2_S2_EEvT3_20rocsparse_direction_NS_24const_host_device_scalarIT1_EES3_PKS3_PKT2_SC_S9_PKT4_PKT5_S7_PT6_21rocsparse_index_base_b,"axG",@progbits,_ZN9rocsparseL18bsrxmvn_4x4_kernelILj128ELj64E21rocsparse_complex_numIfEllS2_S2_S2_EEvT3_20rocsparse_direction_NS_24const_host_device_scalarIT1_EES3_PKS3_PKT2_SC_S9_PKT4_PKT5_S7_PT6_21rocsparse_index_base_b,comdat
.Lfunc_end54:
	.size	_ZN9rocsparseL18bsrxmvn_4x4_kernelILj128ELj64E21rocsparse_complex_numIfEllS2_S2_S2_EEvT3_20rocsparse_direction_NS_24const_host_device_scalarIT1_EES3_PKS3_PKT2_SC_S9_PKT4_PKT5_S7_PT6_21rocsparse_index_base_b, .Lfunc_end54-_ZN9rocsparseL18bsrxmvn_4x4_kernelILj128ELj64E21rocsparse_complex_numIfEllS2_S2_S2_EEvT3_20rocsparse_direction_NS_24const_host_device_scalarIT1_EES3_PKS3_PKT2_SC_S9_PKT4_PKT5_S7_PT6_21rocsparse_index_base_b
                                        ; -- End function
	.set _ZN9rocsparseL18bsrxmvn_4x4_kernelILj128ELj64E21rocsparse_complex_numIfEllS2_S2_S2_EEvT3_20rocsparse_direction_NS_24const_host_device_scalarIT1_EES3_PKS3_PKT2_SC_S9_PKT4_PKT5_S7_PT6_21rocsparse_index_base_b.num_vgpr, 106
	.set _ZN9rocsparseL18bsrxmvn_4x4_kernelILj128ELj64E21rocsparse_complex_numIfEllS2_S2_S2_EEvT3_20rocsparse_direction_NS_24const_host_device_scalarIT1_EES3_PKS3_PKT2_SC_S9_PKT4_PKT5_S7_PT6_21rocsparse_index_base_b.num_agpr, 0
	.set _ZN9rocsparseL18bsrxmvn_4x4_kernelILj128ELj64E21rocsparse_complex_numIfEllS2_S2_S2_EEvT3_20rocsparse_direction_NS_24const_host_device_scalarIT1_EES3_PKS3_PKT2_SC_S9_PKT4_PKT5_S7_PT6_21rocsparse_index_base_b.numbered_sgpr, 31
	.set _ZN9rocsparseL18bsrxmvn_4x4_kernelILj128ELj64E21rocsparse_complex_numIfEllS2_S2_S2_EEvT3_20rocsparse_direction_NS_24const_host_device_scalarIT1_EES3_PKS3_PKT2_SC_S9_PKT4_PKT5_S7_PT6_21rocsparse_index_base_b.num_named_barrier, 0
	.set _ZN9rocsparseL18bsrxmvn_4x4_kernelILj128ELj64E21rocsparse_complex_numIfEllS2_S2_S2_EEvT3_20rocsparse_direction_NS_24const_host_device_scalarIT1_EES3_PKS3_PKT2_SC_S9_PKT4_PKT5_S7_PT6_21rocsparse_index_base_b.private_seg_size, 0
	.set _ZN9rocsparseL18bsrxmvn_4x4_kernelILj128ELj64E21rocsparse_complex_numIfEllS2_S2_S2_EEvT3_20rocsparse_direction_NS_24const_host_device_scalarIT1_EES3_PKS3_PKT2_SC_S9_PKT4_PKT5_S7_PT6_21rocsparse_index_base_b.uses_vcc, 1
	.set _ZN9rocsparseL18bsrxmvn_4x4_kernelILj128ELj64E21rocsparse_complex_numIfEllS2_S2_S2_EEvT3_20rocsparse_direction_NS_24const_host_device_scalarIT1_EES3_PKS3_PKT2_SC_S9_PKT4_PKT5_S7_PT6_21rocsparse_index_base_b.uses_flat_scratch, 0
	.set _ZN9rocsparseL18bsrxmvn_4x4_kernelILj128ELj64E21rocsparse_complex_numIfEllS2_S2_S2_EEvT3_20rocsparse_direction_NS_24const_host_device_scalarIT1_EES3_PKS3_PKT2_SC_S9_PKT4_PKT5_S7_PT6_21rocsparse_index_base_b.has_dyn_sized_stack, 0
	.set _ZN9rocsparseL18bsrxmvn_4x4_kernelILj128ELj64E21rocsparse_complex_numIfEllS2_S2_S2_EEvT3_20rocsparse_direction_NS_24const_host_device_scalarIT1_EES3_PKS3_PKT2_SC_S9_PKT4_PKT5_S7_PT6_21rocsparse_index_base_b.has_recursion, 0
	.set _ZN9rocsparseL18bsrxmvn_4x4_kernelILj128ELj64E21rocsparse_complex_numIfEllS2_S2_S2_EEvT3_20rocsparse_direction_NS_24const_host_device_scalarIT1_EES3_PKS3_PKT2_SC_S9_PKT4_PKT5_S7_PT6_21rocsparse_index_base_b.has_indirect_call, 0
	.section	.AMDGPU.csdata,"",@progbits
; Kernel info:
; codeLenInByte = 7620
; TotalNumSgprs: 37
; NumVgprs: 106
; NumAgprs: 0
; TotalNumVgprs: 106
; ScratchSize: 0
; MemoryBound: 0
; FloatMode: 240
; IeeeMode: 1
; LDSByteSize: 0 bytes/workgroup (compile time only)
; SGPRBlocks: 4
; VGPRBlocks: 13
; NumSGPRsForWavesPerEU: 37
; NumVGPRsForWavesPerEU: 106
; AccumOffset: 108
; Occupancy: 4
; WaveLimiterHint : 1
; COMPUTE_PGM_RSRC2:SCRATCH_EN: 0
; COMPUTE_PGM_RSRC2:USER_SGPR: 2
; COMPUTE_PGM_RSRC2:TRAP_HANDLER: 0
; COMPUTE_PGM_RSRC2:TGID_X_EN: 1
; COMPUTE_PGM_RSRC2:TGID_Y_EN: 0
; COMPUTE_PGM_RSRC2:TGID_Z_EN: 0
; COMPUTE_PGM_RSRC2:TIDIG_COMP_CNT: 0
; COMPUTE_PGM_RSRC3_GFX90A:ACCUM_OFFSET: 26
; COMPUTE_PGM_RSRC3_GFX90A:TG_SPLIT: 0
	.section	.text._ZN9rocsparseL18bsrxmvn_4x4_kernelILj128ELj4E21rocsparse_complex_numIdEllS2_S2_S2_EEvT3_20rocsparse_direction_NS_24const_host_device_scalarIT1_EES3_PKS3_PKT2_SC_S9_PKT4_PKT5_S7_PT6_21rocsparse_index_base_b,"axG",@progbits,_ZN9rocsparseL18bsrxmvn_4x4_kernelILj128ELj4E21rocsparse_complex_numIdEllS2_S2_S2_EEvT3_20rocsparse_direction_NS_24const_host_device_scalarIT1_EES3_PKS3_PKT2_SC_S9_PKT4_PKT5_S7_PT6_21rocsparse_index_base_b,comdat
	.globl	_ZN9rocsparseL18bsrxmvn_4x4_kernelILj128ELj4E21rocsparse_complex_numIdEllS2_S2_S2_EEvT3_20rocsparse_direction_NS_24const_host_device_scalarIT1_EES3_PKS3_PKT2_SC_S9_PKT4_PKT5_S7_PT6_21rocsparse_index_base_b ; -- Begin function _ZN9rocsparseL18bsrxmvn_4x4_kernelILj128ELj4E21rocsparse_complex_numIdEllS2_S2_S2_EEvT3_20rocsparse_direction_NS_24const_host_device_scalarIT1_EES3_PKS3_PKT2_SC_S9_PKT4_PKT5_S7_PT6_21rocsparse_index_base_b
	.p2align	8
	.type	_ZN9rocsparseL18bsrxmvn_4x4_kernelILj128ELj4E21rocsparse_complex_numIdEllS2_S2_S2_EEvT3_20rocsparse_direction_NS_24const_host_device_scalarIT1_EES3_PKS3_PKT2_SC_S9_PKT4_PKT5_S7_PT6_21rocsparse_index_base_b,@function
_ZN9rocsparseL18bsrxmvn_4x4_kernelILj128ELj4E21rocsparse_complex_numIdEllS2_S2_S2_EEvT3_20rocsparse_direction_NS_24const_host_device_scalarIT1_EES3_PKS3_PKT2_SC_S9_PKT4_PKT5_S7_PT6_21rocsparse_index_base_b: ; @_ZN9rocsparseL18bsrxmvn_4x4_kernelILj128ELj4E21rocsparse_complex_numIdEllS2_S2_S2_EEvT3_20rocsparse_direction_NS_24const_host_device_scalarIT1_EES3_PKS3_PKT2_SC_S9_PKT4_PKT5_S7_PT6_21rocsparse_index_base_b
; %bb.0:
	s_load_dwordx2 s[4:5], s[0:1], 0x10
	s_load_dwordx2 s[6:7], s[0:1], 0x70
	s_add_u32 s3, s0, 16
	s_addc_u32 s10, s1, 0
	s_add_u32 s11, s0, 0x58
	s_load_dwordx2 s[8:9], s[0:1], 0x58
	s_addc_u32 s12, s1, 0
	s_waitcnt lgkmcnt(0)
	s_bitcmp1_b32 s7, 0
	s_cselect_b32 s5, s10, s5
	s_cselect_b32 s3, s3, s4
	v_mov_b32_e32 v2, s3
	v_mov_b32_e32 v3, s5
	flat_load_dwordx4 v[6:9], v[2:3]
	s_cselect_b32 s3, s12, s9
	s_cselect_b32 s4, s11, s8
	v_mov_b32_e32 v2, s4
	v_mov_b32_e32 v3, s3
	flat_load_dwordx4 v[2:5], v[2:3]
	s_waitcnt vmcnt(0) lgkmcnt(0)
	v_cmp_eq_f64_e32 vcc, 0, v[6:7]
	v_cmp_eq_f64_e64 s[4:5], 0, v[8:9]
	s_and_b64 s[10:11], vcc, s[4:5]
	s_mov_b64 s[4:5], -1
	s_and_saveexec_b64 s[8:9], s[10:11]
; %bb.1:
	v_cmp_neq_f64_e32 vcc, 1.0, v[2:3]
	v_cmp_neq_f64_e64 s[4:5], 0, v[4:5]
	s_or_b64 s[4:5], vcc, s[4:5]
	s_orn2_b64 s[4:5], s[4:5], exec
; %bb.2:
	s_or_b64 exec, exec, s[8:9]
	s_and_saveexec_b64 s[8:9], s[4:5]
	s_cbranch_execz .LBB55_8
; %bb.3:
	s_load_dwordx2 s[4:5], s[0:1], 0x28
	v_lshrrev_b32_e32 v1, 2, v0
	v_lshl_or_b32 v10, s2, 5, v1
	v_mov_b32_e32 v11, 0
	s_mov_b64 s[2:3], 0
	s_waitcnt lgkmcnt(0)
	s_cmp_lg_u64 s[4:5], 0
	s_cbranch_scc0 .LBB55_9
; %bb.4:
	s_load_dwordx2 s[8:9], s[0:1], 0x20
                                        ; implicit-def: $vgpr26_vgpr27
                                        ; implicit-def: $vgpr28_vgpr29
	s_waitcnt lgkmcnt(0)
	v_cmp_gt_i64_e32 vcc, s[8:9], v[10:11]
	s_and_saveexec_b64 s[8:9], vcc
	s_xor_b64 s[8:9], exec, s[8:9]
	s_cbranch_execz .LBB55_6
; %bb.5:
	v_lshl_add_u64 v[12:13], v[10:11], 3, s[4:5]
	global_load_dwordx2 v[12:13], v[12:13], off
	s_mov_b32 s7, 0
	s_mov_b64 s[2:3], exec
	v_mov_b64_e32 v[28:29], s[6:7]
	s_waitcnt vmcnt(0)
	v_subrev_co_u32_e32 v26, vcc, s6, v12
	s_nop 1
	v_subbrev_co_u32_e32 v27, vcc, 0, v13, vcc
.LBB55_6:
	s_or_b64 exec, exec, s[8:9]
.LBB55_7:
	s_and_b64 exec, exec, s[2:3]
	s_cbranch_execnz .LBB55_13
.LBB55_8:
	s_endpgm
.LBB55_9:
                                        ; implicit-def: $vgpr26_vgpr27
                                        ; implicit-def: $vgpr28_vgpr29
	s_cbranch_execz .LBB55_7
; %bb.10:
	s_load_dwordx2 s[4:5], s[0:1], 0x0
	s_waitcnt lgkmcnt(0)
	v_cmp_gt_i64_e32 vcc, s[4:5], v[10:11]
	s_and_saveexec_b64 s[4:5], vcc
; %bb.11:
	s_mov_b32 s7, 0
	s_or_b64 s[2:3], s[2:3], exec
; %bb.12:
	s_or_b64 exec, exec, s[4:5]
	v_mov_b64_e32 v[28:29], s[6:7]
	v_mov_b64_e32 v[26:27], v[10:11]
	s_and_b64 exec, exec, s[2:3]
	s_cbranch_execz .LBB55_8
.LBB55_13:
	s_load_dwordx8 s[4:11], s[0:1], 0x30
	v_lshlrev_b64 v[10:11], 3, v[26:27]
	v_and_b32_e32 v0, 3, v0
	v_mov_b32_e32 v1, 0
	s_waitcnt lgkmcnt(0)
	v_lshl_add_u64 v[12:13], s[4:5], 0, v[10:11]
	s_cmp_eq_u64 s[6:7], 0
	v_lshl_add_u64 v[10:11], s[6:7], 0, v[10:11]
	global_load_dwordx2 v[44:45], v[12:13], off
	v_lshl_add_u64 v[12:13], v[12:13], 0, 8
	s_cselect_b64 vcc, -1, 0
	v_cndmask_b32_e32 v11, v11, v13, vcc
	v_cndmask_b32_e32 v10, v10, v12, vcc
	global_load_dwordx2 v[10:11], v[10:11], off
	s_load_dword s2, s[0:1], 0x8
	s_load_dwordx2 s[4:5], s[0:1], 0x50
	s_waitcnt lgkmcnt(0)
	s_cmp_eq_u32 s2, 1
	s_waitcnt vmcnt(1)
	v_sub_co_u32_e32 v12, vcc, v44, v28
	s_nop 1
	v_subb_co_u32_e32 v13, vcc, v45, v29, vcc
	v_lshl_add_u64 v[30:31], v[12:13], 0, v[0:1]
	s_waitcnt vmcnt(0)
	v_sub_co_u32_e32 v32, vcc, v10, v28
	s_nop 1
	v_subb_co_u32_e32 v33, vcc, v11, v29, vcc
	v_lshlrev_b64 v[10:11], 8, v[30:31]
	v_lshl_add_u64 v[34:35], s[10:11], 0, v[10:11]
	v_cmp_lt_i64_e64 s[2:3], v[30:31], v[32:33]
	s_cbranch_scc1 .LBB55_25
; %bb.14:
	v_mov_b64_e32 v[38:39], 0
	v_mov_b64_e32 v[52:53], 0
	;; [unrolled: 1-line block ×8, first 2 shown]
	s_and_saveexec_b64 s[6:7], s[2:3]
	s_cbranch_execz .LBB55_24
; %bb.15:
	v_or_b32_e32 v1, 4, v0
	v_sub_co_u32_e32 v10, vcc, v1, v28
	v_not_b32_e32 v13, v45
	s_nop 0
	v_subb_co_u32_e32 v11, vcc, 0, v29, vcc
	v_lshl_add_u64 v[10:11], v[10:11], 0, v[44:45]
	v_cmp_gt_i64_e32 vcc, v[10:11], v[32:33]
	v_not_b32_e32 v12, v44
	v_mov_b64_e32 v[42:43], 0
	v_cndmask_b32_e32 v11, v33, v11, vcc
	v_cndmask_b32_e32 v10, v32, v10, vcc
	v_sub_co_u32_e32 v14, vcc, v28, v0
	v_mov_b64_e32 v[54:55], 0
	s_nop 0
	v_subbrev_co_u32_e32 v15, vcc, 0, v29, vcc
	v_lshl_add_u64 v[12:13], v[14:15], 0, v[12:13]
	v_lshl_add_u64 v[10:11], v[12:13], 0, v[10:11]
	v_and_b32_e32 v12, 12, v10
	v_mov_b32_e32 v13, 0
	v_cmp_ne_u64_e32 vcc, 12, v[12:13]
	v_mov_b64_e32 v[40:41], 0
	v_mov_b64_e32 v[56:57], 0
	v_mov_b64_e32 v[36:37], 0
	v_mov_b64_e32 v[58:59], 0
	v_mov_b64_e32 v[52:53], 0
	v_mov_b64_e32 v[38:39], 0
	v_mov_b64_e32 v[46:47], v[34:35]
	v_mov_b64_e32 v[48:49], v[30:31]
	s_and_saveexec_b64 s[10:11], vcc
	s_cbranch_execz .LBB55_19
; %bb.16:
	v_lshrrev_b32_e32 v1, 2, v10
	v_add_u32_e32 v1, 1, v1
	v_and_b32_e32 v1, 3, v1
	v_sub_co_u32_e32 v14, vcc, 0, v1
	v_lshl_add_u64 v[12:13], v[30:31], 3, s[8:9]
	s_nop 0
	v_subb_co_u32_e64 v15, s[14:15], 0, 0, vcc
	s_mov_b64 s[12:13], 0
	v_mov_b64_e32 v[38:39], 0
	s_mov_b64 s[14:15], 0x400
	v_mov_b64_e32 v[48:49], v[30:31]
	v_mov_b64_e32 v[46:47], v[34:35]
	;; [unrolled: 1-line block ×9, first 2 shown]
.LBB55_17:                              ; =>This Inner Loop Header: Depth=1
	global_load_dwordx2 v[24:25], v[12:13], off
	global_load_dwordx4 v[16:19], v[46:47], off offset:16
	global_load_dwordx4 v[20:23], v[46:47], off
	global_load_dwordx4 v[60:63], v[46:47], off offset:80
	global_load_dwordx4 v[64:67], v[46:47], off offset:64
	;; [unrolled: 1-line block ×5, first 2 shown]
	v_lshl_add_u64 v[14:15], v[14:15], 0, 1
	v_lshl_add_u64 v[48:49], v[48:49], 0, 4
	;; [unrolled: 1-line block ×3, first 2 shown]
	s_waitcnt vmcnt(7)
	v_sub_co_u32_e32 v24, vcc, v24, v28
	s_nop 1
	v_subb_co_u32_e32 v25, vcc, v25, v29, vcc
	v_lshlrev_b64 v[24:25], 6, v[24:25]
	v_lshl_add_u64 v[24:25], s[4:5], 0, v[24:25]
	global_load_dwordx4 v[80:83], v[24:25], off
	v_cmp_eq_u64_e32 vcc, 0, v[14:15]
	s_or_b64 s[12:13], vcc, s[12:13]
	s_waitcnt vmcnt(0)
	v_fmac_f64_e32 v[52:53], v[20:21], v[80:81]
	v_fmac_f64_e32 v[38:39], v[22:23], v[80:81]
	v_fmac_f64_e32 v[54:55], v[64:65], v[80:81]
	v_fmac_f64_e32 v[42:43], v[66:67], v[80:81]
	v_fmac_f64_e32 v[56:57], v[72:73], v[80:81]
	v_fmac_f64_e32 v[40:41], v[74:75], v[80:81]
	v_fma_f64 v[84:85], -v[22:23], v[82:83], v[52:53]
	v_fmac_f64_e32 v[38:39], v[20:21], v[82:83]
	global_load_dwordx4 v[20:23], v[46:47], off offset:208
	v_fma_f64 v[86:87], -v[66:67], v[82:83], v[54:55]
	v_fmac_f64_e32 v[42:43], v[64:65], v[82:83]
	global_load_dwordx4 v[50:53], v[46:47], off offset:48
	;; [unrolled: 3-line block ×3, first 2 shown]
	global_load_dwordx4 v[64:67], v[46:47], off offset:112
	global_load_dwordx4 v[72:75], v[24:25], off offset:16
	v_fmac_f64_e32 v[58:59], v[76:77], v[80:81]
	v_fmac_f64_e32 v[36:37], v[78:79], v[80:81]
	v_fma_f64 v[78:79], -v[78:79], v[82:83], v[58:59]
	v_fmac_f64_e32 v[36:37], v[76:77], v[82:83]
	s_waitcnt vmcnt(0)
	v_fmac_f64_e32 v[84:85], v[16:17], v[72:73]
	v_fmac_f64_e32 v[38:39], v[18:19], v[72:73]
	;; [unrolled: 1-line block ×8, first 2 shown]
	v_fma_f64 v[76:77], -v[18:19], v[74:75], v[84:85]
	v_fmac_f64_e32 v[38:39], v[16:17], v[74:75]
	global_load_dwordx4 v[16:19], v[46:47], off offset:96
	v_fma_f64 v[62:63], -v[62:63], v[74:75], v[86:87]
	v_fmac_f64_e32 v[42:43], v[60:61], v[74:75]
	global_load_dwordx4 v[58:61], v[46:47], off offset:176
	;; [unrolled: 3-line block ×4, first 2 shown]
	global_load_dwordx4 v[72:75], v[24:25], off offset:32
	s_waitcnt vmcnt(0)
	v_fmac_f64_e32 v[76:77], v[54:55], v[72:73]
	v_fmac_f64_e32 v[38:39], v[56:57], v[72:73]
	;; [unrolled: 1-line block ×4, first 2 shown]
	v_fma_f64 v[56:57], -v[56:57], v[74:75], v[76:77]
	v_fmac_f64_e32 v[38:39], v[54:55], v[74:75]
	global_load_dwordx4 v[76:79], v[46:47], off offset:240
	v_fma_f64 v[54:55], -v[18:19], v[74:75], v[62:63]
	v_fmac_f64_e32 v[42:43], v[16:17], v[74:75]
	global_load_dwordx4 v[16:19], v[24:25], off offset:48
	v_fmac_f64_e32 v[80:81], v[68:69], v[72:73]
	v_fmac_f64_e32 v[40:41], v[70:71], v[72:73]
	;; [unrolled: 1-line block ×4, first 2 shown]
	v_fma_f64 v[24:25], -v[70:71], v[74:75], v[80:81]
	v_fmac_f64_e32 v[40:41], v[68:69], v[74:75]
	v_fma_f64 v[22:23], -v[22:23], v[74:75], v[82:83]
	v_fmac_f64_e32 v[36:37], v[20:21], v[74:75]
	v_lshl_add_u64 v[46:47], v[46:47], 0, s[14:15]
	s_waitcnt vmcnt(0)
	v_fmac_f64_e32 v[56:57], v[50:51], v[16:17]
	v_fmac_f64_e32 v[38:39], v[52:53], v[16:17]
	;; [unrolled: 1-line block ×8, first 2 shown]
	v_fma_f64 v[52:53], -v[52:53], v[18:19], v[56:57]
	v_fmac_f64_e32 v[38:39], v[50:51], v[18:19]
	v_fma_f64 v[54:55], -v[66:67], v[18:19], v[54:55]
	v_fmac_f64_e32 v[42:43], v[64:65], v[18:19]
	;; [unrolled: 2-line block ×4, first 2 shown]
	s_andn2_b64 exec, exec, s[12:13]
	s_cbranch_execnz .LBB55_17
; %bb.18:
	s_or_b64 exec, exec, s[12:13]
.LBB55_19:
	s_or_b64 exec, exec, s[10:11]
	v_cmp_lt_u64_e32 vcc, 11, v[10:11]
	s_and_saveexec_b64 s[10:11], vcc
	s_cbranch_execz .LBB55_23
; %bb.20:
	v_lshl_add_u64 v[10:11], v[48:49], 3, s[8:9]
	v_lshl_add_u64 v[50:51], v[10:11], 0, 64
	s_mov_b64 s[12:13], 0
	s_mov_b64 s[14:15], 0x1000
	;; [unrolled: 1-line block ×3, first 2 shown]
.LBB55_21:                              ; =>This Inner Loop Header: Depth=1
	global_load_dwordx2 v[10:11], v[50:51], off offset:-64
	global_load_dwordx4 v[60:63], v[46:47], off offset:48
	global_load_dwordx4 v[64:67], v[46:47], off offset:32
	;; [unrolled: 1-line block ×3, first 2 shown]
	global_load_dwordx4 v[72:75], v[46:47], off
	v_lshl_add_u64 v[48:49], v[48:49], 0, 16
	s_waitcnt vmcnt(4)
	v_sub_co_u32_e32 v10, vcc, v10, v28
	s_nop 1
	v_subb_co_u32_e32 v11, vcc, v11, v29, vcc
	v_lshlrev_b64 v[10:11], 6, v[10:11]
	v_lshl_add_u64 v[76:77], s[4:5], 0, v[10:11]
	global_load_dwordx4 v[10:13], v[76:77], off offset:48
	global_load_dwordx4 v[14:17], v[76:77], off offset:32
	;; [unrolled: 1-line block ×3, first 2 shown]
	global_load_dwordx4 v[22:25], v[76:77], off
	s_waitcnt vmcnt(0)
	v_fmac_f64_e32 v[52:53], v[72:73], v[22:23]
	v_fmac_f64_e32 v[38:39], v[74:75], v[22:23]
	v_fma_f64 v[52:53], -v[74:75], v[24:25], v[52:53]
	v_fmac_f64_e32 v[38:39], v[72:73], v[24:25]
	v_fmac_f64_e32 v[52:53], v[68:69], v[18:19]
	v_fmac_f64_e32 v[38:39], v[70:71], v[18:19]
	v_fma_f64 v[52:53], -v[70:71], v[20:21], v[52:53]
	v_fmac_f64_e32 v[38:39], v[68:69], v[20:21]
	v_fmac_f64_e32 v[52:53], v[64:65], v[14:15]
	v_fmac_f64_e32 v[38:39], v[66:67], v[14:15]
	v_fma_f64 v[52:53], -v[66:67], v[16:17], v[52:53]
	v_fmac_f64_e32 v[38:39], v[64:65], v[16:17]
	v_fmac_f64_e32 v[52:53], v[60:61], v[10:11]
	v_fmac_f64_e32 v[38:39], v[62:63], v[10:11]
	v_fma_f64 v[52:53], -v[62:63], v[12:13], v[52:53]
	v_fmac_f64_e32 v[38:39], v[60:61], v[12:13]
	global_load_dwordx4 v[60:63], v[46:47], off offset:112
	global_load_dwordx4 v[64:67], v[46:47], off offset:96
	global_load_dwordx4 v[68:71], v[46:47], off offset:80
	global_load_dwordx4 v[72:75], v[46:47], off offset:64
	s_waitcnt vmcnt(0)
	v_fmac_f64_e32 v[54:55], v[72:73], v[22:23]
	v_fmac_f64_e32 v[42:43], v[74:75], v[22:23]
	v_fma_f64 v[54:55], -v[74:75], v[24:25], v[54:55]
	v_fmac_f64_e32 v[42:43], v[72:73], v[24:25]
	v_fmac_f64_e32 v[54:55], v[68:69], v[18:19]
	v_fmac_f64_e32 v[42:43], v[70:71], v[18:19]
	v_fma_f64 v[54:55], -v[70:71], v[20:21], v[54:55]
	v_fmac_f64_e32 v[42:43], v[68:69], v[20:21]
	v_fmac_f64_e32 v[54:55], v[64:65], v[14:15]
	v_fmac_f64_e32 v[42:43], v[66:67], v[14:15]
	v_fma_f64 v[54:55], -v[66:67], v[16:17], v[54:55]
	v_fmac_f64_e32 v[42:43], v[64:65], v[16:17]
	v_fmac_f64_e32 v[54:55], v[60:61], v[10:11]
	v_fmac_f64_e32 v[42:43], v[62:63], v[10:11]
	v_fma_f64 v[54:55], -v[62:63], v[12:13], v[54:55]
	v_fmac_f64_e32 v[42:43], v[60:61], v[12:13]
	global_load_dwordx4 v[60:63], v[46:47], off offset:176
	global_load_dwordx4 v[64:67], v[46:47], off offset:160
	global_load_dwordx4 v[68:71], v[46:47], off offset:144
	global_load_dwordx4 v[72:75], v[46:47], off offset:128
	;; [unrolled: 21-line block ×3, first 2 shown]
	s_waitcnt vmcnt(0)
	v_fmac_f64_e32 v[58:59], v[72:73], v[22:23]
	v_fmac_f64_e32 v[36:37], v[74:75], v[22:23]
	v_fma_f64 v[58:59], -v[74:75], v[24:25], v[58:59]
	v_fmac_f64_e32 v[36:37], v[72:73], v[24:25]
	v_fmac_f64_e32 v[58:59], v[68:69], v[18:19]
	v_fmac_f64_e32 v[36:37], v[70:71], v[18:19]
	v_fma_f64 v[22:23], -v[70:71], v[20:21], v[58:59]
	v_fmac_f64_e32 v[36:37], v[68:69], v[20:21]
	;; [unrolled: 4-line block ×3, first 2 shown]
	v_fmac_f64_e32 v[18:19], v[60:61], v[10:11]
	v_fmac_f64_e32 v[36:37], v[62:63], v[10:11]
	global_load_dwordx2 v[10:11], v[50:51], off offset:-32
	v_fma_f64 v[78:79], -v[62:63], v[12:13], v[18:19]
	v_fmac_f64_e32 v[36:37], v[60:61], v[12:13]
	global_load_dwordx4 v[12:15], v[46:47], off offset:1072
	global_load_dwordx4 v[16:19], v[46:47], off offset:1056
	;; [unrolled: 1-line block ×4, first 2 shown]
	s_waitcnt vmcnt(4)
	v_sub_co_u32_e32 v10, vcc, v10, v28
	s_nop 1
	v_subb_co_u32_e32 v11, vcc, v11, v29, vcc
	v_lshlrev_b64 v[10:11], 6, v[10:11]
	v_lshl_add_u64 v[10:11], s[4:5], 0, v[10:11]
	global_load_dwordx4 v[62:65], v[10:11], off offset:48
	global_load_dwordx4 v[66:69], v[10:11], off offset:32
	;; [unrolled: 1-line block ×3, first 2 shown]
	global_load_dwordx4 v[74:77], v[10:11], off
	s_waitcnt vmcnt(0)
	v_fmac_f64_e32 v[52:53], v[58:59], v[74:75]
	v_fma_f64 v[10:11], -v[60:61], v[76:77], v[52:53]
	v_fmac_f64_e32 v[38:39], v[60:61], v[74:75]
	v_fmac_f64_e32 v[38:39], v[58:59], v[76:77]
	v_fmac_f64_e32 v[10:11], v[20:21], v[70:71]
	v_fma_f64 v[10:11], -v[22:23], v[72:73], v[10:11]
	v_fmac_f64_e32 v[38:39], v[22:23], v[70:71]
	v_fmac_f64_e32 v[38:39], v[20:21], v[72:73]
	v_fmac_f64_e32 v[10:11], v[16:17], v[66:67]
	v_fma_f64 v[10:11], -v[18:19], v[68:69], v[10:11]
	v_fmac_f64_e32 v[38:39], v[18:19], v[66:67]
	v_fmac_f64_e32 v[38:39], v[16:17], v[68:69]
	v_fmac_f64_e32 v[10:11], v[12:13], v[62:63]
	v_fma_f64 v[10:11], -v[14:15], v[64:65], v[10:11]
	v_fmac_f64_e32 v[38:39], v[14:15], v[62:63]
	global_load_dwordx4 v[14:17], v[46:47], off offset:1136
	global_load_dwordx4 v[18:21], v[46:47], off offset:1120
	global_load_dwordx4 v[22:25], v[46:47], off offset:1104
	global_load_dwordx4 v[58:61], v[46:47], off offset:1088
	v_fmac_f64_e32 v[38:39], v[12:13], v[64:65]
	s_waitcnt vmcnt(0)
	v_fmac_f64_e32 v[54:55], v[58:59], v[74:75]
	v_fma_f64 v[12:13], -v[60:61], v[76:77], v[54:55]
	v_fmac_f64_e32 v[42:43], v[60:61], v[74:75]
	v_fmac_f64_e32 v[42:43], v[58:59], v[76:77]
	v_fmac_f64_e32 v[12:13], v[22:23], v[70:71]
	v_fma_f64 v[12:13], -v[24:25], v[72:73], v[12:13]
	v_fmac_f64_e32 v[42:43], v[24:25], v[70:71]
	v_fmac_f64_e32 v[42:43], v[22:23], v[72:73]
	v_fmac_f64_e32 v[12:13], v[18:19], v[66:67]
	v_fma_f64 v[12:13], -v[20:21], v[68:69], v[12:13]
	v_fmac_f64_e32 v[42:43], v[20:21], v[66:67]
	v_fmac_f64_e32 v[42:43], v[18:19], v[68:69]
	v_fmac_f64_e32 v[12:13], v[14:15], v[62:63]
	v_fma_f64 v[12:13], -v[16:17], v[64:65], v[12:13]
	v_fmac_f64_e32 v[42:43], v[16:17], v[62:63]
	global_load_dwordx4 v[16:19], v[46:47], off offset:1200
	global_load_dwordx4 v[20:23], v[46:47], off offset:1184
	global_load_dwordx4 v[52:55], v[46:47], off offset:1168
	global_load_dwordx4 v[58:61], v[46:47], off offset:1152
	v_fmac_f64_e32 v[42:43], v[14:15], v[64:65]
	;; [unrolled: 21-line block ×3, first 2 shown]
	s_waitcnt vmcnt(0)
	v_fmac_f64_e32 v[36:37], v[58:59], v[74:75]
	v_fmac_f64_e32 v[78:79], v[56:57], v[74:75]
	v_fmac_f64_e32 v[36:37], v[56:57], v[76:77]
	v_fma_f64 v[16:17], -v[58:59], v[76:77], v[78:79]
	v_fmac_f64_e32 v[36:37], v[54:55], v[70:71]
	v_fmac_f64_e32 v[16:17], v[52:53], v[70:71]
	v_fmac_f64_e32 v[36:37], v[52:53], v[72:73]
	v_fma_f64 v[16:17], -v[54:55], v[72:73], v[16:17]
	;; [unrolled: 4-line block ×3, first 2 shown]
	v_fmac_f64_e32 v[36:37], v[20:21], v[62:63]
	v_fmac_f64_e32 v[16:17], v[18:19], v[62:63]
	;; [unrolled: 1-line block ×3, first 2 shown]
	global_load_dwordx2 v[18:19], v[50:51], off
	v_fma_f64 v[16:17], -v[20:21], v[64:65], v[16:17]
	s_waitcnt vmcnt(0)
	v_sub_co_u32_e32 v60, vcc, v18, v28
	s_nop 1
	v_subb_co_u32_e32 v61, vcc, v19, v29, vcc
	v_lshlrev_b64 v[60:61], 6, v[60:61]
	v_lshl_add_u64 v[76:77], s[4:5], 0, v[60:61]
	global_load_dwordx4 v[18:21], v[46:47], off offset:2096
	global_load_dwordx4 v[22:25], v[46:47], off offset:2080
	;; [unrolled: 1-line block ×7, first 2 shown]
	global_load_dwordx4 v[72:75], v[76:77], off
	s_waitcnt vmcnt(0)
	v_fmac_f64_e32 v[10:11], v[56:57], v[72:73]
	v_fmac_f64_e32 v[38:39], v[58:59], v[72:73]
	v_fma_f64 v[10:11], -v[58:59], v[74:75], v[10:11]
	v_fmac_f64_e32 v[38:39], v[56:57], v[74:75]
	v_fmac_f64_e32 v[10:11], v[52:53], v[68:69]
	v_fmac_f64_e32 v[38:39], v[54:55], v[68:69]
	v_fma_f64 v[10:11], -v[54:55], v[70:71], v[10:11]
	v_fmac_f64_e32 v[38:39], v[52:53], v[70:71]
	v_fmac_f64_e32 v[10:11], v[22:23], v[64:65]
	v_fmac_f64_e32 v[38:39], v[24:25], v[64:65]
	v_fma_f64 v[10:11], -v[24:25], v[66:67], v[10:11]
	v_fmac_f64_e32 v[38:39], v[22:23], v[66:67]
	v_fmac_f64_e32 v[10:11], v[18:19], v[60:61]
	v_fmac_f64_e32 v[38:39], v[20:21], v[60:61]
	v_fma_f64 v[52:53], -v[20:21], v[62:63], v[10:11]
	v_fmac_f64_e32 v[38:39], v[18:19], v[62:63]
	global_load_dwordx4 v[18:21], v[46:47], off offset:2160
	global_load_dwordx4 v[22:25], v[46:47], off offset:2144
	global_load_dwordx4 v[54:57], v[46:47], off offset:2128
	global_load_dwordx4 v[76:79], v[46:47], off offset:2112
	s_waitcnt vmcnt(0)
	v_fmac_f64_e32 v[12:13], v[76:77], v[72:73]
	v_fmac_f64_e32 v[42:43], v[78:79], v[72:73]
	v_fma_f64 v[10:11], -v[78:79], v[74:75], v[12:13]
	v_fmac_f64_e32 v[42:43], v[76:77], v[74:75]
	v_fmac_f64_e32 v[10:11], v[54:55], v[68:69]
	v_fmac_f64_e32 v[42:43], v[56:57], v[68:69]
	v_fma_f64 v[10:11], -v[56:57], v[70:71], v[10:11]
	v_fmac_f64_e32 v[42:43], v[54:55], v[70:71]
	v_fmac_f64_e32 v[10:11], v[22:23], v[64:65]
	v_fmac_f64_e32 v[42:43], v[24:25], v[64:65]
	v_fma_f64 v[10:11], -v[24:25], v[66:67], v[10:11]
	v_fmac_f64_e32 v[42:43], v[22:23], v[66:67]
	v_fmac_f64_e32 v[10:11], v[18:19], v[60:61]
	v_fmac_f64_e32 v[42:43], v[20:21], v[60:61]
	v_fma_f64 v[54:55], -v[20:21], v[62:63], v[10:11]
	v_fmac_f64_e32 v[42:43], v[18:19], v[62:63]
	global_load_dwordx4 v[10:13], v[46:47], off offset:2224
	global_load_dwordx4 v[18:21], v[46:47], off offset:2208
	global_load_dwordx4 v[22:25], v[46:47], off offset:2192
	global_load_dwordx4 v[56:59], v[46:47], off offset:2176
	;; [unrolled: 21-line block ×3, first 2 shown]
	s_waitcnt vmcnt(0)
	v_fmac_f64_e32 v[36:37], v[78:79], v[72:73]
	v_fmac_f64_e32 v[16:17], v[76:77], v[72:73]
	v_fmac_f64_e32 v[36:37], v[76:77], v[74:75]
	v_fma_f64 v[14:15], -v[78:79], v[74:75], v[16:17]
	v_fmac_f64_e32 v[36:37], v[24:25], v[68:69]
	v_fmac_f64_e32 v[14:15], v[22:23], v[68:69]
	v_fmac_f64_e32 v[36:37], v[22:23], v[70:71]
	v_fma_f64 v[14:15], -v[24:25], v[70:71], v[14:15]
	;; [unrolled: 4-line block ×3, first 2 shown]
	v_fmac_f64_e32 v[36:37], v[12:13], v[60:61]
	v_fmac_f64_e32 v[14:15], v[10:11], v[60:61]
	;; [unrolled: 1-line block ×3, first 2 shown]
	global_load_dwordx2 v[10:11], v[50:51], off offset:32
	v_fma_f64 v[58:59], -v[12:13], v[62:63], v[14:15]
	global_load_dwordx4 v[60:63], v[46:47], off offset:3120
	global_load_dwordx4 v[64:67], v[46:47], off offset:3104
	;; [unrolled: 1-line block ×4, first 2 shown]
	v_lshl_add_u64 v[50:51], v[50:51], 0, s[16:17]
	s_waitcnt vmcnt(4)
	v_sub_co_u32_e32 v10, vcc, v10, v28
	s_nop 1
	v_subb_co_u32_e32 v11, vcc, v11, v29, vcc
	v_lshlrev_b64 v[10:11], 6, v[10:11]
	v_lshl_add_u64 v[76:77], s[4:5], 0, v[10:11]
	global_load_dwordx4 v[10:13], v[76:77], off offset:48
	global_load_dwordx4 v[14:17], v[76:77], off offset:32
	global_load_dwordx4 v[18:21], v[76:77], off offset:16
	global_load_dwordx4 v[22:25], v[76:77], off
	v_cmp_ge_i64_e32 vcc, v[48:49], v[32:33]
	s_or_b64 s[12:13], vcc, s[12:13]
	s_waitcnt vmcnt(0)
	v_fmac_f64_e32 v[52:53], v[72:73], v[22:23]
	v_fmac_f64_e32 v[38:39], v[74:75], v[22:23]
	v_fma_f64 v[52:53], -v[74:75], v[24:25], v[52:53]
	v_fmac_f64_e32 v[38:39], v[72:73], v[24:25]
	v_fmac_f64_e32 v[52:53], v[68:69], v[18:19]
	v_fmac_f64_e32 v[38:39], v[70:71], v[18:19]
	v_fma_f64 v[52:53], -v[70:71], v[20:21], v[52:53]
	v_fmac_f64_e32 v[38:39], v[68:69], v[20:21]
	v_fmac_f64_e32 v[52:53], v[64:65], v[14:15]
	v_fmac_f64_e32 v[38:39], v[66:67], v[14:15]
	v_fma_f64 v[52:53], -v[66:67], v[16:17], v[52:53]
	v_fmac_f64_e32 v[38:39], v[64:65], v[16:17]
	v_fmac_f64_e32 v[52:53], v[60:61], v[10:11]
	v_fmac_f64_e32 v[38:39], v[62:63], v[10:11]
	v_fma_f64 v[52:53], -v[62:63], v[12:13], v[52:53]
	v_fmac_f64_e32 v[38:39], v[60:61], v[12:13]
	global_load_dwordx4 v[60:63], v[46:47], off offset:3184
	global_load_dwordx4 v[64:67], v[46:47], off offset:3168
	global_load_dwordx4 v[68:71], v[46:47], off offset:3152
	global_load_dwordx4 v[72:75], v[46:47], off offset:3136
	s_waitcnt vmcnt(0)
	v_fmac_f64_e32 v[54:55], v[72:73], v[22:23]
	v_fmac_f64_e32 v[42:43], v[74:75], v[22:23]
	v_fma_f64 v[54:55], -v[74:75], v[24:25], v[54:55]
	v_fmac_f64_e32 v[42:43], v[72:73], v[24:25]
	v_fmac_f64_e32 v[54:55], v[68:69], v[18:19]
	v_fmac_f64_e32 v[42:43], v[70:71], v[18:19]
	v_fma_f64 v[54:55], -v[70:71], v[20:21], v[54:55]
	v_fmac_f64_e32 v[42:43], v[68:69], v[20:21]
	v_fmac_f64_e32 v[54:55], v[64:65], v[14:15]
	v_fmac_f64_e32 v[42:43], v[66:67], v[14:15]
	v_fma_f64 v[54:55], -v[66:67], v[16:17], v[54:55]
	v_fmac_f64_e32 v[42:43], v[64:65], v[16:17]
	v_fmac_f64_e32 v[54:55], v[60:61], v[10:11]
	v_fmac_f64_e32 v[42:43], v[62:63], v[10:11]
	v_fma_f64 v[54:55], -v[62:63], v[12:13], v[54:55]
	v_fmac_f64_e32 v[42:43], v[60:61], v[12:13]
	global_load_dwordx4 v[60:63], v[46:47], off offset:3248
	global_load_dwordx4 v[64:67], v[46:47], off offset:3232
	global_load_dwordx4 v[68:71], v[46:47], off offset:3216
	global_load_dwordx4 v[72:75], v[46:47], off offset:3200
	s_waitcnt vmcnt(0)
	v_fmac_f64_e32 v[56:57], v[72:73], v[22:23]
	v_fmac_f64_e32 v[40:41], v[74:75], v[22:23]
	v_fma_f64 v[56:57], -v[74:75], v[24:25], v[56:57]
	v_fmac_f64_e32 v[40:41], v[72:73], v[24:25]
	v_fmac_f64_e32 v[56:57], v[68:69], v[18:19]
	v_fmac_f64_e32 v[40:41], v[70:71], v[18:19]
	v_fma_f64 v[56:57], -v[70:71], v[20:21], v[56:57]
	v_fmac_f64_e32 v[40:41], v[68:69], v[20:21]
	v_fmac_f64_e32 v[56:57], v[64:65], v[14:15]
	v_fmac_f64_e32 v[40:41], v[66:67], v[14:15]
	v_fma_f64 v[56:57], -v[66:67], v[16:17], v[56:57]
	v_fmac_f64_e32 v[40:41], v[64:65], v[16:17]
	v_fmac_f64_e32 v[56:57], v[60:61], v[10:11]
	v_fmac_f64_e32 v[40:41], v[62:63], v[10:11]
	v_fma_f64 v[56:57], -v[62:63], v[12:13], v[56:57]
	v_fmac_f64_e32 v[40:41], v[60:61], v[12:13]
	global_load_dwordx4 v[60:63], v[46:47], off offset:3312
	global_load_dwordx4 v[64:67], v[46:47], off offset:3296
	global_load_dwordx4 v[68:71], v[46:47], off offset:3280
	global_load_dwordx4 v[72:75], v[46:47], off offset:3264
	v_lshl_add_u64 v[46:47], v[46:47], 0, s[14:15]
	s_waitcnt vmcnt(0)
	v_fmac_f64_e32 v[58:59], v[72:73], v[22:23]
	v_fmac_f64_e32 v[36:37], v[74:75], v[22:23]
	v_fma_f64 v[58:59], -v[74:75], v[24:25], v[58:59]
	v_fmac_f64_e32 v[36:37], v[72:73], v[24:25]
	v_fmac_f64_e32 v[58:59], v[68:69], v[18:19]
	v_fmac_f64_e32 v[36:37], v[70:71], v[18:19]
	v_fma_f64 v[22:23], -v[70:71], v[20:21], v[58:59]
	v_fmac_f64_e32 v[36:37], v[68:69], v[20:21]
	;; [unrolled: 4-line block ×4, first 2 shown]
	s_andn2_b64 exec, exec, s[12:13]
	s_cbranch_execnz .LBB55_21
; %bb.22:
	s_or_b64 exec, exec, s[12:13]
.LBB55_23:
	s_or_b64 exec, exec, s[10:11]
.LBB55_24:
	s_or_b64 exec, exec, s[6:7]
	s_cbranch_execz .LBB55_26
	s_branch .LBB55_37
.LBB55_25:
                                        ; implicit-def: $vgpr38_vgpr39
                                        ; implicit-def: $vgpr52_vgpr53
                                        ; implicit-def: $vgpr58_vgpr59
                                        ; implicit-def: $vgpr36_vgpr37
                                        ; implicit-def: $vgpr56_vgpr57
                                        ; implicit-def: $vgpr40_vgpr41
                                        ; implicit-def: $vgpr54_vgpr55
                                        ; implicit-def: $vgpr42_vgpr43
.LBB55_26:
	v_mov_b64_e32 v[38:39], 0
	v_mov_b64_e32 v[52:53], 0
	;; [unrolled: 1-line block ×8, first 2 shown]
	s_and_saveexec_b64 s[6:7], s[2:3]
	s_cbranch_execz .LBB55_36
; %bb.27:
	v_or_b32_e32 v1, 4, v0
	v_sub_co_u32_e32 v10, vcc, v1, v28
	v_not_b32_e32 v13, v45
	s_nop 0
	v_subb_co_u32_e32 v11, vcc, 0, v29, vcc
	v_lshl_add_u64 v[10:11], v[10:11], 0, v[44:45]
	v_cmp_gt_i64_e32 vcc, v[10:11], v[32:33]
	v_not_b32_e32 v12, v44
	v_mov_b64_e32 v[42:43], 0
	v_cndmask_b32_e32 v11, v33, v11, vcc
	v_cndmask_b32_e32 v10, v32, v10, vcc
	v_sub_co_u32_e32 v14, vcc, v28, v0
	v_mov_b64_e32 v[54:55], 0
	s_nop 0
	v_subbrev_co_u32_e32 v15, vcc, 0, v29, vcc
	v_lshl_add_u64 v[12:13], v[14:15], 0, v[12:13]
	v_lshl_add_u64 v[44:45], v[12:13], 0, v[10:11]
	v_and_b32_e32 v10, 12, v44
	v_mov_b32_e32 v11, 0
	v_cmp_ne_u64_e32 vcc, 12, v[10:11]
	v_mov_b64_e32 v[40:41], 0
	v_mov_b64_e32 v[56:57], 0
	;; [unrolled: 1-line block ×6, first 2 shown]
	s_and_saveexec_b64 s[2:3], vcc
	s_cbranch_execz .LBB55_31
; %bb.28:
	v_lshrrev_b32_e32 v1, 2, v44
	v_add_u32_e32 v1, 1, v1
	v_and_b32_e32 v1, 3, v1
	v_sub_co_u32_e32 v48, vcc, 0, v1
	v_lshl_add_u64 v[46:47], v[30:31], 3, s[8:9]
	s_nop 0
	v_subb_co_u32_e64 v49, s[12:13], 0, 0, vcc
	s_mov_b64 s[10:11], 0
	v_mov_b64_e32 v[38:39], 0
	s_mov_b64 s[12:13], 0x400
	v_mov_b64_e32 v[52:53], 0
	v_mov_b64_e32 v[58:59], 0
	;; [unrolled: 1-line block ×7, first 2 shown]
.LBB55_29:                              ; =>This Inner Loop Header: Depth=1
	global_load_dwordx2 v[50:51], v[46:47], off
	global_load_dwordx4 v[10:13], v[34:35], off offset:48
	global_load_dwordx4 v[14:17], v[34:35], off offset:32
	;; [unrolled: 1-line block ×3, first 2 shown]
	global_load_dwordx4 v[22:25], v[34:35], off
	global_load_dwordx4 v[60:63], v[34:35], off offset:112
	global_load_dwordx4 v[64:67], v[34:35], off offset:96
	;; [unrolled: 1-line block ×12, first 2 shown]
	v_lshl_add_u64 v[48:49], v[48:49], 0, 1
	v_lshl_add_u64 v[34:35], v[34:35], 0, s[12:13]
	;; [unrolled: 1-line block ×4, first 2 shown]
	s_waitcnt vmcnt(16)
	v_sub_co_u32_e32 v50, vcc, v50, v28
	s_nop 1
	v_subb_co_u32_e32 v51, vcc, v51, v29, vcc
	v_lshlrev_b64 v[50:51], 6, v[50:51]
	v_lshl_add_u64 v[50:51], s[4:5], 0, v[50:51]
	global_load_dwordx4 v[108:111], v[50:51], off
	global_load_dwordx4 v[112:115], v[50:51], off offset:16
	global_load_dwordx4 v[116:119], v[50:51], off offset:32
	;; [unrolled: 1-line block ×3, first 2 shown]
	v_cmp_eq_u64_e32 vcc, 0, v[48:49]
	s_or_b64 s[10:11], vcc, s[10:11]
	s_waitcnt vmcnt(3)
	v_fmac_f64_e32 v[52:53], v[22:23], v[108:109]
	v_fmac_f64_e32 v[38:39], v[24:25], v[108:109]
	v_fmac_f64_e32 v[54:55], v[18:19], v[108:109]
	v_fmac_f64_e32 v[42:43], v[20:21], v[108:109]
	v_fmac_f64_e32 v[56:57], v[14:15], v[108:109]
	v_fmac_f64_e32 v[40:41], v[16:17], v[108:109]
	v_fmac_f64_e32 v[58:59], v[10:11], v[108:109]
	v_fmac_f64_e32 v[36:37], v[12:13], v[108:109]
	v_fma_f64 v[24:25], -v[24:25], v[110:111], v[52:53]
	v_fmac_f64_e32 v[38:39], v[22:23], v[110:111]
	v_fma_f64 v[20:21], -v[20:21], v[110:111], v[54:55]
	v_fmac_f64_e32 v[42:43], v[18:19], v[110:111]
	v_fma_f64 v[16:17], -v[16:17], v[110:111], v[56:57]
	v_fmac_f64_e32 v[40:41], v[14:15], v[110:111]
	v_fma_f64 v[12:13], -v[12:13], v[110:111], v[58:59]
	v_fmac_f64_e32 v[36:37], v[10:11], v[110:111]
	s_waitcnt vmcnt(2)
	v_fmac_f64_e32 v[24:25], v[72:73], v[112:113]
	v_fmac_f64_e32 v[38:39], v[74:75], v[112:113]
	v_fmac_f64_e32 v[20:21], v[68:69], v[112:113]
	v_fmac_f64_e32 v[42:43], v[70:71], v[112:113]
	v_fmac_f64_e32 v[16:17], v[64:65], v[112:113]
	v_fmac_f64_e32 v[40:41], v[66:67], v[112:113]
	v_fmac_f64_e32 v[12:13], v[60:61], v[112:113]
	v_fmac_f64_e32 v[36:37], v[62:63], v[112:113]
	v_fma_f64 v[10:11], -v[74:75], v[114:115], v[24:25]
	v_fmac_f64_e32 v[38:39], v[72:73], v[114:115]
	v_fma_f64 v[14:15], -v[70:71], v[114:115], v[20:21]
	v_fmac_f64_e32 v[42:43], v[68:69], v[114:115]
	v_fma_f64 v[16:17], -v[66:67], v[114:115], v[16:17]
	v_fmac_f64_e32 v[40:41], v[64:65], v[114:115]
	v_fma_f64 v[12:13], -v[62:63], v[114:115], v[12:13]
	v_fmac_f64_e32 v[36:37], v[60:61], v[114:115]
	;; [unrolled: 17-line block ×4, first 2 shown]
	s_andn2_b64 exec, exec, s[10:11]
	s_cbranch_execnz .LBB55_29
; %bb.30:
	s_or_b64 exec, exec, s[10:11]
.LBB55_31:
	s_or_b64 exec, exec, s[2:3]
	v_cmp_lt_u64_e32 vcc, 11, v[44:45]
	s_and_saveexec_b64 s[2:3], vcc
	s_cbranch_execz .LBB55_35
; %bb.32:
	v_lshl_add_u64 v[10:11], v[30:31], 3, s[8:9]
	v_lshl_add_u64 v[18:19], v[10:11], 0, 64
	s_mov_b64 s[8:9], 0
	s_mov_b64 s[10:11], 0x1000
	;; [unrolled: 1-line block ×3, first 2 shown]
.LBB55_33:                              ; =>This Inner Loop Header: Depth=1
	global_load_dwordx2 v[10:11], v[18:19], off offset:-64
	global_load_dwordx4 v[14:17], v[34:35], off offset:48
	global_load_dwordx4 v[20:23], v[34:35], off offset:32
	;; [unrolled: 1-line block ×3, first 2 shown]
	global_load_dwordx4 v[48:51], v[34:35], off
	v_lshl_add_u64 v[30:31], v[30:31], 0, 16
	s_waitcnt vmcnt(4)
	v_sub_co_u32_e32 v10, vcc, v10, v28
	s_nop 1
	v_subb_co_u32_e32 v11, vcc, v11, v29, vcc
	v_lshlrev_b64 v[10:11], 6, v[10:11]
	v_lshl_add_u64 v[24:25], s[4:5], 0, v[10:11]
	global_load_dwordx4 v[10:13], v[24:25], off offset:48
	global_load_dwordx4 v[60:63], v[24:25], off offset:32
	;; [unrolled: 1-line block ×3, first 2 shown]
	global_load_dwordx4 v[68:71], v[24:25], off
	s_waitcnt vmcnt(0)
	v_fmac_f64_e32 v[52:53], v[48:49], v[68:69]
	v_fmac_f64_e32 v[38:39], v[50:51], v[68:69]
	;; [unrolled: 1-line block ×8, first 2 shown]
	v_fma_f64 v[24:25], -v[50:51], v[70:71], v[52:53]
	v_fmac_f64_e32 v[38:39], v[48:49], v[70:71]
	v_fma_f64 v[52:53], -v[46:47], v[70:71], v[54:55]
	v_fmac_f64_e32 v[42:43], v[44:45], v[70:71]
	v_fma_f64 v[54:55], -v[22:23], v[70:71], v[56:57]
	v_fmac_f64_e32 v[40:41], v[20:21], v[70:71]
	v_fma_f64 v[56:57], -v[16:17], v[70:71], v[58:59]
	v_fmac_f64_e32 v[36:37], v[14:15], v[70:71]
	global_load_dwordx4 v[14:17], v[34:35], off offset:112
	global_load_dwordx4 v[20:23], v[34:35], off offset:96
	global_load_dwordx4 v[44:47], v[34:35], off offset:80
	global_load_dwordx4 v[48:51], v[34:35], off offset:64
	s_waitcnt vmcnt(3)
	v_fmac_f64_e32 v[56:57], v[14:15], v[64:65]
	s_waitcnt vmcnt(2)
	v_fmac_f64_e32 v[54:55], v[20:21], v[64:65]
	s_waitcnt vmcnt(1)
	v_fmac_f64_e32 v[52:53], v[44:45], v[64:65]
	s_waitcnt vmcnt(0)
	v_fmac_f64_e32 v[24:25], v[48:49], v[64:65]
	v_fmac_f64_e32 v[38:39], v[50:51], v[64:65]
	v_fmac_f64_e32 v[42:43], v[46:47], v[64:65]
	v_fmac_f64_e32 v[40:41], v[22:23], v[64:65]
	v_fmac_f64_e32 v[36:37], v[16:17], v[64:65]
	v_fma_f64 v[24:25], -v[50:51], v[66:67], v[24:25]
	v_fmac_f64_e32 v[38:39], v[48:49], v[66:67]
	v_fma_f64 v[52:53], -v[46:47], v[66:67], v[52:53]
	v_fmac_f64_e32 v[42:43], v[44:45], v[66:67]
	v_fma_f64 v[54:55], -v[22:23], v[66:67], v[54:55]
	v_fmac_f64_e32 v[40:41], v[20:21], v[66:67]
	v_fma_f64 v[56:57], -v[16:17], v[66:67], v[56:57]
	v_fmac_f64_e32 v[36:37], v[14:15], v[66:67]
	global_load_dwordx4 v[14:17], v[34:35], off offset:176
	global_load_dwordx4 v[20:23], v[34:35], off offset:160
	global_load_dwordx4 v[44:47], v[34:35], off offset:144
	global_load_dwordx4 v[48:51], v[34:35], off offset:128
	s_waitcnt vmcnt(3)
	v_fmac_f64_e32 v[56:57], v[14:15], v[60:61]
	s_waitcnt vmcnt(2)
	v_fmac_f64_e32 v[54:55], v[20:21], v[60:61]
	s_waitcnt vmcnt(1)
	v_fmac_f64_e32 v[52:53], v[44:45], v[60:61]
	s_waitcnt vmcnt(0)
	v_fmac_f64_e32 v[24:25], v[48:49], v[60:61]
	v_fmac_f64_e32 v[38:39], v[50:51], v[60:61]
	v_fmac_f64_e32 v[42:43], v[46:47], v[60:61]
	v_fmac_f64_e32 v[40:41], v[22:23], v[60:61]
	v_fmac_f64_e32 v[36:37], v[16:17], v[60:61]
	;; [unrolled: 24-line block ×3, first 2 shown]
	global_load_dwordx2 v[10:11], v[18:19], off offset:-32
	v_fmac_f64_e32 v[38:39], v[48:49], v[12:13]
	v_fma_f64 v[24:25], -v[50:51], v[12:13], v[24:25]
	v_fma_f64 v[64:65], -v[46:47], v[12:13], v[52:53]
	v_fmac_f64_e32 v[42:43], v[44:45], v[12:13]
	v_fma_f64 v[66:67], -v[22:23], v[12:13], v[54:55]
	v_fmac_f64_e32 v[40:41], v[20:21], v[12:13]
	;; [unrolled: 2-line block ×3, first 2 shown]
	s_waitcnt vmcnt(0)
	v_sub_co_u32_e32 v48, vcc, v10, v28
	s_nop 1
	v_subb_co_u32_e32 v49, vcc, v11, v29, vcc
	v_lshlrev_b64 v[48:49], 6, v[48:49]
	v_lshl_add_u64 v[70:71], s[4:5], 0, v[48:49]
	global_load_dwordx4 v[10:13], v[34:35], off offset:1072
	global_load_dwordx4 v[14:17], v[34:35], off offset:1056
	;; [unrolled: 1-line block ×7, first 2 shown]
	global_load_dwordx4 v[60:63], v[70:71], off
	s_waitcnt vmcnt(0)
	v_fmac_f64_e32 v[24:25], v[44:45], v[60:61]
	v_fmac_f64_e32 v[38:39], v[46:47], v[60:61]
	;; [unrolled: 1-line block ×8, first 2 shown]
	v_fma_f64 v[24:25], -v[46:47], v[62:63], v[24:25]
	v_fmac_f64_e32 v[38:39], v[44:45], v[62:63]
	v_fma_f64 v[64:65], -v[22:23], v[62:63], v[64:65]
	v_fmac_f64_e32 v[42:43], v[20:21], v[62:63]
	;; [unrolled: 2-line block ×4, first 2 shown]
	global_load_dwordx4 v[10:13], v[34:35], off offset:1136
	global_load_dwordx4 v[14:17], v[34:35], off offset:1120
	;; [unrolled: 1-line block ×4, first 2 shown]
	s_waitcnt vmcnt(3)
	v_fmac_f64_e32 v[68:69], v[10:11], v[56:57]
	s_waitcnt vmcnt(2)
	v_fmac_f64_e32 v[66:67], v[14:15], v[56:57]
	;; [unrolled: 2-line block ×4, first 2 shown]
	v_fmac_f64_e32 v[38:39], v[46:47], v[56:57]
	v_fmac_f64_e32 v[42:43], v[22:23], v[56:57]
	;; [unrolled: 1-line block ×4, first 2 shown]
	v_fma_f64 v[24:25], -v[46:47], v[58:59], v[24:25]
	v_fmac_f64_e32 v[38:39], v[44:45], v[58:59]
	v_fma_f64 v[60:61], -v[22:23], v[58:59], v[64:65]
	v_fmac_f64_e32 v[42:43], v[20:21], v[58:59]
	;; [unrolled: 2-line block ×4, first 2 shown]
	global_load_dwordx4 v[10:13], v[34:35], off offset:1200
	global_load_dwordx4 v[14:17], v[34:35], off offset:1184
	;; [unrolled: 1-line block ×4, first 2 shown]
	s_waitcnt vmcnt(3)
	v_fmac_f64_e32 v[64:65], v[10:11], v[52:53]
	s_waitcnt vmcnt(2)
	v_fmac_f64_e32 v[62:63], v[14:15], v[52:53]
	;; [unrolled: 2-line block ×4, first 2 shown]
	v_fmac_f64_e32 v[38:39], v[46:47], v[52:53]
	v_fmac_f64_e32 v[42:43], v[22:23], v[52:53]
	;; [unrolled: 1-line block ×4, first 2 shown]
	v_fma_f64 v[24:25], -v[46:47], v[54:55], v[24:25]
	v_fmac_f64_e32 v[38:39], v[44:45], v[54:55]
	v_fma_f64 v[56:57], -v[22:23], v[54:55], v[60:61]
	v_fmac_f64_e32 v[42:43], v[20:21], v[54:55]
	;; [unrolled: 2-line block ×4, first 2 shown]
	global_load_dwordx4 v[10:13], v[34:35], off offset:1264
	global_load_dwordx4 v[14:17], v[34:35], off offset:1248
	;; [unrolled: 1-line block ×4, first 2 shown]
	s_waitcnt vmcnt(3)
	v_fmac_f64_e32 v[36:37], v[12:13], v[48:49]
	v_fmac_f64_e32 v[60:61], v[10:11], v[48:49]
	;; [unrolled: 1-line block ×3, first 2 shown]
	global_load_dwordx2 v[10:11], v[18:19], off
	s_waitcnt vmcnt(1)
	v_fmac_f64_e32 v[24:25], v[44:45], v[48:49]
	v_fmac_f64_e32 v[38:39], v[46:47], v[48:49]
	;; [unrolled: 1-line block ×6, first 2 shown]
	v_fma_f64 v[24:25], -v[46:47], v[50:51], v[24:25]
	v_fmac_f64_e32 v[38:39], v[44:45], v[50:51]
	v_fma_f64 v[64:65], -v[22:23], v[50:51], v[56:57]
	v_fmac_f64_e32 v[42:43], v[20:21], v[50:51]
	v_fma_f64 v[66:67], -v[16:17], v[50:51], v[58:59]
	v_fmac_f64_e32 v[40:41], v[14:15], v[50:51]
	v_fma_f64 v[68:69], -v[12:13], v[50:51], v[60:61]
	s_waitcnt vmcnt(0)
	v_sub_co_u32_e32 v48, vcc, v10, v28
	s_nop 1
	v_subb_co_u32_e32 v49, vcc, v11, v29, vcc
	v_lshlrev_b64 v[48:49], 6, v[48:49]
	v_lshl_add_u64 v[70:71], s[4:5], 0, v[48:49]
	global_load_dwordx4 v[10:13], v[34:35], off offset:2096
	global_load_dwordx4 v[14:17], v[34:35], off offset:2080
	;; [unrolled: 1-line block ×7, first 2 shown]
	global_load_dwordx4 v[60:63], v[70:71], off
	s_waitcnt vmcnt(0)
	v_fmac_f64_e32 v[24:25], v[44:45], v[60:61]
	v_fmac_f64_e32 v[38:39], v[46:47], v[60:61]
	;; [unrolled: 1-line block ×8, first 2 shown]
	v_fma_f64 v[24:25], -v[46:47], v[62:63], v[24:25]
	v_fmac_f64_e32 v[38:39], v[44:45], v[62:63]
	v_fma_f64 v[64:65], -v[22:23], v[62:63], v[64:65]
	v_fmac_f64_e32 v[42:43], v[20:21], v[62:63]
	;; [unrolled: 2-line block ×4, first 2 shown]
	global_load_dwordx4 v[10:13], v[34:35], off offset:2160
	global_load_dwordx4 v[14:17], v[34:35], off offset:2144
	;; [unrolled: 1-line block ×4, first 2 shown]
	s_waitcnt vmcnt(3)
	v_fmac_f64_e32 v[68:69], v[10:11], v[56:57]
	s_waitcnt vmcnt(2)
	v_fmac_f64_e32 v[66:67], v[14:15], v[56:57]
	;; [unrolled: 2-line block ×4, first 2 shown]
	v_fmac_f64_e32 v[38:39], v[46:47], v[56:57]
	v_fmac_f64_e32 v[42:43], v[22:23], v[56:57]
	;; [unrolled: 1-line block ×4, first 2 shown]
	v_fma_f64 v[24:25], -v[46:47], v[58:59], v[24:25]
	v_fmac_f64_e32 v[38:39], v[44:45], v[58:59]
	v_fma_f64 v[60:61], -v[22:23], v[58:59], v[64:65]
	v_fmac_f64_e32 v[42:43], v[20:21], v[58:59]
	;; [unrolled: 2-line block ×4, first 2 shown]
	global_load_dwordx4 v[10:13], v[34:35], off offset:2224
	global_load_dwordx4 v[14:17], v[34:35], off offset:2208
	;; [unrolled: 1-line block ×4, first 2 shown]
	s_waitcnt vmcnt(3)
	v_fmac_f64_e32 v[64:65], v[10:11], v[52:53]
	s_waitcnt vmcnt(2)
	v_fmac_f64_e32 v[62:63], v[14:15], v[52:53]
	;; [unrolled: 2-line block ×4, first 2 shown]
	v_fmac_f64_e32 v[38:39], v[46:47], v[52:53]
	v_fmac_f64_e32 v[40:41], v[16:17], v[52:53]
	;; [unrolled: 1-line block ×3, first 2 shown]
	v_fma_f64 v[56:57], -v[46:47], v[54:55], v[24:25]
	v_fmac_f64_e32 v[38:39], v[44:45], v[54:55]
	v_fma_f64 v[58:59], -v[22:23], v[54:55], v[60:61]
	v_fmac_f64_e32 v[42:43], v[22:23], v[52:53]
	;; [unrolled: 2-line block ×4, first 2 shown]
	global_load_dwordx4 v[10:13], v[34:35], off offset:2288
	global_load_dwordx4 v[14:17], v[34:35], off offset:2272
	;; [unrolled: 1-line block ×4, first 2 shown]
	v_fmac_f64_e32 v[42:43], v[20:21], v[54:55]
	s_waitcnt vmcnt(3)
	v_fmac_f64_e32 v[36:37], v[12:13], v[48:49]
	v_fmac_f64_e32 v[62:63], v[10:11], v[48:49]
	;; [unrolled: 1-line block ×3, first 2 shown]
	global_load_dwordx2 v[10:11], v[18:19], off offset:32
	s_waitcnt vmcnt(1)
	v_fmac_f64_e32 v[56:57], v[22:23], v[48:49]
	v_fmac_f64_e32 v[38:39], v[24:25], v[48:49]
	;; [unrolled: 1-line block ×6, first 2 shown]
	v_fma_f64 v[20:21], -v[24:25], v[50:51], v[56:57]
	v_fmac_f64_e32 v[38:39], v[22:23], v[50:51]
	v_fma_f64 v[22:23], -v[46:47], v[50:51], v[58:59]
	v_fmac_f64_e32 v[42:43], v[44:45], v[50:51]
	;; [unrolled: 2-line block ×3, first 2 shown]
	v_fma_f64 v[44:45], -v[12:13], v[50:51], v[62:63]
	global_load_dwordx4 v[46:49], v[34:35], off offset:3120
	global_load_dwordx4 v[50:53], v[34:35], off offset:3104
	;; [unrolled: 1-line block ×4, first 2 shown]
	v_lshl_add_u64 v[18:19], v[18:19], 0, s[12:13]
	s_waitcnt vmcnt(4)
	v_sub_co_u32_e32 v10, vcc, v10, v28
	s_nop 1
	v_subb_co_u32_e32 v11, vcc, v11, v29, vcc
	v_lshlrev_b64 v[10:11], 6, v[10:11]
	v_lshl_add_u64 v[70:71], s[4:5], 0, v[10:11]
	global_load_dwordx4 v[10:13], v[70:71], off offset:48
	global_load_dwordx4 v[14:17], v[70:71], off offset:32
	;; [unrolled: 1-line block ×3, first 2 shown]
	global_load_dwordx4 v[66:69], v[70:71], off
	v_cmp_ge_i64_e32 vcc, v[30:31], v[32:33]
	s_or_b64 s[8:9], vcc, s[8:9]
	s_waitcnt vmcnt(0)
	v_fmac_f64_e32 v[20:21], v[58:59], v[66:67]
	v_fmac_f64_e32 v[38:39], v[60:61], v[66:67]
	;; [unrolled: 1-line block ×8, first 2 shown]
	v_fma_f64 v[70:71], -v[60:61], v[68:69], v[20:21]
	v_fmac_f64_e32 v[38:39], v[58:59], v[68:69]
	v_fma_f64 v[58:59], -v[56:57], v[68:69], v[22:23]
	v_fmac_f64_e32 v[42:43], v[54:55], v[68:69]
	;; [unrolled: 2-line block ×4, first 2 shown]
	global_load_dwordx4 v[20:23], v[34:35], off offset:3184
	global_load_dwordx4 v[44:47], v[34:35], off offset:3168
	global_load_dwordx4 v[48:51], v[34:35], off offset:3152
	global_load_dwordx4 v[52:55], v[34:35], off offset:3136
	s_waitcnt vmcnt(3)
	v_fmac_f64_e32 v[56:57], v[20:21], v[62:63]
	s_waitcnt vmcnt(2)
	v_fmac_f64_e32 v[24:25], v[44:45], v[62:63]
	;; [unrolled: 2-line block ×4, first 2 shown]
	v_fmac_f64_e32 v[38:39], v[54:55], v[62:63]
	v_fmac_f64_e32 v[42:43], v[50:51], v[62:63]
	;; [unrolled: 1-line block ×4, first 2 shown]
	v_fma_f64 v[60:61], -v[54:55], v[64:65], v[70:71]
	v_fmac_f64_e32 v[38:39], v[52:53], v[64:65]
	v_fma_f64 v[58:59], -v[50:51], v[64:65], v[58:59]
	v_fmac_f64_e32 v[42:43], v[48:49], v[64:65]
	;; [unrolled: 2-line block ×4, first 2 shown]
	global_load_dwordx4 v[20:23], v[34:35], off offset:3248
	global_load_dwordx4 v[44:47], v[34:35], off offset:3232
	;; [unrolled: 1-line block ×4, first 2 shown]
	s_waitcnt vmcnt(3)
	v_fmac_f64_e32 v[56:57], v[20:21], v[14:15]
	s_waitcnt vmcnt(2)
	v_fmac_f64_e32 v[24:25], v[44:45], v[14:15]
	;; [unrolled: 2-line block ×4, first 2 shown]
	v_fmac_f64_e32 v[38:39], v[54:55], v[14:15]
	v_fmac_f64_e32 v[42:43], v[50:51], v[14:15]
	;; [unrolled: 1-line block ×4, first 2 shown]
	v_fma_f64 v[60:61], -v[54:55], v[16:17], v[60:61]
	v_fmac_f64_e32 v[38:39], v[52:53], v[16:17]
	v_fma_f64 v[54:55], -v[50:51], v[16:17], v[58:59]
	v_fmac_f64_e32 v[42:43], v[48:49], v[16:17]
	;; [unrolled: 2-line block ×4, first 2 shown]
	global_load_dwordx4 v[14:17], v[34:35], off offset:3312
	global_load_dwordx4 v[20:23], v[34:35], off offset:3296
	;; [unrolled: 1-line block ×4, first 2 shown]
	v_lshl_add_u64 v[34:35], v[34:35], 0, s[10:11]
	s_waitcnt vmcnt(3)
	v_fmac_f64_e32 v[58:59], v[14:15], v[10:11]
	s_waitcnt vmcnt(2)
	v_fmac_f64_e32 v[24:25], v[20:21], v[10:11]
	;; [unrolled: 2-line block ×4, first 2 shown]
	v_fmac_f64_e32 v[38:39], v[50:51], v[10:11]
	v_fmac_f64_e32 v[42:43], v[46:47], v[10:11]
	;; [unrolled: 1-line block ×4, first 2 shown]
	v_fma_f64 v[52:53], -v[50:51], v[12:13], v[60:61]
	v_fmac_f64_e32 v[38:39], v[48:49], v[12:13]
	v_fma_f64 v[54:55], -v[46:47], v[12:13], v[54:55]
	v_fmac_f64_e32 v[42:43], v[44:45], v[12:13]
	;; [unrolled: 2-line block ×4, first 2 shown]
	s_andn2_b64 exec, exec, s[8:9]
	s_cbranch_execnz .LBB55_33
; %bb.34:
	s_or_b64 exec, exec, s[8:9]
.LBB55_35:
	s_or_b64 exec, exec, s[2:3]
.LBB55_36:
	s_or_b64 exec, exec, s[6:7]
.LBB55_37:
	v_mov_b32_dpp v14, v38 row_shr:1 row_mask:0xf bank_mask:0xf
	v_mov_b32_dpp v15, v39 row_shr:1 row_mask:0xf bank_mask:0xf
	;; [unrolled: 1-line block ×6, first 2 shown]
	v_add_f64 v[14:15], v[38:39], v[14:15]
	v_mov_b32_dpp v18, v54 row_shr:1 row_mask:0xf bank_mask:0xf
	v_mov_b32_dpp v19, v55 row_shr:1 row_mask:0xf bank_mask:0xf
	v_add_f64 v[22:23], v[42:43], v[22:23]
	v_mov_b32_dpp v28, v56 row_shr:1 row_mask:0xf bank_mask:0xf
	v_mov_b32_dpp v29, v57 row_shr:1 row_mask:0xf bank_mask:0xf
	;; [unrolled: 1-line block ×8, first 2 shown]
	v_add_f64 v[10:11], v[52:53], v[10:11]
	v_add_f64 v[18:19], v[54:55], v[18:19]
	;; [unrolled: 1-line block ×6, first 2 shown]
	v_mov_b32_dpp v12, v10 row_shr:2 row_mask:0xf bank_mask:0xf
	v_mov_b32_dpp v13, v11 row_shr:2 row_mask:0xf bank_mask:0xf
	v_mov_b32_dpp v16, v14 row_shr:2 row_mask:0xf bank_mask:0xf
	v_mov_b32_dpp v17, v15 row_shr:2 row_mask:0xf bank_mask:0xf
	v_mov_b32_dpp v20, v18 row_shr:2 row_mask:0xf bank_mask:0xf
	v_mov_b32_dpp v21, v19 row_shr:2 row_mask:0xf bank_mask:0xf
	v_mov_b32_dpp v24, v22 row_shr:2 row_mask:0xf bank_mask:0xf
	v_mov_b32_dpp v25, v23 row_shr:2 row_mask:0xf bank_mask:0xf
	v_mov_b32_dpp v30, v28 row_shr:2 row_mask:0xf bank_mask:0xf
	v_mov_b32_dpp v31, v29 row_shr:2 row_mask:0xf bank_mask:0xf
	v_mov_b32_dpp v34, v32 row_shr:2 row_mask:0xf bank_mask:0xf
	v_mov_b32_dpp v35, v33 row_shr:2 row_mask:0xf bank_mask:0xf
	v_mov_b32_dpp v40, v38 row_shr:2 row_mask:0xf bank_mask:0xf
	v_mov_b32_dpp v41, v39 row_shr:2 row_mask:0xf bank_mask:0xf
	v_mov_b32_dpp v42, v36 row_shr:2 row_mask:0xf bank_mask:0xf
	v_mov_b32_dpp v43, v37 row_shr:2 row_mask:0xf bank_mask:0xf
	v_cmp_eq_u32_e32 vcc, 3, v0
	s_and_b64 exec, exec, vcc
	s_cbranch_execz .LBB55_8
; %bb.38:
	s_load_dwordx2 s[2:3], s[0:1], 0x68
	v_add_f64 v[0:1], v[10:11], v[12:13]
	v_add_f64 v[10:11], v[14:15], v[16:17]
	v_add_f64 v[12:13], v[22:23], v[24:25]
	v_add_f64 v[16:17], v[32:33], v[34:35]
	v_add_f64 v[32:33], v[36:37], v[42:43]
	v_add_f64 v[44:45], v[18:19], v[20:21]
	v_add_f64 v[28:29], v[28:29], v[30:31]
	v_add_f64 v[30:31], v[38:39], v[40:41]
	v_cmp_eq_f64_e32 vcc, 0, v[2:3]
	v_cmp_eq_f64_e64 s[0:1], 0, v[4:5]
	v_mul_f64 v[22:23], v[10:11], -v[8:9]
	v_mul_f64 v[24:25], v[6:7], v[10:11]
	v_mul_f64 v[18:19], v[12:13], -v[8:9]
	v_mul_f64 v[20:21], v[6:7], v[12:13]
	;; [unrolled: 2-line block ×4, first 2 shown]
	s_and_b64 s[0:1], vcc, s[0:1]
	v_fmac_f64_e32 v[22:23], v[6:7], v[0:1]
	v_fmac_f64_e32 v[24:25], v[8:9], v[0:1]
	v_lshlrev_b64 v[0:1], 6, v[26:27]
	v_fmac_f64_e32 v[18:19], v[6:7], v[44:45]
	v_fmac_f64_e32 v[20:21], v[8:9], v[44:45]
	;; [unrolled: 1-line block ×6, first 2 shown]
	s_and_saveexec_b64 s[4:5], s[0:1]
	s_xor_b64 s[0:1], exec, s[4:5]
	s_cbranch_execz .LBB55_40
; %bb.39:
	s_waitcnt lgkmcnt(0)
	v_lshl_add_u64 v[0:1], s[2:3], 0, v[0:1]
	global_store_dwordx4 v[0:1], v[22:25], off
	global_store_dwordx4 v[0:1], v[18:21], off offset:16
	global_store_dwordx4 v[0:1], v[14:17], off offset:32
	;; [unrolled: 1-line block ×3, first 2 shown]
                                        ; implicit-def: $vgpr4_vgpr5
                                        ; implicit-def: $vgpr22_vgpr23
                                        ; implicit-def: $vgpr0_vgpr1
                                        ; implicit-def: $vgpr18_vgpr19
                                        ; implicit-def: $vgpr14_vgpr15
                                        ; implicit-def: $vgpr10_vgpr11
.LBB55_40:
	s_andn2_saveexec_b64 s[0:1], s[0:1]
	s_cbranch_execz .LBB55_8
; %bb.41:
	s_waitcnt lgkmcnt(0)
	v_lshl_add_u64 v[0:1], s[2:3], 0, v[0:1]
	global_load_dwordx4 v[6:9], v[0:1], off
	global_load_dwordx4 v[26:29], v[0:1], off offset:16
	global_load_dwordx4 v[30:33], v[0:1], off offset:32
	;; [unrolled: 1-line block ×3, first 2 shown]
	s_waitcnt vmcnt(3)
	v_fmac_f64_e32 v[22:23], v[2:3], v[6:7]
	v_fmac_f64_e32 v[24:25], v[4:5], v[6:7]
	s_waitcnt vmcnt(2)
	v_fmac_f64_e32 v[18:19], v[2:3], v[26:27]
	v_fmac_f64_e32 v[20:21], v[4:5], v[26:27]
	;; [unrolled: 3-line block ×4, first 2 shown]
	v_fma_f64 v[22:23], -v[4:5], v[8:9], v[22:23]
	v_fmac_f64_e32 v[24:25], v[2:3], v[8:9]
	v_fma_f64 v[18:19], -v[4:5], v[28:29], v[18:19]
	v_fmac_f64_e32 v[20:21], v[2:3], v[28:29]
	;; [unrolled: 2-line block ×4, first 2 shown]
	global_store_dwordx4 v[0:1], v[22:25], off
	global_store_dwordx4 v[0:1], v[18:21], off offset:16
	global_store_dwordx4 v[0:1], v[14:17], off offset:32
	;; [unrolled: 1-line block ×3, first 2 shown]
	s_endpgm
	.section	.rodata,"a",@progbits
	.p2align	6, 0x0
	.amdhsa_kernel _ZN9rocsparseL18bsrxmvn_4x4_kernelILj128ELj4E21rocsparse_complex_numIdEllS2_S2_S2_EEvT3_20rocsparse_direction_NS_24const_host_device_scalarIT1_EES3_PKS3_PKT2_SC_S9_PKT4_PKT5_S7_PT6_21rocsparse_index_base_b
		.amdhsa_group_segment_fixed_size 0
		.amdhsa_private_segment_fixed_size 0
		.amdhsa_kernarg_size 120
		.amdhsa_user_sgpr_count 2
		.amdhsa_user_sgpr_dispatch_ptr 0
		.amdhsa_user_sgpr_queue_ptr 0
		.amdhsa_user_sgpr_kernarg_segment_ptr 1
		.amdhsa_user_sgpr_dispatch_id 0
		.amdhsa_user_sgpr_kernarg_preload_length 0
		.amdhsa_user_sgpr_kernarg_preload_offset 0
		.amdhsa_user_sgpr_private_segment_size 0
		.amdhsa_uses_dynamic_stack 0
		.amdhsa_enable_private_segment 0
		.amdhsa_system_sgpr_workgroup_id_x 1
		.amdhsa_system_sgpr_workgroup_id_y 0
		.amdhsa_system_sgpr_workgroup_id_z 0
		.amdhsa_system_sgpr_workgroup_info 0
		.amdhsa_system_vgpr_workitem_id 0
		.amdhsa_next_free_vgpr 124
		.amdhsa_next_free_sgpr 18
		.amdhsa_accum_offset 124
		.amdhsa_reserve_vcc 1
		.amdhsa_float_round_mode_32 0
		.amdhsa_float_round_mode_16_64 0
		.amdhsa_float_denorm_mode_32 3
		.amdhsa_float_denorm_mode_16_64 3
		.amdhsa_dx10_clamp 1
		.amdhsa_ieee_mode 1
		.amdhsa_fp16_overflow 0
		.amdhsa_tg_split 0
		.amdhsa_exception_fp_ieee_invalid_op 0
		.amdhsa_exception_fp_denorm_src 0
		.amdhsa_exception_fp_ieee_div_zero 0
		.amdhsa_exception_fp_ieee_overflow 0
		.amdhsa_exception_fp_ieee_underflow 0
		.amdhsa_exception_fp_ieee_inexact 0
		.amdhsa_exception_int_div_zero 0
	.end_amdhsa_kernel
	.section	.text._ZN9rocsparseL18bsrxmvn_4x4_kernelILj128ELj4E21rocsparse_complex_numIdEllS2_S2_S2_EEvT3_20rocsparse_direction_NS_24const_host_device_scalarIT1_EES3_PKS3_PKT2_SC_S9_PKT4_PKT5_S7_PT6_21rocsparse_index_base_b,"axG",@progbits,_ZN9rocsparseL18bsrxmvn_4x4_kernelILj128ELj4E21rocsparse_complex_numIdEllS2_S2_S2_EEvT3_20rocsparse_direction_NS_24const_host_device_scalarIT1_EES3_PKS3_PKT2_SC_S9_PKT4_PKT5_S7_PT6_21rocsparse_index_base_b,comdat
.Lfunc_end55:
	.size	_ZN9rocsparseL18bsrxmvn_4x4_kernelILj128ELj4E21rocsparse_complex_numIdEllS2_S2_S2_EEvT3_20rocsparse_direction_NS_24const_host_device_scalarIT1_EES3_PKS3_PKT2_SC_S9_PKT4_PKT5_S7_PT6_21rocsparse_index_base_b, .Lfunc_end55-_ZN9rocsparseL18bsrxmvn_4x4_kernelILj128ELj4E21rocsparse_complex_numIdEllS2_S2_S2_EEvT3_20rocsparse_direction_NS_24const_host_device_scalarIT1_EES3_PKS3_PKT2_SC_S9_PKT4_PKT5_S7_PT6_21rocsparse_index_base_b
                                        ; -- End function
	.set _ZN9rocsparseL18bsrxmvn_4x4_kernelILj128ELj4E21rocsparse_complex_numIdEllS2_S2_S2_EEvT3_20rocsparse_direction_NS_24const_host_device_scalarIT1_EES3_PKS3_PKT2_SC_S9_PKT4_PKT5_S7_PT6_21rocsparse_index_base_b.num_vgpr, 124
	.set _ZN9rocsparseL18bsrxmvn_4x4_kernelILj128ELj4E21rocsparse_complex_numIdEllS2_S2_S2_EEvT3_20rocsparse_direction_NS_24const_host_device_scalarIT1_EES3_PKS3_PKT2_SC_S9_PKT4_PKT5_S7_PT6_21rocsparse_index_base_b.num_agpr, 0
	.set _ZN9rocsparseL18bsrxmvn_4x4_kernelILj128ELj4E21rocsparse_complex_numIdEllS2_S2_S2_EEvT3_20rocsparse_direction_NS_24const_host_device_scalarIT1_EES3_PKS3_PKT2_SC_S9_PKT4_PKT5_S7_PT6_21rocsparse_index_base_b.numbered_sgpr, 18
	.set _ZN9rocsparseL18bsrxmvn_4x4_kernelILj128ELj4E21rocsparse_complex_numIdEllS2_S2_S2_EEvT3_20rocsparse_direction_NS_24const_host_device_scalarIT1_EES3_PKS3_PKT2_SC_S9_PKT4_PKT5_S7_PT6_21rocsparse_index_base_b.num_named_barrier, 0
	.set _ZN9rocsparseL18bsrxmvn_4x4_kernelILj128ELj4E21rocsparse_complex_numIdEllS2_S2_S2_EEvT3_20rocsparse_direction_NS_24const_host_device_scalarIT1_EES3_PKS3_PKT2_SC_S9_PKT4_PKT5_S7_PT6_21rocsparse_index_base_b.private_seg_size, 0
	.set _ZN9rocsparseL18bsrxmvn_4x4_kernelILj128ELj4E21rocsparse_complex_numIdEllS2_S2_S2_EEvT3_20rocsparse_direction_NS_24const_host_device_scalarIT1_EES3_PKS3_PKT2_SC_S9_PKT4_PKT5_S7_PT6_21rocsparse_index_base_b.uses_vcc, 1
	.set _ZN9rocsparseL18bsrxmvn_4x4_kernelILj128ELj4E21rocsparse_complex_numIdEllS2_S2_S2_EEvT3_20rocsparse_direction_NS_24const_host_device_scalarIT1_EES3_PKS3_PKT2_SC_S9_PKT4_PKT5_S7_PT6_21rocsparse_index_base_b.uses_flat_scratch, 0
	.set _ZN9rocsparseL18bsrxmvn_4x4_kernelILj128ELj4E21rocsparse_complex_numIdEllS2_S2_S2_EEvT3_20rocsparse_direction_NS_24const_host_device_scalarIT1_EES3_PKS3_PKT2_SC_S9_PKT4_PKT5_S7_PT6_21rocsparse_index_base_b.has_dyn_sized_stack, 0
	.set _ZN9rocsparseL18bsrxmvn_4x4_kernelILj128ELj4E21rocsparse_complex_numIdEllS2_S2_S2_EEvT3_20rocsparse_direction_NS_24const_host_device_scalarIT1_EES3_PKS3_PKT2_SC_S9_PKT4_PKT5_S7_PT6_21rocsparse_index_base_b.has_recursion, 0
	.set _ZN9rocsparseL18bsrxmvn_4x4_kernelILj128ELj4E21rocsparse_complex_numIdEllS2_S2_S2_EEvT3_20rocsparse_direction_NS_24const_host_device_scalarIT1_EES3_PKS3_PKT2_SC_S9_PKT4_PKT5_S7_PT6_21rocsparse_index_base_b.has_indirect_call, 0
	.section	.AMDGPU.csdata,"",@progbits
; Kernel info:
; codeLenInByte = 7592
; TotalNumSgprs: 24
; NumVgprs: 124
; NumAgprs: 0
; TotalNumVgprs: 124
; ScratchSize: 0
; MemoryBound: 1
; FloatMode: 240
; IeeeMode: 1
; LDSByteSize: 0 bytes/workgroup (compile time only)
; SGPRBlocks: 2
; VGPRBlocks: 15
; NumSGPRsForWavesPerEU: 24
; NumVGPRsForWavesPerEU: 124
; AccumOffset: 124
; Occupancy: 4
; WaveLimiterHint : 1
; COMPUTE_PGM_RSRC2:SCRATCH_EN: 0
; COMPUTE_PGM_RSRC2:USER_SGPR: 2
; COMPUTE_PGM_RSRC2:TRAP_HANDLER: 0
; COMPUTE_PGM_RSRC2:TGID_X_EN: 1
; COMPUTE_PGM_RSRC2:TGID_Y_EN: 0
; COMPUTE_PGM_RSRC2:TGID_Z_EN: 0
; COMPUTE_PGM_RSRC2:TIDIG_COMP_CNT: 0
; COMPUTE_PGM_RSRC3_GFX90A:ACCUM_OFFSET: 30
; COMPUTE_PGM_RSRC3_GFX90A:TG_SPLIT: 0
	.section	.text._ZN9rocsparseL18bsrxmvn_4x4_kernelILj128ELj8E21rocsparse_complex_numIdEllS2_S2_S2_EEvT3_20rocsparse_direction_NS_24const_host_device_scalarIT1_EES3_PKS3_PKT2_SC_S9_PKT4_PKT5_S7_PT6_21rocsparse_index_base_b,"axG",@progbits,_ZN9rocsparseL18bsrxmvn_4x4_kernelILj128ELj8E21rocsparse_complex_numIdEllS2_S2_S2_EEvT3_20rocsparse_direction_NS_24const_host_device_scalarIT1_EES3_PKS3_PKT2_SC_S9_PKT4_PKT5_S7_PT6_21rocsparse_index_base_b,comdat
	.globl	_ZN9rocsparseL18bsrxmvn_4x4_kernelILj128ELj8E21rocsparse_complex_numIdEllS2_S2_S2_EEvT3_20rocsparse_direction_NS_24const_host_device_scalarIT1_EES3_PKS3_PKT2_SC_S9_PKT4_PKT5_S7_PT6_21rocsparse_index_base_b ; -- Begin function _ZN9rocsparseL18bsrxmvn_4x4_kernelILj128ELj8E21rocsparse_complex_numIdEllS2_S2_S2_EEvT3_20rocsparse_direction_NS_24const_host_device_scalarIT1_EES3_PKS3_PKT2_SC_S9_PKT4_PKT5_S7_PT6_21rocsparse_index_base_b
	.p2align	8
	.type	_ZN9rocsparseL18bsrxmvn_4x4_kernelILj128ELj8E21rocsparse_complex_numIdEllS2_S2_S2_EEvT3_20rocsparse_direction_NS_24const_host_device_scalarIT1_EES3_PKS3_PKT2_SC_S9_PKT4_PKT5_S7_PT6_21rocsparse_index_base_b,@function
_ZN9rocsparseL18bsrxmvn_4x4_kernelILj128ELj8E21rocsparse_complex_numIdEllS2_S2_S2_EEvT3_20rocsparse_direction_NS_24const_host_device_scalarIT1_EES3_PKS3_PKT2_SC_S9_PKT4_PKT5_S7_PT6_21rocsparse_index_base_b: ; @_ZN9rocsparseL18bsrxmvn_4x4_kernelILj128ELj8E21rocsparse_complex_numIdEllS2_S2_S2_EEvT3_20rocsparse_direction_NS_24const_host_device_scalarIT1_EES3_PKS3_PKT2_SC_S9_PKT4_PKT5_S7_PT6_21rocsparse_index_base_b
; %bb.0:
	s_load_dwordx2 s[4:5], s[0:1], 0x10
	s_load_dwordx2 s[6:7], s[0:1], 0x70
	s_add_u32 s3, s0, 16
	s_addc_u32 s10, s1, 0
	s_add_u32 s11, s0, 0x58
	s_load_dwordx2 s[8:9], s[0:1], 0x58
	s_addc_u32 s12, s1, 0
	s_waitcnt lgkmcnt(0)
	s_bitcmp1_b32 s7, 0
	s_cselect_b32 s5, s10, s5
	s_cselect_b32 s3, s3, s4
	v_mov_b32_e32 v2, s3
	v_mov_b32_e32 v3, s5
	flat_load_dwordx4 v[6:9], v[2:3]
	s_cselect_b32 s3, s12, s9
	s_cselect_b32 s4, s11, s8
	v_mov_b32_e32 v2, s4
	v_mov_b32_e32 v3, s3
	flat_load_dwordx4 v[2:5], v[2:3]
	s_waitcnt vmcnt(0) lgkmcnt(0)
	v_cmp_eq_f64_e32 vcc, 0, v[6:7]
	v_cmp_eq_f64_e64 s[4:5], 0, v[8:9]
	s_and_b64 s[10:11], vcc, s[4:5]
	s_mov_b64 s[4:5], -1
	s_and_saveexec_b64 s[8:9], s[10:11]
; %bb.1:
	v_cmp_neq_f64_e32 vcc, 1.0, v[2:3]
	v_cmp_neq_f64_e64 s[4:5], 0, v[4:5]
	s_or_b64 s[4:5], vcc, s[4:5]
	s_orn2_b64 s[4:5], s[4:5], exec
; %bb.2:
	s_or_b64 exec, exec, s[8:9]
	s_and_saveexec_b64 s[8:9], s[4:5]
	s_cbranch_execz .LBB56_8
; %bb.3:
	s_load_dwordx2 s[4:5], s[0:1], 0x28
	v_lshrrev_b32_e32 v1, 3, v0
	v_lshl_or_b32 v10, s2, 4, v1
	v_mov_b32_e32 v11, 0
	s_mov_b64 s[2:3], 0
	s_waitcnt lgkmcnt(0)
	s_cmp_lg_u64 s[4:5], 0
	s_cbranch_scc0 .LBB56_9
; %bb.4:
	s_load_dwordx2 s[8:9], s[0:1], 0x20
                                        ; implicit-def: $vgpr26_vgpr27
                                        ; implicit-def: $vgpr28_vgpr29
	s_waitcnt lgkmcnt(0)
	v_cmp_gt_i64_e32 vcc, s[8:9], v[10:11]
	s_and_saveexec_b64 s[8:9], vcc
	s_xor_b64 s[8:9], exec, s[8:9]
	s_cbranch_execz .LBB56_6
; %bb.5:
	v_lshl_add_u64 v[12:13], v[10:11], 3, s[4:5]
	global_load_dwordx2 v[12:13], v[12:13], off
	s_mov_b32 s7, 0
	s_mov_b64 s[2:3], exec
	v_mov_b64_e32 v[28:29], s[6:7]
	s_waitcnt vmcnt(0)
	v_subrev_co_u32_e32 v26, vcc, s6, v12
	s_nop 1
	v_subbrev_co_u32_e32 v27, vcc, 0, v13, vcc
.LBB56_6:
	s_or_b64 exec, exec, s[8:9]
.LBB56_7:
	s_and_b64 exec, exec, s[2:3]
	s_cbranch_execnz .LBB56_13
.LBB56_8:
	s_endpgm
.LBB56_9:
                                        ; implicit-def: $vgpr26_vgpr27
                                        ; implicit-def: $vgpr28_vgpr29
	s_cbranch_execz .LBB56_7
; %bb.10:
	s_load_dwordx2 s[4:5], s[0:1], 0x0
	s_waitcnt lgkmcnt(0)
	v_cmp_gt_i64_e32 vcc, s[4:5], v[10:11]
	s_and_saveexec_b64 s[4:5], vcc
; %bb.11:
	s_mov_b32 s7, 0
	s_or_b64 s[2:3], s[2:3], exec
; %bb.12:
	s_or_b64 exec, exec, s[4:5]
	v_mov_b64_e32 v[28:29], s[6:7]
	v_mov_b64_e32 v[26:27], v[10:11]
	s_and_b64 exec, exec, s[2:3]
	s_cbranch_execz .LBB56_8
.LBB56_13:
	s_load_dwordx8 s[4:11], s[0:1], 0x30
	v_lshlrev_b64 v[10:11], 3, v[26:27]
	v_and_b32_e32 v0, 7, v0
	v_mov_b32_e32 v1, 0
	s_waitcnt lgkmcnt(0)
	v_lshl_add_u64 v[12:13], s[4:5], 0, v[10:11]
	s_cmp_eq_u64 s[6:7], 0
	v_lshl_add_u64 v[10:11], s[6:7], 0, v[10:11]
	global_load_dwordx2 v[44:45], v[12:13], off
	v_lshl_add_u64 v[12:13], v[12:13], 0, 8
	s_cselect_b64 vcc, -1, 0
	v_cndmask_b32_e32 v11, v11, v13, vcc
	v_cndmask_b32_e32 v10, v10, v12, vcc
	global_load_dwordx2 v[10:11], v[10:11], off
	s_load_dword s2, s[0:1], 0x8
	s_load_dwordx2 s[4:5], s[0:1], 0x50
	s_waitcnt lgkmcnt(0)
	s_cmp_eq_u32 s2, 1
	s_waitcnt vmcnt(1)
	v_sub_co_u32_e32 v12, vcc, v44, v28
	s_nop 1
	v_subb_co_u32_e32 v13, vcc, v45, v29, vcc
	v_lshl_add_u64 v[32:33], v[12:13], 0, v[0:1]
	s_waitcnt vmcnt(0)
	v_sub_co_u32_e32 v34, vcc, v10, v28
	s_nop 1
	v_subb_co_u32_e32 v35, vcc, v11, v29, vcc
	v_lshlrev_b64 v[10:11], 8, v[32:33]
	v_lshl_add_u64 v[36:37], s[10:11], 0, v[10:11]
	v_cmp_lt_i64_e64 s[2:3], v[32:33], v[34:35]
	s_cbranch_scc1 .LBB56_25
; %bb.14:
	v_mov_b64_e32 v[42:43], 0
	v_mov_b64_e32 v[56:57], 0
	;; [unrolled: 1-line block ×8, first 2 shown]
	s_and_saveexec_b64 s[6:7], s[2:3]
	s_cbranch_execz .LBB56_24
; %bb.15:
	v_or_b32_e32 v1, 8, v0
	v_sub_co_u32_e32 v10, vcc, v1, v28
	v_not_b32_e32 v13, v45
	s_nop 0
	v_subb_co_u32_e32 v11, vcc, 0, v29, vcc
	v_lshl_add_u64 v[10:11], v[10:11], 0, v[44:45]
	v_cmp_gt_i64_e32 vcc, v[10:11], v[34:35]
	v_not_b32_e32 v12, v44
	v_mov_b64_e32 v[40:41], 0
	v_cndmask_b32_e32 v11, v35, v11, vcc
	v_cndmask_b32_e32 v10, v34, v10, vcc
	v_sub_co_u32_e32 v14, vcc, v28, v0
	v_mov_b64_e32 v[54:55], 0
	s_nop 0
	v_subbrev_co_u32_e32 v15, vcc, 0, v29, vcc
	v_lshl_add_u64 v[12:13], v[14:15], 0, v[12:13]
	v_lshl_add_u64 v[10:11], v[12:13], 0, v[10:11]
	v_and_b32_e32 v12, 24, v10
	v_mov_b32_e32 v13, 0
	v_cmp_ne_u64_e32 vcc, 24, v[12:13]
	v_mov_b64_e32 v[38:39], 0
	v_mov_b64_e32 v[52:53], 0
	v_mov_b64_e32 v[30:31], 0
	v_mov_b64_e32 v[58:59], 0
	v_mov_b64_e32 v[56:57], 0
	v_mov_b64_e32 v[42:43], 0
	v_mov_b64_e32 v[46:47], v[36:37]
	v_mov_b64_e32 v[48:49], v[32:33]
	s_and_saveexec_b64 s[10:11], vcc
	s_cbranch_execz .LBB56_19
; %bb.16:
	v_lshrrev_b32_e32 v1, 3, v10
	v_add_u32_e32 v1, 1, v1
	v_and_b32_e32 v1, 3, v1
	v_sub_co_u32_e32 v14, vcc, 0, v1
	v_lshl_add_u64 v[12:13], v[32:33], 3, s[8:9]
	s_nop 0
	v_subb_co_u32_e64 v15, s[14:15], 0, 0, vcc
	s_mov_b64 s[12:13], 0
	v_mov_b64_e32 v[42:43], 0
	s_mov_b64 s[14:15], 0x800
	v_mov_b64_e32 v[48:49], v[32:33]
	v_mov_b64_e32 v[46:47], v[36:37]
	;; [unrolled: 1-line block ×9, first 2 shown]
.LBB56_17:                              ; =>This Inner Loop Header: Depth=1
	global_load_dwordx2 v[24:25], v[12:13], off
	global_load_dwordx4 v[16:19], v[46:47], off offset:16
	global_load_dwordx4 v[20:23], v[46:47], off
	global_load_dwordx4 v[60:63], v[46:47], off offset:80
	global_load_dwordx4 v[64:67], v[46:47], off offset:64
	;; [unrolled: 1-line block ×5, first 2 shown]
	v_lshl_add_u64 v[14:15], v[14:15], 0, 1
	v_lshl_add_u64 v[48:49], v[48:49], 0, 8
	;; [unrolled: 1-line block ×3, first 2 shown]
	s_waitcnt vmcnt(7)
	v_sub_co_u32_e32 v24, vcc, v24, v28
	s_nop 1
	v_subb_co_u32_e32 v25, vcc, v25, v29, vcc
	v_lshlrev_b64 v[24:25], 6, v[24:25]
	v_lshl_add_u64 v[24:25], s[4:5], 0, v[24:25]
	global_load_dwordx4 v[80:83], v[24:25], off
	v_cmp_eq_u64_e32 vcc, 0, v[14:15]
	s_or_b64 s[12:13], vcc, s[12:13]
	s_waitcnt vmcnt(0)
	v_fmac_f64_e32 v[56:57], v[20:21], v[80:81]
	v_fmac_f64_e32 v[42:43], v[22:23], v[80:81]
	;; [unrolled: 1-line block ×6, first 2 shown]
	v_fma_f64 v[84:85], -v[22:23], v[82:83], v[56:57]
	v_fmac_f64_e32 v[42:43], v[20:21], v[82:83]
	global_load_dwordx4 v[20:23], v[46:47], off offset:208
	v_fma_f64 v[86:87], -v[66:67], v[82:83], v[54:55]
	v_fmac_f64_e32 v[40:41], v[64:65], v[82:83]
	global_load_dwordx4 v[54:57], v[46:47], off offset:48
	;; [unrolled: 3-line block ×3, first 2 shown]
	global_load_dwordx4 v[64:67], v[46:47], off offset:112
	global_load_dwordx4 v[72:75], v[24:25], off offset:16
	v_fmac_f64_e32 v[58:59], v[76:77], v[80:81]
	v_fmac_f64_e32 v[30:31], v[78:79], v[80:81]
	v_fma_f64 v[78:79], -v[78:79], v[82:83], v[58:59]
	v_fmac_f64_e32 v[30:31], v[76:77], v[82:83]
	s_waitcnt vmcnt(0)
	v_fmac_f64_e32 v[84:85], v[16:17], v[72:73]
	v_fmac_f64_e32 v[42:43], v[18:19], v[72:73]
	;; [unrolled: 1-line block ×8, first 2 shown]
	v_fma_f64 v[76:77], -v[18:19], v[74:75], v[84:85]
	v_fmac_f64_e32 v[42:43], v[16:17], v[74:75]
	global_load_dwordx4 v[16:19], v[46:47], off offset:96
	v_fma_f64 v[62:63], -v[62:63], v[74:75], v[86:87]
	v_fmac_f64_e32 v[40:41], v[60:61], v[74:75]
	global_load_dwordx4 v[58:61], v[46:47], off offset:176
	;; [unrolled: 3-line block ×4, first 2 shown]
	global_load_dwordx4 v[72:75], v[24:25], off offset:32
	s_waitcnt vmcnt(0)
	v_fmac_f64_e32 v[76:77], v[50:51], v[72:73]
	v_fmac_f64_e32 v[42:43], v[52:53], v[72:73]
	;; [unrolled: 1-line block ×4, first 2 shown]
	v_fma_f64 v[52:53], -v[52:53], v[74:75], v[76:77]
	v_fmac_f64_e32 v[42:43], v[50:51], v[74:75]
	global_load_dwordx4 v[76:79], v[46:47], off offset:240
	v_fma_f64 v[50:51], -v[18:19], v[74:75], v[62:63]
	v_fmac_f64_e32 v[40:41], v[16:17], v[74:75]
	global_load_dwordx4 v[16:19], v[24:25], off offset:48
	v_fmac_f64_e32 v[80:81], v[68:69], v[72:73]
	v_fmac_f64_e32 v[38:39], v[70:71], v[72:73]
	v_fmac_f64_e32 v[82:83], v[20:21], v[72:73]
	v_fmac_f64_e32 v[30:31], v[22:23], v[72:73]
	v_fma_f64 v[24:25], -v[70:71], v[74:75], v[80:81]
	v_fmac_f64_e32 v[38:39], v[68:69], v[74:75]
	v_fma_f64 v[22:23], -v[22:23], v[74:75], v[82:83]
	v_fmac_f64_e32 v[30:31], v[20:21], v[74:75]
	v_lshl_add_u64 v[46:47], v[46:47], 0, s[14:15]
	s_waitcnt vmcnt(0)
	v_fmac_f64_e32 v[52:53], v[54:55], v[16:17]
	v_fmac_f64_e32 v[42:43], v[56:57], v[16:17]
	v_fmac_f64_e32 v[50:51], v[64:65], v[16:17]
	v_fmac_f64_e32 v[40:41], v[66:67], v[16:17]
	v_fmac_f64_e32 v[24:25], v[58:59], v[16:17]
	v_fmac_f64_e32 v[38:39], v[60:61], v[16:17]
	v_fmac_f64_e32 v[22:23], v[76:77], v[16:17]
	v_fmac_f64_e32 v[30:31], v[78:79], v[16:17]
	v_fma_f64 v[56:57], -v[56:57], v[18:19], v[52:53]
	v_fmac_f64_e32 v[42:43], v[54:55], v[18:19]
	v_fma_f64 v[54:55], -v[66:67], v[18:19], v[50:51]
	v_fmac_f64_e32 v[40:41], v[64:65], v[18:19]
	;; [unrolled: 2-line block ×4, first 2 shown]
	s_andn2_b64 exec, exec, s[12:13]
	s_cbranch_execnz .LBB56_17
; %bb.18:
	s_or_b64 exec, exec, s[12:13]
.LBB56_19:
	s_or_b64 exec, exec, s[10:11]
	v_cmp_lt_u64_e32 vcc, 23, v[10:11]
	s_and_saveexec_b64 s[10:11], vcc
	s_cbranch_execz .LBB56_23
; %bb.20:
	v_lshl_add_u64 v[10:11], v[48:49], 3, s[8:9]
	s_mov_b64 s[12:13], 0x80
	v_lshl_add_u64 v[50:51], v[10:11], 0, s[12:13]
	s_mov_b64 s[12:13], 0
	s_mov_b64 s[14:15], 0x1000
	s_movk_i32 s20, 0x1000
	s_mov_b64 s[16:17], 0x100
	s_mov_b64 s[18:19], 0x2000
.LBB56_21:                              ; =>This Inner Loop Header: Depth=1
	global_load_dwordx2 v[10:11], v[50:51], off offset:-128
	global_load_dwordx4 v[60:63], v[46:47], off offset:48
	global_load_dwordx4 v[64:67], v[46:47], off offset:32
	;; [unrolled: 1-line block ×3, first 2 shown]
	global_load_dwordx4 v[72:75], v[46:47], off
	v_lshl_add_u64 v[48:49], v[48:49], 0, 32
	s_waitcnt vmcnt(4)
	v_sub_co_u32_e32 v10, vcc, v10, v28
	s_nop 1
	v_subb_co_u32_e32 v11, vcc, v11, v29, vcc
	v_lshlrev_b64 v[10:11], 6, v[10:11]
	v_lshl_add_u64 v[76:77], s[4:5], 0, v[10:11]
	global_load_dwordx4 v[10:13], v[76:77], off offset:48
	global_load_dwordx4 v[14:17], v[76:77], off offset:32
	;; [unrolled: 1-line block ×3, first 2 shown]
	global_load_dwordx4 v[22:25], v[76:77], off
	s_waitcnt vmcnt(0)
	v_fmac_f64_e32 v[56:57], v[72:73], v[22:23]
	v_fmac_f64_e32 v[42:43], v[74:75], v[22:23]
	v_fma_f64 v[56:57], -v[74:75], v[24:25], v[56:57]
	v_fmac_f64_e32 v[42:43], v[72:73], v[24:25]
	v_fmac_f64_e32 v[56:57], v[68:69], v[18:19]
	v_fmac_f64_e32 v[42:43], v[70:71], v[18:19]
	v_fma_f64 v[56:57], -v[70:71], v[20:21], v[56:57]
	v_fmac_f64_e32 v[42:43], v[68:69], v[20:21]
	v_fmac_f64_e32 v[56:57], v[64:65], v[14:15]
	v_fmac_f64_e32 v[42:43], v[66:67], v[14:15]
	v_fma_f64 v[56:57], -v[66:67], v[16:17], v[56:57]
	v_fmac_f64_e32 v[42:43], v[64:65], v[16:17]
	v_fmac_f64_e32 v[56:57], v[60:61], v[10:11]
	v_fmac_f64_e32 v[42:43], v[62:63], v[10:11]
	v_fma_f64 v[56:57], -v[62:63], v[12:13], v[56:57]
	v_fmac_f64_e32 v[42:43], v[60:61], v[12:13]
	global_load_dwordx4 v[60:63], v[46:47], off offset:112
	global_load_dwordx4 v[64:67], v[46:47], off offset:96
	global_load_dwordx4 v[68:71], v[46:47], off offset:80
	global_load_dwordx4 v[72:75], v[46:47], off offset:64
	s_waitcnt vmcnt(0)
	v_fmac_f64_e32 v[54:55], v[72:73], v[22:23]
	v_fmac_f64_e32 v[40:41], v[74:75], v[22:23]
	v_fma_f64 v[54:55], -v[74:75], v[24:25], v[54:55]
	v_fmac_f64_e32 v[40:41], v[72:73], v[24:25]
	v_fmac_f64_e32 v[54:55], v[68:69], v[18:19]
	v_fmac_f64_e32 v[40:41], v[70:71], v[18:19]
	v_fma_f64 v[54:55], -v[70:71], v[20:21], v[54:55]
	v_fmac_f64_e32 v[40:41], v[68:69], v[20:21]
	v_fmac_f64_e32 v[54:55], v[64:65], v[14:15]
	v_fmac_f64_e32 v[40:41], v[66:67], v[14:15]
	v_fma_f64 v[54:55], -v[66:67], v[16:17], v[54:55]
	v_fmac_f64_e32 v[40:41], v[64:65], v[16:17]
	v_fmac_f64_e32 v[54:55], v[60:61], v[10:11]
	v_fmac_f64_e32 v[40:41], v[62:63], v[10:11]
	v_fma_f64 v[54:55], -v[62:63], v[12:13], v[54:55]
	v_fmac_f64_e32 v[40:41], v[60:61], v[12:13]
	global_load_dwordx4 v[60:63], v[46:47], off offset:176
	global_load_dwordx4 v[64:67], v[46:47], off offset:160
	global_load_dwordx4 v[68:71], v[46:47], off offset:144
	global_load_dwordx4 v[72:75], v[46:47], off offset:128
	;; [unrolled: 21-line block ×3, first 2 shown]
	s_waitcnt vmcnt(0)
	v_fmac_f64_e32 v[58:59], v[72:73], v[22:23]
	v_fmac_f64_e32 v[30:31], v[74:75], v[22:23]
	v_fma_f64 v[58:59], -v[74:75], v[24:25], v[58:59]
	v_fmac_f64_e32 v[30:31], v[72:73], v[24:25]
	v_fmac_f64_e32 v[58:59], v[68:69], v[18:19]
	v_fmac_f64_e32 v[30:31], v[70:71], v[18:19]
	v_fma_f64 v[22:23], -v[70:71], v[20:21], v[58:59]
	v_fmac_f64_e32 v[30:31], v[68:69], v[20:21]
	;; [unrolled: 4-line block ×3, first 2 shown]
	v_fmac_f64_e32 v[18:19], v[60:61], v[10:11]
	v_fmac_f64_e32 v[30:31], v[62:63], v[10:11]
	global_load_dwordx2 v[10:11], v[50:51], off offset:-64
	v_fma_f64 v[78:79], -v[62:63], v[12:13], v[18:19]
	v_fmac_f64_e32 v[30:31], v[60:61], v[12:13]
	global_load_dwordx4 v[12:15], v[46:47], off offset:2096
	global_load_dwordx4 v[16:19], v[46:47], off offset:2080
	;; [unrolled: 1-line block ×4, first 2 shown]
	s_waitcnt vmcnt(4)
	v_sub_co_u32_e32 v10, vcc, v10, v28
	s_nop 1
	v_subb_co_u32_e32 v11, vcc, v11, v29, vcc
	v_lshlrev_b64 v[10:11], 6, v[10:11]
	v_lshl_add_u64 v[10:11], s[4:5], 0, v[10:11]
	global_load_dwordx4 v[62:65], v[10:11], off offset:48
	global_load_dwordx4 v[66:69], v[10:11], off offset:32
	;; [unrolled: 1-line block ×3, first 2 shown]
	global_load_dwordx4 v[74:77], v[10:11], off
	s_waitcnt vmcnt(0)
	v_fmac_f64_e32 v[56:57], v[58:59], v[74:75]
	v_fma_f64 v[10:11], -v[60:61], v[76:77], v[56:57]
	v_fmac_f64_e32 v[42:43], v[60:61], v[74:75]
	v_fmac_f64_e32 v[42:43], v[58:59], v[76:77]
	v_fmac_f64_e32 v[10:11], v[20:21], v[70:71]
	v_fma_f64 v[10:11], -v[22:23], v[72:73], v[10:11]
	v_fmac_f64_e32 v[42:43], v[22:23], v[70:71]
	v_fmac_f64_e32 v[42:43], v[20:21], v[72:73]
	v_fmac_f64_e32 v[10:11], v[16:17], v[66:67]
	v_fma_f64 v[10:11], -v[18:19], v[68:69], v[10:11]
	v_fmac_f64_e32 v[42:43], v[18:19], v[66:67]
	v_fmac_f64_e32 v[42:43], v[16:17], v[68:69]
	v_fmac_f64_e32 v[10:11], v[12:13], v[62:63]
	v_fma_f64 v[10:11], -v[14:15], v[64:65], v[10:11]
	v_fmac_f64_e32 v[42:43], v[14:15], v[62:63]
	global_load_dwordx4 v[14:17], v[46:47], off offset:2160
	global_load_dwordx4 v[18:21], v[46:47], off offset:2144
	global_load_dwordx4 v[22:25], v[46:47], off offset:2128
	global_load_dwordx4 v[56:59], v[46:47], off offset:2112
	v_fmac_f64_e32 v[42:43], v[12:13], v[64:65]
	s_waitcnt vmcnt(0)
	v_fmac_f64_e32 v[54:55], v[56:57], v[74:75]
	v_fma_f64 v[12:13], -v[58:59], v[76:77], v[54:55]
	v_fmac_f64_e32 v[40:41], v[58:59], v[74:75]
	v_fmac_f64_e32 v[40:41], v[56:57], v[76:77]
	v_fmac_f64_e32 v[12:13], v[22:23], v[70:71]
	v_fma_f64 v[12:13], -v[24:25], v[72:73], v[12:13]
	v_fmac_f64_e32 v[40:41], v[24:25], v[70:71]
	v_fmac_f64_e32 v[40:41], v[22:23], v[72:73]
	v_fmac_f64_e32 v[12:13], v[18:19], v[66:67]
	v_fma_f64 v[12:13], -v[20:21], v[68:69], v[12:13]
	v_fmac_f64_e32 v[40:41], v[20:21], v[66:67]
	v_fmac_f64_e32 v[40:41], v[18:19], v[68:69]
	v_fmac_f64_e32 v[12:13], v[14:15], v[62:63]
	v_fma_f64 v[12:13], -v[16:17], v[64:65], v[12:13]
	v_fmac_f64_e32 v[40:41], v[16:17], v[62:63]
	global_load_dwordx4 v[16:19], v[46:47], off offset:2224
	global_load_dwordx4 v[20:23], v[46:47], off offset:2208
	global_load_dwordx4 v[54:57], v[46:47], off offset:2192
	global_load_dwordx4 v[58:61], v[46:47], off offset:2176
	v_fmac_f64_e32 v[40:41], v[14:15], v[64:65]
	;; [unrolled: 21-line block ×3, first 2 shown]
	s_waitcnt vmcnt(0)
	v_fmac_f64_e32 v[30:31], v[58:59], v[74:75]
	v_fmac_f64_e32 v[78:79], v[56:57], v[74:75]
	v_fmac_f64_e32 v[30:31], v[56:57], v[76:77]
	v_fma_f64 v[16:17], -v[58:59], v[76:77], v[78:79]
	v_fmac_f64_e32 v[30:31], v[54:55], v[70:71]
	v_fmac_f64_e32 v[16:17], v[52:53], v[70:71]
	v_fmac_f64_e32 v[30:31], v[52:53], v[72:73]
	v_fma_f64 v[16:17], -v[54:55], v[72:73], v[16:17]
	;; [unrolled: 4-line block ×3, first 2 shown]
	v_fmac_f64_e32 v[30:31], v[20:21], v[62:63]
	v_fmac_f64_e32 v[16:17], v[18:19], v[62:63]
	;; [unrolled: 1-line block ×3, first 2 shown]
	global_load_dwordx2 v[18:19], v[50:51], off
	v_fma_f64 v[16:17], -v[20:21], v[64:65], v[16:17]
	v_lshl_add_u64 v[58:59], v[46:47], 0, s[14:15]
	s_waitcnt vmcnt(0)
	v_sub_co_u32_e32 v56, vcc, v18, v28
	s_nop 1
	v_subb_co_u32_e32 v57, vcc, v19, v29, vcc
	v_add_co_u32_e32 v64, vcc, s20, v46
	v_lshlrev_b64 v[56:57], 6, v[56:57]
	s_nop 0
	v_addc_co_u32_e32 v65, vcc, 0, v47, vcc
	v_lshl_add_u64 v[56:57], s[4:5], 0, v[56:57]
	global_load_dwordx4 v[18:21], v[64:65], off
	global_load_dwordx4 v[22:25], v[58:59], off offset:48
	global_load_dwordx4 v[52:55], v[58:59], off offset:32
	;; [unrolled: 1-line block ×3, first 2 shown]
	s_nop 0
	global_load_dwordx4 v[64:67], v[56:57], off offset:48
	global_load_dwordx4 v[68:71], v[56:57], off offset:32
	;; [unrolled: 1-line block ×3, first 2 shown]
	global_load_dwordx4 v[76:79], v[56:57], off
	v_lshl_add_u64 v[46:47], v[46:47], 0, s[18:19]
	s_waitcnt vmcnt(0)
	v_fmac_f64_e32 v[10:11], v[18:19], v[76:77]
	v_fmac_f64_e32 v[42:43], v[20:21], v[76:77]
	v_fma_f64 v[10:11], -v[20:21], v[78:79], v[10:11]
	v_fmac_f64_e32 v[42:43], v[18:19], v[78:79]
	v_fmac_f64_e32 v[10:11], v[60:61], v[72:73]
	v_fmac_f64_e32 v[42:43], v[62:63], v[72:73]
	v_fma_f64 v[10:11], -v[62:63], v[74:75], v[10:11]
	v_fmac_f64_e32 v[42:43], v[60:61], v[74:75]
	v_fmac_f64_e32 v[10:11], v[52:53], v[68:69]
	v_fmac_f64_e32 v[42:43], v[54:55], v[68:69]
	v_fma_f64 v[10:11], -v[54:55], v[70:71], v[10:11]
	v_fmac_f64_e32 v[42:43], v[52:53], v[70:71]
	v_fmac_f64_e32 v[10:11], v[22:23], v[64:65]
	v_fmac_f64_e32 v[42:43], v[24:25], v[64:65]
	v_fma_f64 v[54:55], -v[24:25], v[66:67], v[10:11]
	v_fmac_f64_e32 v[42:43], v[22:23], v[66:67]
	global_load_dwordx4 v[18:21], v[58:59], off offset:112
	global_load_dwordx4 v[22:25], v[58:59], off offset:96
	global_load_dwordx4 v[60:63], v[58:59], off offset:80
	global_load_dwordx4 v[80:83], v[58:59], off offset:64
	s_waitcnt vmcnt(0)
	v_fmac_f64_e32 v[12:13], v[80:81], v[76:77]
	v_fmac_f64_e32 v[40:41], v[82:83], v[76:77]
	v_fma_f64 v[10:11], -v[82:83], v[78:79], v[12:13]
	v_fmac_f64_e32 v[40:41], v[80:81], v[78:79]
	v_fmac_f64_e32 v[10:11], v[60:61], v[72:73]
	v_fmac_f64_e32 v[40:41], v[62:63], v[72:73]
	v_fma_f64 v[10:11], -v[62:63], v[74:75], v[10:11]
	v_fmac_f64_e32 v[40:41], v[60:61], v[74:75]
	v_fmac_f64_e32 v[10:11], v[22:23], v[68:69]
	v_fmac_f64_e32 v[40:41], v[24:25], v[68:69]
	v_fma_f64 v[10:11], -v[24:25], v[70:71], v[10:11]
	v_fmac_f64_e32 v[40:41], v[22:23], v[70:71]
	v_fmac_f64_e32 v[10:11], v[18:19], v[64:65]
	v_fmac_f64_e32 v[40:41], v[20:21], v[64:65]
	v_fma_f64 v[52:53], -v[20:21], v[66:67], v[10:11]
	v_fmac_f64_e32 v[40:41], v[18:19], v[66:67]
	global_load_dwordx4 v[10:13], v[58:59], off offset:176
	global_load_dwordx4 v[18:21], v[58:59], off offset:160
	global_load_dwordx4 v[22:25], v[58:59], off offset:144
	global_load_dwordx4 v[60:63], v[58:59], off offset:128
	;; [unrolled: 21-line block ×3, first 2 shown]
	s_waitcnt vmcnt(0)
	v_fmac_f64_e32 v[30:31], v[82:83], v[76:77]
	v_fmac_f64_e32 v[16:17], v[80:81], v[76:77]
	v_fmac_f64_e32 v[30:31], v[80:81], v[78:79]
	v_fma_f64 v[14:15], -v[82:83], v[78:79], v[16:17]
	v_fmac_f64_e32 v[30:31], v[24:25], v[72:73]
	v_fmac_f64_e32 v[14:15], v[22:23], v[72:73]
	v_fmac_f64_e32 v[30:31], v[22:23], v[74:75]
	v_fma_f64 v[14:15], -v[24:25], v[74:75], v[14:15]
	;; [unrolled: 4-line block ×3, first 2 shown]
	v_fmac_f64_e32 v[30:31], v[12:13], v[64:65]
	v_fmac_f64_e32 v[14:15], v[10:11], v[64:65]
	;; [unrolled: 1-line block ×3, first 2 shown]
	global_load_dwordx2 v[10:11], v[50:51], off offset:64
	v_fma_f64 v[60:61], -v[12:13], v[66:67], v[14:15]
	global_load_dwordx4 v[64:67], v[58:59], off offset:2096
	global_load_dwordx4 v[68:71], v[58:59], off offset:2080
	;; [unrolled: 1-line block ×4, first 2 shown]
	v_lshl_add_u64 v[50:51], v[50:51], 0, s[16:17]
	s_waitcnt vmcnt(4)
	v_sub_co_u32_e32 v10, vcc, v10, v28
	s_nop 1
	v_subb_co_u32_e32 v11, vcc, v11, v29, vcc
	v_lshlrev_b64 v[10:11], 6, v[10:11]
	v_lshl_add_u64 v[56:57], s[4:5], 0, v[10:11]
	global_load_dwordx4 v[10:13], v[56:57], off offset:48
	global_load_dwordx4 v[14:17], v[56:57], off offset:32
	;; [unrolled: 1-line block ×3, first 2 shown]
	global_load_dwordx4 v[22:25], v[56:57], off
	v_cmp_ge_i64_e32 vcc, v[48:49], v[34:35]
	s_or_b64 s[12:13], vcc, s[12:13]
	s_waitcnt vmcnt(0)
	v_fmac_f64_e32 v[54:55], v[76:77], v[22:23]
	v_fmac_f64_e32 v[42:43], v[78:79], v[22:23]
	v_fma_f64 v[54:55], -v[78:79], v[24:25], v[54:55]
	v_fmac_f64_e32 v[42:43], v[76:77], v[24:25]
	v_fmac_f64_e32 v[54:55], v[72:73], v[18:19]
	v_fmac_f64_e32 v[42:43], v[74:75], v[18:19]
	v_fma_f64 v[54:55], -v[74:75], v[20:21], v[54:55]
	v_fmac_f64_e32 v[42:43], v[72:73], v[20:21]
	v_fmac_f64_e32 v[54:55], v[68:69], v[14:15]
	v_fmac_f64_e32 v[42:43], v[70:71], v[14:15]
	v_fma_f64 v[54:55], -v[70:71], v[16:17], v[54:55]
	v_fmac_f64_e32 v[42:43], v[68:69], v[16:17]
	v_fmac_f64_e32 v[54:55], v[64:65], v[10:11]
	v_fmac_f64_e32 v[42:43], v[66:67], v[10:11]
	v_fma_f64 v[56:57], -v[66:67], v[12:13], v[54:55]
	v_fmac_f64_e32 v[42:43], v[64:65], v[12:13]
	global_load_dwordx4 v[64:67], v[58:59], off offset:2160
	global_load_dwordx4 v[68:71], v[58:59], off offset:2144
	global_load_dwordx4 v[72:75], v[58:59], off offset:2128
	global_load_dwordx4 v[76:79], v[58:59], off offset:2112
	s_waitcnt vmcnt(0)
	v_fmac_f64_e32 v[52:53], v[76:77], v[22:23]
	v_fmac_f64_e32 v[40:41], v[78:79], v[22:23]
	v_fma_f64 v[52:53], -v[78:79], v[24:25], v[52:53]
	v_fmac_f64_e32 v[40:41], v[76:77], v[24:25]
	v_fmac_f64_e32 v[52:53], v[72:73], v[18:19]
	v_fmac_f64_e32 v[40:41], v[74:75], v[18:19]
	v_fma_f64 v[52:53], -v[74:75], v[20:21], v[52:53]
	v_fmac_f64_e32 v[40:41], v[72:73], v[20:21]
	v_fmac_f64_e32 v[52:53], v[68:69], v[14:15]
	v_fmac_f64_e32 v[40:41], v[70:71], v[14:15]
	v_fma_f64 v[52:53], -v[70:71], v[16:17], v[52:53]
	v_fmac_f64_e32 v[40:41], v[68:69], v[16:17]
	v_fmac_f64_e32 v[52:53], v[64:65], v[10:11]
	v_fmac_f64_e32 v[40:41], v[66:67], v[10:11]
	v_fma_f64 v[54:55], -v[66:67], v[12:13], v[52:53]
	v_fmac_f64_e32 v[40:41], v[64:65], v[12:13]
	global_load_dwordx4 v[64:67], v[58:59], off offset:2224
	global_load_dwordx4 v[68:71], v[58:59], off offset:2208
	global_load_dwordx4 v[72:75], v[58:59], off offset:2192
	global_load_dwordx4 v[76:79], v[58:59], off offset:2176
	;; [unrolled: 21-line block ×3, first 2 shown]
	s_waitcnt vmcnt(0)
	v_fmac_f64_e32 v[60:61], v[74:75], v[22:23]
	v_fmac_f64_e32 v[30:31], v[76:77], v[22:23]
	v_fma_f64 v[58:59], -v[76:77], v[24:25], v[60:61]
	v_fmac_f64_e32 v[30:31], v[74:75], v[24:25]
	v_fmac_f64_e32 v[58:59], v[70:71], v[18:19]
	v_fmac_f64_e32 v[30:31], v[72:73], v[18:19]
	v_fma_f64 v[22:23], -v[72:73], v[20:21], v[58:59]
	v_fmac_f64_e32 v[30:31], v[70:71], v[20:21]
	;; [unrolled: 4-line block ×4, first 2 shown]
	s_andn2_b64 exec, exec, s[12:13]
	s_cbranch_execnz .LBB56_21
; %bb.22:
	s_or_b64 exec, exec, s[12:13]
.LBB56_23:
	s_or_b64 exec, exec, s[10:11]
.LBB56_24:
	s_or_b64 exec, exec, s[6:7]
	s_cbranch_execz .LBB56_26
	s_branch .LBB56_37
.LBB56_25:
                                        ; implicit-def: $vgpr42_vgpr43
                                        ; implicit-def: $vgpr56_vgpr57
                                        ; implicit-def: $vgpr58_vgpr59
                                        ; implicit-def: $vgpr30_vgpr31
                                        ; implicit-def: $vgpr52_vgpr53
                                        ; implicit-def: $vgpr38_vgpr39
                                        ; implicit-def: $vgpr54_vgpr55
                                        ; implicit-def: $vgpr40_vgpr41
.LBB56_26:
	v_mov_b64_e32 v[42:43], 0
	v_mov_b64_e32 v[56:57], 0
	v_mov_b64_e32 v[58:59], 0
	v_mov_b64_e32 v[30:31], 0
	v_mov_b64_e32 v[52:53], 0
	v_mov_b64_e32 v[38:39], 0
	v_mov_b64_e32 v[54:55], 0
	v_mov_b64_e32 v[40:41], 0
	s_and_saveexec_b64 s[6:7], s[2:3]
	s_cbranch_execz .LBB56_36
; %bb.27:
	v_or_b32_e32 v1, 8, v0
	v_sub_co_u32_e32 v10, vcc, v1, v28
	v_not_b32_e32 v13, v45
	s_nop 0
	v_subb_co_u32_e32 v11, vcc, 0, v29, vcc
	v_lshl_add_u64 v[10:11], v[10:11], 0, v[44:45]
	v_cmp_gt_i64_e32 vcc, v[10:11], v[34:35]
	v_not_b32_e32 v12, v44
	v_mov_b64_e32 v[40:41], 0
	v_cndmask_b32_e32 v11, v35, v11, vcc
	v_cndmask_b32_e32 v10, v34, v10, vcc
	v_sub_co_u32_e32 v14, vcc, v28, v0
	v_mov_b64_e32 v[54:55], 0
	s_nop 0
	v_subbrev_co_u32_e32 v15, vcc, 0, v29, vcc
	v_lshl_add_u64 v[12:13], v[14:15], 0, v[12:13]
	v_lshl_add_u64 v[44:45], v[12:13], 0, v[10:11]
	v_and_b32_e32 v10, 24, v44
	v_mov_b32_e32 v11, 0
	v_cmp_ne_u64_e32 vcc, 24, v[10:11]
	v_mov_b64_e32 v[38:39], 0
	v_mov_b64_e32 v[52:53], 0
	v_mov_b64_e32 v[30:31], 0
	v_mov_b64_e32 v[58:59], 0
	v_mov_b64_e32 v[56:57], 0
	v_mov_b64_e32 v[42:43], 0
	s_and_saveexec_b64 s[2:3], vcc
	s_cbranch_execz .LBB56_31
; %bb.28:
	v_lshrrev_b32_e32 v1, 3, v44
	v_add_u32_e32 v1, 1, v1
	v_and_b32_e32 v1, 3, v1
	v_sub_co_u32_e32 v48, vcc, 0, v1
	v_lshl_add_u64 v[46:47], v[32:33], 3, s[8:9]
	s_nop 0
	v_subb_co_u32_e64 v49, s[12:13], 0, 0, vcc
	s_mov_b64 s[10:11], 0
	v_mov_b64_e32 v[42:43], 0
	s_mov_b64 s[12:13], 0x800
	v_mov_b64_e32 v[56:57], 0
	v_mov_b64_e32 v[58:59], 0
	;; [unrolled: 1-line block ×7, first 2 shown]
.LBB56_29:                              ; =>This Inner Loop Header: Depth=1
	global_load_dwordx2 v[50:51], v[46:47], off
	global_load_dwordx4 v[10:13], v[36:37], off offset:48
	global_load_dwordx4 v[14:17], v[36:37], off offset:32
	;; [unrolled: 1-line block ×3, first 2 shown]
	global_load_dwordx4 v[22:25], v[36:37], off
	global_load_dwordx4 v[60:63], v[36:37], off offset:112
	global_load_dwordx4 v[64:67], v[36:37], off offset:96
	;; [unrolled: 1-line block ×12, first 2 shown]
	v_lshl_add_u64 v[48:49], v[48:49], 0, 1
	v_lshl_add_u64 v[36:37], v[36:37], 0, s[12:13]
	;; [unrolled: 1-line block ×4, first 2 shown]
	s_waitcnt vmcnt(16)
	v_sub_co_u32_e32 v50, vcc, v50, v28
	s_nop 1
	v_subb_co_u32_e32 v51, vcc, v51, v29, vcc
	v_lshlrev_b64 v[50:51], 6, v[50:51]
	v_lshl_add_u64 v[50:51], s[4:5], 0, v[50:51]
	global_load_dwordx4 v[108:111], v[50:51], off
	global_load_dwordx4 v[112:115], v[50:51], off offset:16
	global_load_dwordx4 v[116:119], v[50:51], off offset:32
	;; [unrolled: 1-line block ×3, first 2 shown]
	v_cmp_eq_u64_e32 vcc, 0, v[48:49]
	s_or_b64 s[10:11], vcc, s[10:11]
	s_waitcnt vmcnt(3)
	v_fmac_f64_e32 v[56:57], v[22:23], v[108:109]
	v_fmac_f64_e32 v[42:43], v[24:25], v[108:109]
	v_fmac_f64_e32 v[54:55], v[18:19], v[108:109]
	v_fmac_f64_e32 v[40:41], v[20:21], v[108:109]
	v_fmac_f64_e32 v[52:53], v[14:15], v[108:109]
	v_fmac_f64_e32 v[38:39], v[16:17], v[108:109]
	v_fmac_f64_e32 v[58:59], v[10:11], v[108:109]
	v_fmac_f64_e32 v[30:31], v[12:13], v[108:109]
	v_fma_f64 v[24:25], -v[24:25], v[110:111], v[56:57]
	v_fmac_f64_e32 v[42:43], v[22:23], v[110:111]
	v_fma_f64 v[20:21], -v[20:21], v[110:111], v[54:55]
	v_fmac_f64_e32 v[40:41], v[18:19], v[110:111]
	v_fma_f64 v[16:17], -v[16:17], v[110:111], v[52:53]
	v_fmac_f64_e32 v[38:39], v[14:15], v[110:111]
	v_fma_f64 v[12:13], -v[12:13], v[110:111], v[58:59]
	v_fmac_f64_e32 v[30:31], v[10:11], v[110:111]
	s_waitcnt vmcnt(2)
	v_fmac_f64_e32 v[24:25], v[72:73], v[112:113]
	v_fmac_f64_e32 v[42:43], v[74:75], v[112:113]
	v_fmac_f64_e32 v[20:21], v[68:69], v[112:113]
	v_fmac_f64_e32 v[40:41], v[70:71], v[112:113]
	v_fmac_f64_e32 v[16:17], v[64:65], v[112:113]
	v_fmac_f64_e32 v[38:39], v[66:67], v[112:113]
	v_fmac_f64_e32 v[12:13], v[60:61], v[112:113]
	v_fmac_f64_e32 v[30:31], v[62:63], v[112:113]
	v_fma_f64 v[10:11], -v[74:75], v[114:115], v[24:25]
	v_fmac_f64_e32 v[42:43], v[72:73], v[114:115]
	v_fma_f64 v[14:15], -v[70:71], v[114:115], v[20:21]
	v_fmac_f64_e32 v[40:41], v[68:69], v[114:115]
	v_fma_f64 v[16:17], -v[66:67], v[114:115], v[16:17]
	v_fmac_f64_e32 v[38:39], v[64:65], v[114:115]
	v_fma_f64 v[12:13], -v[62:63], v[114:115], v[12:13]
	v_fmac_f64_e32 v[30:31], v[60:61], v[114:115]
	;; [unrolled: 17-line block ×4, first 2 shown]
	s_andn2_b64 exec, exec, s[10:11]
	s_cbranch_execnz .LBB56_29
; %bb.30:
	s_or_b64 exec, exec, s[10:11]
.LBB56_31:
	s_or_b64 exec, exec, s[2:3]
	v_cmp_lt_u64_e32 vcc, 23, v[44:45]
	s_and_saveexec_b64 s[2:3], vcc
	s_cbranch_execz .LBB56_35
; %bb.32:
	v_lshl_add_u64 v[10:11], v[32:33], 3, s[8:9]
	s_mov_b64 s[8:9], 0x80
	v_lshl_add_u64 v[14:15], v[10:11], 0, s[8:9]
	s_mov_b64 s[8:9], 0
	s_mov_b64 s[10:11], 0x1000
	s_movk_i32 s16, 0x1000
	s_mov_b64 s[12:13], 0x100
	s_mov_b64 s[14:15], 0x2000
.LBB56_33:                              ; =>This Inner Loop Header: Depth=1
	global_load_dwordx2 v[10:11], v[14:15], off offset:-128
	global_load_dwordx4 v[16:19], v[36:37], off offset:48
	global_load_dwordx4 v[20:23], v[36:37], off offset:32
	;; [unrolled: 1-line block ×3, first 2 shown]
	global_load_dwordx4 v[48:51], v[36:37], off
	v_lshl_add_u64 v[32:33], v[32:33], 0, 32
	s_waitcnt vmcnt(4)
	v_sub_co_u32_e32 v10, vcc, v10, v28
	s_nop 1
	v_subb_co_u32_e32 v11, vcc, v11, v29, vcc
	v_lshlrev_b64 v[10:11], 6, v[10:11]
	v_lshl_add_u64 v[24:25], s[4:5], 0, v[10:11]
	global_load_dwordx4 v[10:13], v[24:25], off offset:48
	global_load_dwordx4 v[60:63], v[24:25], off offset:32
	;; [unrolled: 1-line block ×3, first 2 shown]
	global_load_dwordx4 v[68:71], v[24:25], off
	s_waitcnt vmcnt(0)
	v_fmac_f64_e32 v[56:57], v[48:49], v[68:69]
	v_fmac_f64_e32 v[42:43], v[50:51], v[68:69]
	;; [unrolled: 1-line block ×8, first 2 shown]
	v_fma_f64 v[24:25], -v[50:51], v[70:71], v[56:57]
	v_fmac_f64_e32 v[42:43], v[48:49], v[70:71]
	v_fma_f64 v[54:55], -v[46:47], v[70:71], v[54:55]
	v_fmac_f64_e32 v[40:41], v[44:45], v[70:71]
	v_fma_f64 v[52:53], -v[22:23], v[70:71], v[52:53]
	v_fmac_f64_e32 v[38:39], v[20:21], v[70:71]
	v_fma_f64 v[56:57], -v[18:19], v[70:71], v[58:59]
	v_fmac_f64_e32 v[30:31], v[16:17], v[70:71]
	global_load_dwordx4 v[16:19], v[36:37], off offset:112
	global_load_dwordx4 v[20:23], v[36:37], off offset:96
	global_load_dwordx4 v[44:47], v[36:37], off offset:80
	global_load_dwordx4 v[48:51], v[36:37], off offset:64
	s_waitcnt vmcnt(3)
	v_fmac_f64_e32 v[56:57], v[16:17], v[64:65]
	s_waitcnt vmcnt(2)
	v_fmac_f64_e32 v[52:53], v[20:21], v[64:65]
	s_waitcnt vmcnt(1)
	v_fmac_f64_e32 v[54:55], v[44:45], v[64:65]
	s_waitcnt vmcnt(0)
	v_fmac_f64_e32 v[24:25], v[48:49], v[64:65]
	v_fmac_f64_e32 v[42:43], v[50:51], v[64:65]
	v_fmac_f64_e32 v[40:41], v[46:47], v[64:65]
	v_fmac_f64_e32 v[38:39], v[22:23], v[64:65]
	v_fmac_f64_e32 v[30:31], v[18:19], v[64:65]
	v_fma_f64 v[24:25], -v[50:51], v[66:67], v[24:25]
	v_fmac_f64_e32 v[42:43], v[48:49], v[66:67]
	v_fma_f64 v[54:55], -v[46:47], v[66:67], v[54:55]
	v_fmac_f64_e32 v[40:41], v[44:45], v[66:67]
	v_fma_f64 v[52:53], -v[22:23], v[66:67], v[52:53]
	v_fmac_f64_e32 v[38:39], v[20:21], v[66:67]
	v_fma_f64 v[56:57], -v[18:19], v[66:67], v[56:57]
	v_fmac_f64_e32 v[30:31], v[16:17], v[66:67]
	global_load_dwordx4 v[16:19], v[36:37], off offset:176
	global_load_dwordx4 v[20:23], v[36:37], off offset:160
	global_load_dwordx4 v[44:47], v[36:37], off offset:144
	global_load_dwordx4 v[48:51], v[36:37], off offset:128
	s_waitcnt vmcnt(3)
	v_fmac_f64_e32 v[56:57], v[16:17], v[60:61]
	s_waitcnt vmcnt(2)
	v_fmac_f64_e32 v[52:53], v[20:21], v[60:61]
	s_waitcnt vmcnt(1)
	v_fmac_f64_e32 v[54:55], v[44:45], v[60:61]
	s_waitcnt vmcnt(0)
	v_fmac_f64_e32 v[24:25], v[48:49], v[60:61]
	v_fmac_f64_e32 v[42:43], v[50:51], v[60:61]
	v_fmac_f64_e32 v[40:41], v[46:47], v[60:61]
	v_fmac_f64_e32 v[38:39], v[22:23], v[60:61]
	v_fmac_f64_e32 v[30:31], v[18:19], v[60:61]
	;; [unrolled: 24-line block ×3, first 2 shown]
	global_load_dwordx2 v[10:11], v[14:15], off offset:-64
	v_fmac_f64_e32 v[42:43], v[48:49], v[12:13]
	v_fma_f64 v[24:25], -v[50:51], v[12:13], v[24:25]
	v_fma_f64 v[64:65], -v[46:47], v[12:13], v[54:55]
	v_fmac_f64_e32 v[40:41], v[44:45], v[12:13]
	v_fma_f64 v[66:67], -v[22:23], v[12:13], v[52:53]
	v_fmac_f64_e32 v[38:39], v[20:21], v[12:13]
	;; [unrolled: 2-line block ×3, first 2 shown]
	s_waitcnt vmcnt(0)
	v_sub_co_u32_e32 v48, vcc, v10, v28
	s_nop 1
	v_subb_co_u32_e32 v49, vcc, v11, v29, vcc
	v_lshlrev_b64 v[48:49], 6, v[48:49]
	v_lshl_add_u64 v[70:71], s[4:5], 0, v[48:49]
	global_load_dwordx4 v[10:13], v[36:37], off offset:2096
	global_load_dwordx4 v[16:19], v[36:37], off offset:2080
	;; [unrolled: 1-line block ×7, first 2 shown]
	global_load_dwordx4 v[60:63], v[70:71], off
	s_waitcnt vmcnt(0)
	v_fmac_f64_e32 v[24:25], v[44:45], v[60:61]
	v_fmac_f64_e32 v[42:43], v[46:47], v[60:61]
	;; [unrolled: 1-line block ×8, first 2 shown]
	v_fma_f64 v[24:25], -v[46:47], v[62:63], v[24:25]
	v_fmac_f64_e32 v[42:43], v[44:45], v[62:63]
	v_fma_f64 v[64:65], -v[22:23], v[62:63], v[64:65]
	v_fmac_f64_e32 v[40:41], v[20:21], v[62:63]
	;; [unrolled: 2-line block ×4, first 2 shown]
	global_load_dwordx4 v[10:13], v[36:37], off offset:2160
	global_load_dwordx4 v[16:19], v[36:37], off offset:2144
	global_load_dwordx4 v[20:23], v[36:37], off offset:2128
	global_load_dwordx4 v[44:47], v[36:37], off offset:2112
	s_waitcnt vmcnt(3)
	v_fmac_f64_e32 v[68:69], v[10:11], v[56:57]
	s_waitcnt vmcnt(2)
	v_fmac_f64_e32 v[66:67], v[16:17], v[56:57]
	;; [unrolled: 2-line block ×4, first 2 shown]
	v_fmac_f64_e32 v[42:43], v[46:47], v[56:57]
	v_fmac_f64_e32 v[40:41], v[22:23], v[56:57]
	;; [unrolled: 1-line block ×4, first 2 shown]
	v_fma_f64 v[24:25], -v[46:47], v[58:59], v[24:25]
	v_fmac_f64_e32 v[42:43], v[44:45], v[58:59]
	v_fma_f64 v[60:61], -v[22:23], v[58:59], v[64:65]
	v_fmac_f64_e32 v[40:41], v[20:21], v[58:59]
	;; [unrolled: 2-line block ×4, first 2 shown]
	global_load_dwordx4 v[10:13], v[36:37], off offset:2224
	global_load_dwordx4 v[16:19], v[36:37], off offset:2208
	;; [unrolled: 1-line block ×4, first 2 shown]
	s_waitcnt vmcnt(3)
	v_fmac_f64_e32 v[64:65], v[10:11], v[52:53]
	s_waitcnt vmcnt(2)
	v_fmac_f64_e32 v[62:63], v[16:17], v[52:53]
	;; [unrolled: 2-line block ×4, first 2 shown]
	v_fmac_f64_e32 v[42:43], v[46:47], v[52:53]
	v_fmac_f64_e32 v[40:41], v[22:23], v[52:53]
	;; [unrolled: 1-line block ×4, first 2 shown]
	v_fma_f64 v[24:25], -v[46:47], v[54:55], v[24:25]
	v_fmac_f64_e32 v[42:43], v[44:45], v[54:55]
	v_fma_f64 v[56:57], -v[22:23], v[54:55], v[60:61]
	v_fmac_f64_e32 v[40:41], v[20:21], v[54:55]
	;; [unrolled: 2-line block ×4, first 2 shown]
	global_load_dwordx4 v[10:13], v[36:37], off offset:2288
	global_load_dwordx4 v[16:19], v[36:37], off offset:2272
	;; [unrolled: 1-line block ×4, first 2 shown]
	s_waitcnt vmcnt(3)
	v_fmac_f64_e32 v[30:31], v[12:13], v[48:49]
	v_fmac_f64_e32 v[60:61], v[10:11], v[48:49]
	;; [unrolled: 1-line block ×3, first 2 shown]
	global_load_dwordx2 v[10:11], v[14:15], off
	s_waitcnt vmcnt(1)
	v_fmac_f64_e32 v[24:25], v[44:45], v[48:49]
	v_fmac_f64_e32 v[42:43], v[46:47], v[48:49]
	;; [unrolled: 1-line block ×6, first 2 shown]
	v_fma_f64 v[64:65], -v[46:47], v[50:51], v[24:25]
	v_fmac_f64_e32 v[42:43], v[44:45], v[50:51]
	v_fma_f64 v[66:67], -v[22:23], v[50:51], v[56:57]
	v_fmac_f64_e32 v[40:41], v[20:21], v[50:51]
	;; [unrolled: 2-line block ×3, first 2 shown]
	v_fma_f64 v[70:71], -v[12:13], v[50:51], v[60:61]
	v_lshl_add_u64 v[16:17], v[36:37], 0, s[10:11]
	s_waitcnt vmcnt(0)
	v_sub_co_u32_e32 v48, vcc, v10, v28
	s_nop 1
	v_subb_co_u32_e32 v49, vcc, v11, v29, vcc
	v_add_co_u32_e32 v50, vcc, s16, v36
	v_lshlrev_b64 v[48:49], 6, v[48:49]
	s_nop 0
	v_addc_co_u32_e32 v51, vcc, 0, v37, vcc
	v_lshl_add_u64 v[72:73], s[4:5], 0, v[48:49]
	global_load_dwordx4 v[10:13], v[50:51], off
	global_load_dwordx4 v[18:21], v[16:17], off offset:48
	global_load_dwordx4 v[22:25], v[16:17], off offset:32
	;; [unrolled: 1-line block ×3, first 2 shown]
	s_nop 0
	global_load_dwordx4 v[48:51], v[72:73], off offset:48
	global_load_dwordx4 v[52:55], v[72:73], off offset:32
	;; [unrolled: 1-line block ×3, first 2 shown]
	global_load_dwordx4 v[60:63], v[72:73], off
	v_lshl_add_u64 v[36:37], v[36:37], 0, s[14:15]
	s_waitcnt vmcnt(0)
	v_fmac_f64_e32 v[64:65], v[10:11], v[60:61]
	v_fmac_f64_e32 v[42:43], v[12:13], v[60:61]
	v_fmac_f64_e32 v[66:67], v[44:45], v[60:61]
	v_fmac_f64_e32 v[40:41], v[46:47], v[60:61]
	v_fmac_f64_e32 v[68:69], v[22:23], v[60:61]
	v_fmac_f64_e32 v[38:39], v[24:25], v[60:61]
	v_fmac_f64_e32 v[70:71], v[18:19], v[60:61]
	v_fmac_f64_e32 v[30:31], v[20:21], v[60:61]
	v_fma_f64 v[64:65], -v[12:13], v[62:63], v[64:65]
	v_fmac_f64_e32 v[42:43], v[10:11], v[62:63]
	v_fma_f64 v[66:67], -v[46:47], v[62:63], v[66:67]
	v_fmac_f64_e32 v[40:41], v[44:45], v[62:63]
	;; [unrolled: 2-line block ×4, first 2 shown]
	global_load_dwordx4 v[10:13], v[16:17], off offset:112
	global_load_dwordx4 v[18:21], v[16:17], off offset:96
	;; [unrolled: 1-line block ×4, first 2 shown]
	s_waitcnt vmcnt(3)
	v_fmac_f64_e32 v[70:71], v[10:11], v[56:57]
	s_waitcnt vmcnt(2)
	v_fmac_f64_e32 v[68:69], v[18:19], v[56:57]
	;; [unrolled: 2-line block ×4, first 2 shown]
	v_fmac_f64_e32 v[42:43], v[46:47], v[56:57]
	v_fmac_f64_e32 v[40:41], v[24:25], v[56:57]
	v_fmac_f64_e32 v[38:39], v[20:21], v[56:57]
	v_fmac_f64_e32 v[30:31], v[12:13], v[56:57]
	v_fma_f64 v[60:61], -v[46:47], v[58:59], v[64:65]
	v_fmac_f64_e32 v[42:43], v[44:45], v[58:59]
	v_fma_f64 v[62:63], -v[24:25], v[58:59], v[66:67]
	v_fmac_f64_e32 v[40:41], v[22:23], v[58:59]
	;; [unrolled: 2-line block ×4, first 2 shown]
	global_load_dwordx4 v[10:13], v[16:17], off offset:176
	global_load_dwordx4 v[18:21], v[16:17], off offset:160
	;; [unrolled: 1-line block ×4, first 2 shown]
	s_waitcnt vmcnt(3)
	v_fmac_f64_e32 v[66:67], v[10:11], v[52:53]
	s_waitcnt vmcnt(2)
	v_fmac_f64_e32 v[64:65], v[18:19], v[52:53]
	;; [unrolled: 2-line block ×4, first 2 shown]
	v_fmac_f64_e32 v[42:43], v[46:47], v[52:53]
	v_fmac_f64_e32 v[40:41], v[24:25], v[52:53]
	;; [unrolled: 1-line block ×4, first 2 shown]
	v_fma_f64 v[56:57], -v[46:47], v[54:55], v[60:61]
	v_fmac_f64_e32 v[42:43], v[44:45], v[54:55]
	v_fma_f64 v[58:59], -v[24:25], v[54:55], v[62:63]
	v_fmac_f64_e32 v[40:41], v[22:23], v[54:55]
	;; [unrolled: 2-line block ×4, first 2 shown]
	global_load_dwordx4 v[10:13], v[16:17], off offset:240
	global_load_dwordx4 v[44:47], v[16:17], off offset:224
	;; [unrolled: 1-line block ×4, first 2 shown]
	s_waitcnt vmcnt(3)
	v_fmac_f64_e32 v[30:31], v[12:13], v[48:49]
	v_fmac_f64_e32 v[62:63], v[10:11], v[48:49]
	v_fmac_f64_e32 v[30:31], v[10:11], v[50:51]
	global_load_dwordx2 v[10:11], v[14:15], off offset:64
	s_waitcnt vmcnt(1)
	v_fmac_f64_e32 v[56:57], v[52:53], v[48:49]
	v_fmac_f64_e32 v[42:43], v[54:55], v[48:49]
	;; [unrolled: 1-line block ×6, first 2 shown]
	v_fma_f64 v[18:19], -v[54:55], v[50:51], v[56:57]
	v_fmac_f64_e32 v[42:43], v[52:53], v[50:51]
	v_fma_f64 v[20:21], -v[24:25], v[50:51], v[58:59]
	v_fmac_f64_e32 v[40:41], v[22:23], v[50:51]
	;; [unrolled: 2-line block ×3, first 2 shown]
	v_fma_f64 v[24:25], -v[12:13], v[50:51], v[62:63]
	global_load_dwordx4 v[44:47], v[16:17], off offset:2096
	global_load_dwordx4 v[48:51], v[16:17], off offset:2080
	;; [unrolled: 1-line block ×4, first 2 shown]
	v_lshl_add_u64 v[14:15], v[14:15], 0, s[12:13]
	s_waitcnt vmcnt(4)
	v_sub_co_u32_e32 v10, vcc, v10, v28
	s_nop 1
	v_subb_co_u32_e32 v11, vcc, v11, v29, vcc
	v_lshlrev_b64 v[10:11], 6, v[10:11]
	v_lshl_add_u64 v[72:73], s[4:5], 0, v[10:11]
	global_load_dwordx4 v[10:13], v[72:73], off offset:48
	global_load_dwordx4 v[60:63], v[72:73], off offset:32
	;; [unrolled: 1-line block ×3, first 2 shown]
	global_load_dwordx4 v[68:71], v[72:73], off
	v_cmp_ge_i64_e32 vcc, v[32:33], v[34:35]
	s_or_b64 s[8:9], vcc, s[8:9]
	s_waitcnt vmcnt(0)
	v_fmac_f64_e32 v[18:19], v[56:57], v[68:69]
	v_fmac_f64_e32 v[42:43], v[58:59], v[68:69]
	;; [unrolled: 1-line block ×8, first 2 shown]
	v_fma_f64 v[72:73], -v[58:59], v[70:71], v[18:19]
	v_fmac_f64_e32 v[42:43], v[56:57], v[70:71]
	v_fma_f64 v[56:57], -v[54:55], v[70:71], v[20:21]
	v_fmac_f64_e32 v[40:41], v[52:53], v[70:71]
	;; [unrolled: 2-line block ×4, first 2 shown]
	global_load_dwordx4 v[18:21], v[16:17], off offset:2160
	global_load_dwordx4 v[22:25], v[16:17], off offset:2144
	;; [unrolled: 1-line block ×4, first 2 shown]
	s_waitcnt vmcnt(3)
	v_fmac_f64_e32 v[54:55], v[18:19], v[64:65]
	s_waitcnt vmcnt(2)
	v_fmac_f64_e32 v[52:53], v[22:23], v[64:65]
	;; [unrolled: 2-line block ×4, first 2 shown]
	v_fmac_f64_e32 v[42:43], v[50:51], v[64:65]
	v_fmac_f64_e32 v[40:41], v[46:47], v[64:65]
	;; [unrolled: 1-line block ×3, first 2 shown]
	v_fma_f64 v[58:59], -v[50:51], v[66:67], v[72:73]
	v_fmac_f64_e32 v[42:43], v[48:49], v[66:67]
	v_fma_f64 v[56:57], -v[46:47], v[66:67], v[56:57]
	v_fmac_f64_e32 v[40:41], v[44:45], v[66:67]
	;; [unrolled: 2-line block ×3, first 2 shown]
	v_fma_f64 v[70:71], -v[20:21], v[66:67], v[54:55]
	global_load_dwordx4 v[44:47], v[16:17], off offset:2224
	global_load_dwordx4 v[48:51], v[16:17], off offset:2208
	;; [unrolled: 1-line block ×4, first 2 shown]
	v_fmac_f64_e32 v[30:31], v[20:21], v[64:65]
	v_fmac_f64_e32 v[30:31], v[18:19], v[66:67]
	s_waitcnt vmcnt(3)
	v_fmac_f64_e32 v[70:71], v[44:45], v[60:61]
	s_waitcnt vmcnt(2)
	v_fmac_f64_e32 v[68:69], v[48:49], v[60:61]
	s_waitcnt vmcnt(1)
	v_fmac_f64_e32 v[56:57], v[22:23], v[60:61]
	s_waitcnt vmcnt(0)
	v_fmac_f64_e32 v[58:59], v[52:53], v[60:61]
	v_fmac_f64_e32 v[42:43], v[54:55], v[60:61]
	;; [unrolled: 1-line block ×5, first 2 shown]
	v_fma_f64 v[18:19], -v[54:55], v[62:63], v[58:59]
	v_fmac_f64_e32 v[42:43], v[52:53], v[62:63]
	v_fma_f64 v[20:21], -v[24:25], v[62:63], v[56:57]
	v_fmac_f64_e32 v[40:41], v[22:23], v[62:63]
	v_fma_f64 v[22:23], -v[50:51], v[62:63], v[68:69]
	v_fmac_f64_e32 v[38:39], v[48:49], v[62:63]
	v_fma_f64 v[24:25], -v[46:47], v[62:63], v[70:71]
	v_fmac_f64_e32 v[30:31], v[44:45], v[62:63]
	global_load_dwordx4 v[44:47], v[16:17], off offset:2288
	global_load_dwordx4 v[48:51], v[16:17], off offset:2272
	;; [unrolled: 1-line block ×4, first 2 shown]
	s_waitcnt vmcnt(3)
	v_fmac_f64_e32 v[24:25], v[44:45], v[10:11]
	s_waitcnt vmcnt(2)
	v_fmac_f64_e32 v[22:23], v[48:49], v[10:11]
	;; [unrolled: 2-line block ×4, first 2 shown]
	v_fmac_f64_e32 v[42:43], v[54:55], v[10:11]
	v_fmac_f64_e32 v[40:41], v[60:61], v[10:11]
	;; [unrolled: 1-line block ×4, first 2 shown]
	v_fma_f64 v[56:57], -v[54:55], v[12:13], v[18:19]
	v_fmac_f64_e32 v[42:43], v[52:53], v[12:13]
	v_fma_f64 v[54:55], -v[60:61], v[12:13], v[20:21]
	v_fmac_f64_e32 v[40:41], v[58:59], v[12:13]
	;; [unrolled: 2-line block ×4, first 2 shown]
	s_andn2_b64 exec, exec, s[8:9]
	s_cbranch_execnz .LBB56_33
; %bb.34:
	s_or_b64 exec, exec, s[8:9]
.LBB56_35:
	s_or_b64 exec, exec, s[2:3]
.LBB56_36:
	s_or_b64 exec, exec, s[6:7]
.LBB56_37:
	v_mov_b32_dpp v14, v42 row_shr:1 row_mask:0xf bank_mask:0xf
	v_mov_b32_dpp v15, v43 row_shr:1 row_mask:0xf bank_mask:0xf
	;; [unrolled: 1-line block ×6, first 2 shown]
	v_add_f64 v[14:15], v[42:43], v[14:15]
	v_mov_b32_dpp v18, v54 row_shr:1 row_mask:0xf bank_mask:0xf
	v_mov_b32_dpp v19, v55 row_shr:1 row_mask:0xf bank_mask:0xf
	;; [unrolled: 1-line block ×6, first 2 shown]
	v_add_f64 v[34:35], v[38:39], v[34:35]
	v_mov_b32_dpp v38, v58 row_shr:1 row_mask:0xf bank_mask:0xf
	v_mov_b32_dpp v39, v59 row_shr:1 row_mask:0xf bank_mask:0xf
	;; [unrolled: 1-line block ×4, first 2 shown]
	v_add_f64 v[10:11], v[56:57], v[10:11]
	v_add_f64 v[18:19], v[54:55], v[18:19]
	;; [unrolled: 1-line block ×6, first 2 shown]
	v_mov_b32_dpp v12, v10 row_shr:2 row_mask:0xf bank_mask:0xf
	v_mov_b32_dpp v13, v11 row_shr:2 row_mask:0xf bank_mask:0xf
	;; [unrolled: 1-line block ×16, first 2 shown]
	v_add_f64 v[10:11], v[10:11], v[12:13]
	v_add_f64 v[14:15], v[14:15], v[16:17]
	;; [unrolled: 1-line block ×8, first 2 shown]
	v_mov_b32_dpp v12, v10 row_shr:4 row_mask:0xf bank_mask:0xe
	v_mov_b32_dpp v13, v11 row_shr:4 row_mask:0xf bank_mask:0xe
	;; [unrolled: 1-line block ×16, first 2 shown]
	v_cmp_eq_u32_e32 vcc, 7, v0
	s_and_b64 exec, exec, vcc
	s_cbranch_execz .LBB56_8
; %bb.38:
	s_load_dwordx2 s[2:3], s[0:1], 0x68
	v_add_f64 v[0:1], v[10:11], v[12:13]
	v_add_f64 v[10:11], v[14:15], v[16:17]
	;; [unrolled: 1-line block ×8, first 2 shown]
	v_cmp_eq_f64_e32 vcc, 0, v[2:3]
	v_cmp_eq_f64_e64 s[0:1], 0, v[4:5]
	v_mul_f64 v[22:23], v[10:11], -v[8:9]
	v_mul_f64 v[24:25], v[6:7], v[10:11]
	v_mul_f64 v[18:19], v[12:13], -v[8:9]
	v_mul_f64 v[20:21], v[6:7], v[12:13]
	;; [unrolled: 2-line block ×4, first 2 shown]
	s_and_b64 s[0:1], vcc, s[0:1]
	v_fmac_f64_e32 v[22:23], v[6:7], v[0:1]
	v_fmac_f64_e32 v[24:25], v[8:9], v[0:1]
	v_lshlrev_b64 v[0:1], 6, v[26:27]
	v_fmac_f64_e32 v[18:19], v[6:7], v[44:45]
	v_fmac_f64_e32 v[20:21], v[8:9], v[44:45]
	;; [unrolled: 1-line block ×6, first 2 shown]
	s_and_saveexec_b64 s[4:5], s[0:1]
	s_xor_b64 s[0:1], exec, s[4:5]
	s_cbranch_execz .LBB56_40
; %bb.39:
	s_waitcnt lgkmcnt(0)
	v_lshl_add_u64 v[0:1], s[2:3], 0, v[0:1]
	global_store_dwordx4 v[0:1], v[22:25], off
	global_store_dwordx4 v[0:1], v[18:21], off offset:16
	global_store_dwordx4 v[0:1], v[14:17], off offset:32
	;; [unrolled: 1-line block ×3, first 2 shown]
                                        ; implicit-def: $vgpr4_vgpr5
                                        ; implicit-def: $vgpr22_vgpr23
                                        ; implicit-def: $vgpr0_vgpr1
                                        ; implicit-def: $vgpr18_vgpr19
                                        ; implicit-def: $vgpr14_vgpr15
                                        ; implicit-def: $vgpr10_vgpr11
.LBB56_40:
	s_andn2_saveexec_b64 s[0:1], s[0:1]
	s_cbranch_execz .LBB56_8
; %bb.41:
	s_waitcnt lgkmcnt(0)
	v_lshl_add_u64 v[0:1], s[2:3], 0, v[0:1]
	global_load_dwordx4 v[6:9], v[0:1], off
	global_load_dwordx4 v[26:29], v[0:1], off offset:16
	global_load_dwordx4 v[30:33], v[0:1], off offset:32
	;; [unrolled: 1-line block ×3, first 2 shown]
	s_waitcnt vmcnt(3)
	v_fmac_f64_e32 v[22:23], v[2:3], v[6:7]
	v_fmac_f64_e32 v[24:25], v[4:5], v[6:7]
	s_waitcnt vmcnt(2)
	v_fmac_f64_e32 v[18:19], v[2:3], v[26:27]
	v_fmac_f64_e32 v[20:21], v[4:5], v[26:27]
	;; [unrolled: 3-line block ×4, first 2 shown]
	v_fma_f64 v[22:23], -v[4:5], v[8:9], v[22:23]
	v_fmac_f64_e32 v[24:25], v[2:3], v[8:9]
	v_fma_f64 v[18:19], -v[4:5], v[28:29], v[18:19]
	v_fmac_f64_e32 v[20:21], v[2:3], v[28:29]
	;; [unrolled: 2-line block ×4, first 2 shown]
	global_store_dwordx4 v[0:1], v[22:25], off
	global_store_dwordx4 v[0:1], v[18:21], off offset:16
	global_store_dwordx4 v[0:1], v[14:17], off offset:32
	;; [unrolled: 1-line block ×3, first 2 shown]
	s_endpgm
	.section	.rodata,"a",@progbits
	.p2align	6, 0x0
	.amdhsa_kernel _ZN9rocsparseL18bsrxmvn_4x4_kernelILj128ELj8E21rocsparse_complex_numIdEllS2_S2_S2_EEvT3_20rocsparse_direction_NS_24const_host_device_scalarIT1_EES3_PKS3_PKT2_SC_S9_PKT4_PKT5_S7_PT6_21rocsparse_index_base_b
		.amdhsa_group_segment_fixed_size 0
		.amdhsa_private_segment_fixed_size 0
		.amdhsa_kernarg_size 120
		.amdhsa_user_sgpr_count 2
		.amdhsa_user_sgpr_dispatch_ptr 0
		.amdhsa_user_sgpr_queue_ptr 0
		.amdhsa_user_sgpr_kernarg_segment_ptr 1
		.amdhsa_user_sgpr_dispatch_id 0
		.amdhsa_user_sgpr_kernarg_preload_length 0
		.amdhsa_user_sgpr_kernarg_preload_offset 0
		.amdhsa_user_sgpr_private_segment_size 0
		.amdhsa_uses_dynamic_stack 0
		.amdhsa_enable_private_segment 0
		.amdhsa_system_sgpr_workgroup_id_x 1
		.amdhsa_system_sgpr_workgroup_id_y 0
		.amdhsa_system_sgpr_workgroup_id_z 0
		.amdhsa_system_sgpr_workgroup_info 0
		.amdhsa_system_vgpr_workitem_id 0
		.amdhsa_next_free_vgpr 124
		.amdhsa_next_free_sgpr 21
		.amdhsa_accum_offset 124
		.amdhsa_reserve_vcc 1
		.amdhsa_float_round_mode_32 0
		.amdhsa_float_round_mode_16_64 0
		.amdhsa_float_denorm_mode_32 3
		.amdhsa_float_denorm_mode_16_64 3
		.amdhsa_dx10_clamp 1
		.amdhsa_ieee_mode 1
		.amdhsa_fp16_overflow 0
		.amdhsa_tg_split 0
		.amdhsa_exception_fp_ieee_invalid_op 0
		.amdhsa_exception_fp_denorm_src 0
		.amdhsa_exception_fp_ieee_div_zero 0
		.amdhsa_exception_fp_ieee_overflow 0
		.amdhsa_exception_fp_ieee_underflow 0
		.amdhsa_exception_fp_ieee_inexact 0
		.amdhsa_exception_int_div_zero 0
	.end_amdhsa_kernel
	.section	.text._ZN9rocsparseL18bsrxmvn_4x4_kernelILj128ELj8E21rocsparse_complex_numIdEllS2_S2_S2_EEvT3_20rocsparse_direction_NS_24const_host_device_scalarIT1_EES3_PKS3_PKT2_SC_S9_PKT4_PKT5_S7_PT6_21rocsparse_index_base_b,"axG",@progbits,_ZN9rocsparseL18bsrxmvn_4x4_kernelILj128ELj8E21rocsparse_complex_numIdEllS2_S2_S2_EEvT3_20rocsparse_direction_NS_24const_host_device_scalarIT1_EES3_PKS3_PKT2_SC_S9_PKT4_PKT5_S7_PT6_21rocsparse_index_base_b,comdat
.Lfunc_end56:
	.size	_ZN9rocsparseL18bsrxmvn_4x4_kernelILj128ELj8E21rocsparse_complex_numIdEllS2_S2_S2_EEvT3_20rocsparse_direction_NS_24const_host_device_scalarIT1_EES3_PKS3_PKT2_SC_S9_PKT4_PKT5_S7_PT6_21rocsparse_index_base_b, .Lfunc_end56-_ZN9rocsparseL18bsrxmvn_4x4_kernelILj128ELj8E21rocsparse_complex_numIdEllS2_S2_S2_EEvT3_20rocsparse_direction_NS_24const_host_device_scalarIT1_EES3_PKS3_PKT2_SC_S9_PKT4_PKT5_S7_PT6_21rocsparse_index_base_b
                                        ; -- End function
	.set _ZN9rocsparseL18bsrxmvn_4x4_kernelILj128ELj8E21rocsparse_complex_numIdEllS2_S2_S2_EEvT3_20rocsparse_direction_NS_24const_host_device_scalarIT1_EES3_PKS3_PKT2_SC_S9_PKT4_PKT5_S7_PT6_21rocsparse_index_base_b.num_vgpr, 124
	.set _ZN9rocsparseL18bsrxmvn_4x4_kernelILj128ELj8E21rocsparse_complex_numIdEllS2_S2_S2_EEvT3_20rocsparse_direction_NS_24const_host_device_scalarIT1_EES3_PKS3_PKT2_SC_S9_PKT4_PKT5_S7_PT6_21rocsparse_index_base_b.num_agpr, 0
	.set _ZN9rocsparseL18bsrxmvn_4x4_kernelILj128ELj8E21rocsparse_complex_numIdEllS2_S2_S2_EEvT3_20rocsparse_direction_NS_24const_host_device_scalarIT1_EES3_PKS3_PKT2_SC_S9_PKT4_PKT5_S7_PT6_21rocsparse_index_base_b.numbered_sgpr, 21
	.set _ZN9rocsparseL18bsrxmvn_4x4_kernelILj128ELj8E21rocsparse_complex_numIdEllS2_S2_S2_EEvT3_20rocsparse_direction_NS_24const_host_device_scalarIT1_EES3_PKS3_PKT2_SC_S9_PKT4_PKT5_S7_PT6_21rocsparse_index_base_b.num_named_barrier, 0
	.set _ZN9rocsparseL18bsrxmvn_4x4_kernelILj128ELj8E21rocsparse_complex_numIdEllS2_S2_S2_EEvT3_20rocsparse_direction_NS_24const_host_device_scalarIT1_EES3_PKS3_PKT2_SC_S9_PKT4_PKT5_S7_PT6_21rocsparse_index_base_b.private_seg_size, 0
	.set _ZN9rocsparseL18bsrxmvn_4x4_kernelILj128ELj8E21rocsparse_complex_numIdEllS2_S2_S2_EEvT3_20rocsparse_direction_NS_24const_host_device_scalarIT1_EES3_PKS3_PKT2_SC_S9_PKT4_PKT5_S7_PT6_21rocsparse_index_base_b.uses_vcc, 1
	.set _ZN9rocsparseL18bsrxmvn_4x4_kernelILj128ELj8E21rocsparse_complex_numIdEllS2_S2_S2_EEvT3_20rocsparse_direction_NS_24const_host_device_scalarIT1_EES3_PKS3_PKT2_SC_S9_PKT4_PKT5_S7_PT6_21rocsparse_index_base_b.uses_flat_scratch, 0
	.set _ZN9rocsparseL18bsrxmvn_4x4_kernelILj128ELj8E21rocsparse_complex_numIdEllS2_S2_S2_EEvT3_20rocsparse_direction_NS_24const_host_device_scalarIT1_EES3_PKS3_PKT2_SC_S9_PKT4_PKT5_S7_PT6_21rocsparse_index_base_b.has_dyn_sized_stack, 0
	.set _ZN9rocsparseL18bsrxmvn_4x4_kernelILj128ELj8E21rocsparse_complex_numIdEllS2_S2_S2_EEvT3_20rocsparse_direction_NS_24const_host_device_scalarIT1_EES3_PKS3_PKT2_SC_S9_PKT4_PKT5_S7_PT6_21rocsparse_index_base_b.has_recursion, 0
	.set _ZN9rocsparseL18bsrxmvn_4x4_kernelILj128ELj8E21rocsparse_complex_numIdEllS2_S2_S2_EEvT3_20rocsparse_direction_NS_24const_host_device_scalarIT1_EES3_PKS3_PKT2_SC_S9_PKT4_PKT5_S7_PT6_21rocsparse_index_base_b.has_indirect_call, 0
	.section	.AMDGPU.csdata,"",@progbits
; Kernel info:
; codeLenInByte = 7872
; TotalNumSgprs: 27
; NumVgprs: 124
; NumAgprs: 0
; TotalNumVgprs: 124
; ScratchSize: 0
; MemoryBound: 1
; FloatMode: 240
; IeeeMode: 1
; LDSByteSize: 0 bytes/workgroup (compile time only)
; SGPRBlocks: 3
; VGPRBlocks: 15
; NumSGPRsForWavesPerEU: 27
; NumVGPRsForWavesPerEU: 124
; AccumOffset: 124
; Occupancy: 4
; WaveLimiterHint : 1
; COMPUTE_PGM_RSRC2:SCRATCH_EN: 0
; COMPUTE_PGM_RSRC2:USER_SGPR: 2
; COMPUTE_PGM_RSRC2:TRAP_HANDLER: 0
; COMPUTE_PGM_RSRC2:TGID_X_EN: 1
; COMPUTE_PGM_RSRC2:TGID_Y_EN: 0
; COMPUTE_PGM_RSRC2:TGID_Z_EN: 0
; COMPUTE_PGM_RSRC2:TIDIG_COMP_CNT: 0
; COMPUTE_PGM_RSRC3_GFX90A:ACCUM_OFFSET: 30
; COMPUTE_PGM_RSRC3_GFX90A:TG_SPLIT: 0
	.section	.text._ZN9rocsparseL18bsrxmvn_4x4_kernelILj128ELj16E21rocsparse_complex_numIdEllS2_S2_S2_EEvT3_20rocsparse_direction_NS_24const_host_device_scalarIT1_EES3_PKS3_PKT2_SC_S9_PKT4_PKT5_S7_PT6_21rocsparse_index_base_b,"axG",@progbits,_ZN9rocsparseL18bsrxmvn_4x4_kernelILj128ELj16E21rocsparse_complex_numIdEllS2_S2_S2_EEvT3_20rocsparse_direction_NS_24const_host_device_scalarIT1_EES3_PKS3_PKT2_SC_S9_PKT4_PKT5_S7_PT6_21rocsparse_index_base_b,comdat
	.globl	_ZN9rocsparseL18bsrxmvn_4x4_kernelILj128ELj16E21rocsparse_complex_numIdEllS2_S2_S2_EEvT3_20rocsparse_direction_NS_24const_host_device_scalarIT1_EES3_PKS3_PKT2_SC_S9_PKT4_PKT5_S7_PT6_21rocsparse_index_base_b ; -- Begin function _ZN9rocsparseL18bsrxmvn_4x4_kernelILj128ELj16E21rocsparse_complex_numIdEllS2_S2_S2_EEvT3_20rocsparse_direction_NS_24const_host_device_scalarIT1_EES3_PKS3_PKT2_SC_S9_PKT4_PKT5_S7_PT6_21rocsparse_index_base_b
	.p2align	8
	.type	_ZN9rocsparseL18bsrxmvn_4x4_kernelILj128ELj16E21rocsparse_complex_numIdEllS2_S2_S2_EEvT3_20rocsparse_direction_NS_24const_host_device_scalarIT1_EES3_PKS3_PKT2_SC_S9_PKT4_PKT5_S7_PT6_21rocsparse_index_base_b,@function
_ZN9rocsparseL18bsrxmvn_4x4_kernelILj128ELj16E21rocsparse_complex_numIdEllS2_S2_S2_EEvT3_20rocsparse_direction_NS_24const_host_device_scalarIT1_EES3_PKS3_PKT2_SC_S9_PKT4_PKT5_S7_PT6_21rocsparse_index_base_b: ; @_ZN9rocsparseL18bsrxmvn_4x4_kernelILj128ELj16E21rocsparse_complex_numIdEllS2_S2_S2_EEvT3_20rocsparse_direction_NS_24const_host_device_scalarIT1_EES3_PKS3_PKT2_SC_S9_PKT4_PKT5_S7_PT6_21rocsparse_index_base_b
; %bb.0:
	s_load_dwordx2 s[4:5], s[0:1], 0x10
	s_load_dwordx2 s[6:7], s[0:1], 0x70
	s_add_u32 s3, s0, 16
	s_addc_u32 s10, s1, 0
	s_add_u32 s11, s0, 0x58
	s_load_dwordx2 s[8:9], s[0:1], 0x58
	s_addc_u32 s12, s1, 0
	s_waitcnt lgkmcnt(0)
	s_bitcmp1_b32 s7, 0
	s_cselect_b32 s5, s10, s5
	s_cselect_b32 s3, s3, s4
	v_mov_b32_e32 v2, s3
	v_mov_b32_e32 v3, s5
	flat_load_dwordx4 v[6:9], v[2:3]
	s_cselect_b32 s3, s12, s9
	s_cselect_b32 s4, s11, s8
	v_mov_b32_e32 v2, s4
	v_mov_b32_e32 v3, s3
	flat_load_dwordx4 v[2:5], v[2:3]
	s_waitcnt vmcnt(0) lgkmcnt(0)
	v_cmp_eq_f64_e32 vcc, 0, v[6:7]
	v_cmp_eq_f64_e64 s[4:5], 0, v[8:9]
	s_and_b64 s[10:11], vcc, s[4:5]
	s_mov_b64 s[4:5], -1
	s_and_saveexec_b64 s[8:9], s[10:11]
; %bb.1:
	v_cmp_neq_f64_e32 vcc, 1.0, v[2:3]
	v_cmp_neq_f64_e64 s[4:5], 0, v[4:5]
	s_or_b64 s[4:5], vcc, s[4:5]
	s_orn2_b64 s[4:5], s[4:5], exec
; %bb.2:
	s_or_b64 exec, exec, s[8:9]
	s_and_saveexec_b64 s[8:9], s[4:5]
	s_cbranch_execz .LBB57_8
; %bb.3:
	s_load_dwordx2 s[4:5], s[0:1], 0x28
	v_lshrrev_b32_e32 v1, 4, v0
	v_lshl_or_b32 v10, s2, 3, v1
	v_mov_b32_e32 v11, 0
	s_mov_b64 s[2:3], 0
	s_waitcnt lgkmcnt(0)
	s_cmp_lg_u64 s[4:5], 0
	s_cbranch_scc0 .LBB57_9
; %bb.4:
	s_load_dwordx2 s[8:9], s[0:1], 0x20
                                        ; implicit-def: $vgpr26_vgpr27
                                        ; implicit-def: $vgpr28_vgpr29
	s_waitcnt lgkmcnt(0)
	v_cmp_gt_i64_e32 vcc, s[8:9], v[10:11]
	s_and_saveexec_b64 s[8:9], vcc
	s_xor_b64 s[8:9], exec, s[8:9]
	s_cbranch_execz .LBB57_6
; %bb.5:
	v_lshl_add_u64 v[12:13], v[10:11], 3, s[4:5]
	global_load_dwordx2 v[12:13], v[12:13], off
	s_mov_b32 s7, 0
	s_mov_b64 s[2:3], exec
	v_mov_b64_e32 v[28:29], s[6:7]
	s_waitcnt vmcnt(0)
	v_subrev_co_u32_e32 v26, vcc, s6, v12
	s_nop 1
	v_subbrev_co_u32_e32 v27, vcc, 0, v13, vcc
.LBB57_6:
	s_or_b64 exec, exec, s[8:9]
.LBB57_7:
	s_and_b64 exec, exec, s[2:3]
	s_cbranch_execnz .LBB57_13
.LBB57_8:
	s_endpgm
.LBB57_9:
                                        ; implicit-def: $vgpr26_vgpr27
                                        ; implicit-def: $vgpr28_vgpr29
	s_cbranch_execz .LBB57_7
; %bb.10:
	s_load_dwordx2 s[4:5], s[0:1], 0x0
	s_waitcnt lgkmcnt(0)
	v_cmp_gt_i64_e32 vcc, s[4:5], v[10:11]
	s_and_saveexec_b64 s[4:5], vcc
; %bb.11:
	s_mov_b32 s7, 0
	s_or_b64 s[2:3], s[2:3], exec
; %bb.12:
	s_or_b64 exec, exec, s[4:5]
	v_mov_b64_e32 v[28:29], s[6:7]
	v_mov_b64_e32 v[26:27], v[10:11]
	s_and_b64 exec, exec, s[2:3]
	s_cbranch_execz .LBB57_8
.LBB57_13:
	s_load_dwordx8 s[4:11], s[0:1], 0x30
	v_lshlrev_b64 v[10:11], 3, v[26:27]
	v_and_b32_e32 v0, 15, v0
	v_mov_b32_e32 v1, 0
	s_waitcnt lgkmcnt(0)
	v_lshl_add_u64 v[12:13], s[4:5], 0, v[10:11]
	s_cmp_eq_u64 s[6:7], 0
	v_lshl_add_u64 v[10:11], s[6:7], 0, v[10:11]
	global_load_dwordx2 v[44:45], v[12:13], off
	v_lshl_add_u64 v[12:13], v[12:13], 0, 8
	s_cselect_b64 vcc, -1, 0
	v_cndmask_b32_e32 v11, v11, v13, vcc
	v_cndmask_b32_e32 v10, v10, v12, vcc
	global_load_dwordx2 v[10:11], v[10:11], off
	s_load_dword s2, s[0:1], 0x8
	s_load_dwordx2 s[4:5], s[0:1], 0x50
	s_waitcnt lgkmcnt(0)
	s_cmp_eq_u32 s2, 1
	s_waitcnt vmcnt(1)
	v_sub_co_u32_e32 v12, vcc, v44, v28
	s_nop 1
	v_subb_co_u32_e32 v13, vcc, v45, v29, vcc
	v_lshl_add_u64 v[32:33], v[12:13], 0, v[0:1]
	s_waitcnt vmcnt(0)
	v_sub_co_u32_e32 v34, vcc, v10, v28
	s_nop 1
	v_subb_co_u32_e32 v35, vcc, v11, v29, vcc
	v_lshlrev_b64 v[10:11], 8, v[32:33]
	v_lshl_add_u64 v[38:39], s[10:11], 0, v[10:11]
	v_cmp_lt_i64_e64 s[2:3], v[32:33], v[34:35]
	s_cbranch_scc1 .LBB57_25
; %bb.14:
	v_mov_b64_e32 v[42:43], 0
	v_mov_b64_e32 v[56:57], 0
	;; [unrolled: 1-line block ×8, first 2 shown]
	s_and_saveexec_b64 s[6:7], s[2:3]
	s_cbranch_execz .LBB57_24
; %bb.15:
	v_or_b32_e32 v1, 16, v0
	v_sub_co_u32_e32 v10, vcc, v1, v28
	v_not_b32_e32 v13, v45
	s_nop 0
	v_subb_co_u32_e32 v11, vcc, 0, v29, vcc
	v_lshl_add_u64 v[10:11], v[10:11], 0, v[44:45]
	v_cmp_gt_i64_e32 vcc, v[10:11], v[34:35]
	v_not_b32_e32 v12, v44
	v_mov_b64_e32 v[40:41], 0
	v_cndmask_b32_e32 v11, v35, v11, vcc
	v_cndmask_b32_e32 v10, v34, v10, vcc
	v_sub_co_u32_e32 v14, vcc, v28, v0
	v_mov_b64_e32 v[58:59], 0
	s_nop 0
	v_subbrev_co_u32_e32 v15, vcc, 0, v29, vcc
	v_lshl_add_u64 v[12:13], v[14:15], 0, v[12:13]
	v_lshl_add_u64 v[10:11], v[12:13], 0, v[10:11]
	v_and_b32_e32 v12, 48, v10
	v_mov_b32_e32 v13, 0
	v_cmp_ne_u64_e32 vcc, 48, v[12:13]
	v_mov_b64_e32 v[36:37], 0
	v_mov_b64_e32 v[54:55], 0
	;; [unrolled: 1-line block ×8, first 2 shown]
	s_and_saveexec_b64 s[10:11], vcc
	s_cbranch_execz .LBB57_19
; %bb.16:
	v_lshrrev_b32_e32 v1, 4, v10
	v_add_u32_e32 v1, 1, v1
	v_and_b32_e32 v1, 3, v1
	v_sub_co_u32_e32 v14, vcc, 0, v1
	v_lshl_add_u64 v[12:13], v[32:33], 3, s[8:9]
	s_nop 0
	v_subb_co_u32_e64 v15, s[14:15], 0, 0, vcc
	s_mov_b64 s[12:13], 0
	v_mov_b64_e32 v[42:43], 0
	s_mov_b64 s[14:15], 0x1000
	s_mov_b64 s[16:17], 0x80
	v_mov_b64_e32 v[48:49], v[32:33]
	v_mov_b64_e32 v[46:47], v[38:39]
	;; [unrolled: 1-line block ×9, first 2 shown]
.LBB57_17:                              ; =>This Inner Loop Header: Depth=1
	global_load_dwordx2 v[24:25], v[12:13], off
	global_load_dwordx4 v[16:19], v[46:47], off offset:16
	global_load_dwordx4 v[20:23], v[46:47], off
	global_load_dwordx4 v[60:63], v[46:47], off offset:80
	global_load_dwordx4 v[64:67], v[46:47], off offset:64
	;; [unrolled: 1-line block ×5, first 2 shown]
	v_lshl_add_u64 v[14:15], v[14:15], 0, 1
	v_lshl_add_u64 v[48:49], v[48:49], 0, 16
	;; [unrolled: 1-line block ×3, first 2 shown]
	s_waitcnt vmcnt(7)
	v_sub_co_u32_e32 v24, vcc, v24, v28
	s_nop 1
	v_subb_co_u32_e32 v25, vcc, v25, v29, vcc
	v_lshlrev_b64 v[24:25], 6, v[24:25]
	v_lshl_add_u64 v[24:25], s[4:5], 0, v[24:25]
	global_load_dwordx4 v[80:83], v[24:25], off
	v_cmp_eq_u64_e32 vcc, 0, v[14:15]
	s_or_b64 s[12:13], vcc, s[12:13]
	s_waitcnt vmcnt(0)
	v_fmac_f64_e32 v[56:57], v[20:21], v[80:81]
	v_fmac_f64_e32 v[42:43], v[22:23], v[80:81]
	;; [unrolled: 1-line block ×7, first 2 shown]
	v_fma_f64 v[84:85], -v[22:23], v[82:83], v[56:57]
	v_fmac_f64_e32 v[42:43], v[20:21], v[82:83]
	global_load_dwordx4 v[20:23], v[46:47], off offset:208
	v_fma_f64 v[58:59], -v[66:67], v[82:83], v[58:59]
	v_fmac_f64_e32 v[40:41], v[64:65], v[82:83]
	global_load_dwordx4 v[64:67], v[46:47], off offset:48
	;; [unrolled: 3-line block ×3, first 2 shown]
	v_fmac_f64_e32 v[30:31], v[78:79], v[80:81]
	v_fma_f64 v[78:79], -v[78:79], v[82:83], v[52:53]
	global_load_dwordx4 v[50:53], v[46:47], off offset:112
	global_load_dwordx4 v[72:75], v[24:25], off offset:16
	v_fmac_f64_e32 v[30:31], v[76:77], v[82:83]
	s_waitcnt vmcnt(0)
	v_fmac_f64_e32 v[84:85], v[16:17], v[72:73]
	v_fmac_f64_e32 v[42:43], v[18:19], v[72:73]
	;; [unrolled: 1-line block ×8, first 2 shown]
	v_fma_f64 v[76:77], -v[18:19], v[74:75], v[84:85]
	v_fmac_f64_e32 v[42:43], v[16:17], v[74:75]
	global_load_dwordx4 v[16:19], v[46:47], off offset:96
	v_fma_f64 v[58:59], -v[62:63], v[74:75], v[58:59]
	v_fmac_f64_e32 v[40:41], v[60:61], v[74:75]
	global_load_dwordx4 v[60:63], v[46:47], off offset:176
	v_fma_f64 v[80:81], -v[70:71], v[74:75], v[86:87]
	v_fmac_f64_e32 v[36:37], v[68:69], v[74:75]
	global_load_dwordx4 v[68:71], v[46:47], off offset:160
	v_fma_f64 v[82:83], -v[22:23], v[74:75], v[78:79]
	v_fmac_f64_e32 v[30:31], v[20:21], v[74:75]
	global_load_dwordx4 v[20:23], v[46:47], off offset:224
	global_load_dwordx4 v[72:75], v[24:25], off offset:32
	s_waitcnt vmcnt(0)
	v_fmac_f64_e32 v[76:77], v[54:55], v[72:73]
	v_fmac_f64_e32 v[42:43], v[56:57], v[72:73]
	;; [unrolled: 1-line block ×4, first 2 shown]
	v_fma_f64 v[56:57], -v[56:57], v[74:75], v[76:77]
	v_fmac_f64_e32 v[42:43], v[54:55], v[74:75]
	global_load_dwordx4 v[76:79], v[46:47], off offset:240
	v_fma_f64 v[54:55], -v[18:19], v[74:75], v[58:59]
	v_fmac_f64_e32 v[40:41], v[16:17], v[74:75]
	global_load_dwordx4 v[16:19], v[24:25], off offset:48
	v_fmac_f64_e32 v[80:81], v[68:69], v[72:73]
	v_fmac_f64_e32 v[36:37], v[70:71], v[72:73]
	;; [unrolled: 1-line block ×4, first 2 shown]
	v_fma_f64 v[24:25], -v[70:71], v[74:75], v[80:81]
	v_fmac_f64_e32 v[36:37], v[68:69], v[74:75]
	v_fma_f64 v[22:23], -v[22:23], v[74:75], v[82:83]
	v_fmac_f64_e32 v[30:31], v[20:21], v[74:75]
	v_lshl_add_u64 v[46:47], v[46:47], 0, s[14:15]
	s_waitcnt vmcnt(0)
	v_fmac_f64_e32 v[56:57], v[64:65], v[16:17]
	v_fmac_f64_e32 v[42:43], v[66:67], v[16:17]
	;; [unrolled: 1-line block ×8, first 2 shown]
	v_fma_f64 v[56:57], -v[66:67], v[18:19], v[56:57]
	v_fmac_f64_e32 v[42:43], v[64:65], v[18:19]
	v_fma_f64 v[58:59], -v[52:53], v[18:19], v[54:55]
	v_fmac_f64_e32 v[40:41], v[50:51], v[18:19]
	;; [unrolled: 2-line block ×4, first 2 shown]
	s_andn2_b64 exec, exec, s[12:13]
	s_cbranch_execnz .LBB57_17
; %bb.18:
	s_or_b64 exec, exec, s[12:13]
.LBB57_19:
	s_or_b64 exec, exec, s[10:11]
	v_cmp_lt_u64_e32 vcc, 47, v[10:11]
	s_and_saveexec_b64 s[10:11], vcc
	s_cbranch_execz .LBB57_23
; %bb.20:
	v_lshl_add_u64 v[10:11], v[48:49], 3, s[8:9]
	s_mov_b64 s[12:13], 0x100
	v_lshl_add_u64 v[50:51], v[10:11], 0, s[12:13]
	s_mov_b64 s[12:13], 0
	s_mov_b64 s[14:15], 0x1000
	;; [unrolled: 1-line block ×3, first 2 shown]
	s_movk_i32 s24, 0x2000
	s_mov_b64 s[18:19], 0x3000
	s_movk_i32 s25, 0x3000
	s_mov_b64 s[20:21], 0x200
	s_mov_b64 s[22:23], 0x4000
.LBB57_21:                              ; =>This Inner Loop Header: Depth=1
	global_load_dwordx2 v[10:11], v[50:51], off offset:-256
	global_load_dwordx4 v[60:63], v[46:47], off offset:48
	global_load_dwordx4 v[64:67], v[46:47], off offset:32
	;; [unrolled: 1-line block ×3, first 2 shown]
	global_load_dwordx4 v[72:75], v[46:47], off
	v_lshl_add_u64 v[84:85], v[46:47], 0, s[14:15]
	v_lshl_add_u64 v[48:49], v[48:49], 0, 64
	s_waitcnt vmcnt(4)
	v_sub_co_u32_e32 v10, vcc, v10, v28
	s_nop 1
	v_subb_co_u32_e32 v11, vcc, v11, v29, vcc
	v_lshlrev_b64 v[10:11], 6, v[10:11]
	v_lshl_add_u64 v[76:77], s[4:5], 0, v[10:11]
	global_load_dwordx4 v[10:13], v[76:77], off offset:48
	global_load_dwordx4 v[14:17], v[76:77], off offset:32
	;; [unrolled: 1-line block ×3, first 2 shown]
	global_load_dwordx4 v[22:25], v[76:77], off
	s_waitcnt vmcnt(0)
	v_fmac_f64_e32 v[56:57], v[72:73], v[22:23]
	v_fmac_f64_e32 v[42:43], v[74:75], v[22:23]
	v_fma_f64 v[56:57], -v[74:75], v[24:25], v[56:57]
	v_fmac_f64_e32 v[42:43], v[72:73], v[24:25]
	v_fmac_f64_e32 v[56:57], v[68:69], v[18:19]
	v_fmac_f64_e32 v[42:43], v[70:71], v[18:19]
	v_fma_f64 v[56:57], -v[70:71], v[20:21], v[56:57]
	v_fmac_f64_e32 v[42:43], v[68:69], v[20:21]
	v_fmac_f64_e32 v[56:57], v[64:65], v[14:15]
	v_fmac_f64_e32 v[42:43], v[66:67], v[14:15]
	v_fma_f64 v[56:57], -v[66:67], v[16:17], v[56:57]
	v_fmac_f64_e32 v[42:43], v[64:65], v[16:17]
	v_fmac_f64_e32 v[56:57], v[60:61], v[10:11]
	v_fmac_f64_e32 v[42:43], v[62:63], v[10:11]
	v_fma_f64 v[56:57], -v[62:63], v[12:13], v[56:57]
	v_fmac_f64_e32 v[42:43], v[60:61], v[12:13]
	global_load_dwordx4 v[60:63], v[46:47], off offset:112
	global_load_dwordx4 v[64:67], v[46:47], off offset:96
	global_load_dwordx4 v[68:71], v[46:47], off offset:80
	global_load_dwordx4 v[72:75], v[46:47], off offset:64
	s_waitcnt vmcnt(0)
	v_fmac_f64_e32 v[58:59], v[72:73], v[22:23]
	v_fmac_f64_e32 v[40:41], v[74:75], v[22:23]
	v_fma_f64 v[58:59], -v[74:75], v[24:25], v[58:59]
	v_fmac_f64_e32 v[40:41], v[72:73], v[24:25]
	v_fmac_f64_e32 v[58:59], v[68:69], v[18:19]
	v_fmac_f64_e32 v[40:41], v[70:71], v[18:19]
	v_fma_f64 v[58:59], -v[70:71], v[20:21], v[58:59]
	v_fmac_f64_e32 v[40:41], v[68:69], v[20:21]
	v_fmac_f64_e32 v[58:59], v[64:65], v[14:15]
	v_fmac_f64_e32 v[40:41], v[66:67], v[14:15]
	v_fma_f64 v[58:59], -v[66:67], v[16:17], v[58:59]
	v_fmac_f64_e32 v[40:41], v[64:65], v[16:17]
	v_fmac_f64_e32 v[58:59], v[60:61], v[10:11]
	v_fmac_f64_e32 v[40:41], v[62:63], v[10:11]
	v_fma_f64 v[58:59], -v[62:63], v[12:13], v[58:59]
	v_fmac_f64_e32 v[40:41], v[60:61], v[12:13]
	global_load_dwordx4 v[60:63], v[46:47], off offset:176
	global_load_dwordx4 v[64:67], v[46:47], off offset:160
	global_load_dwordx4 v[68:71], v[46:47], off offset:144
	global_load_dwordx4 v[72:75], v[46:47], off offset:128
	;; [unrolled: 21-line block ×3, first 2 shown]
	s_waitcnt vmcnt(0)
	v_fmac_f64_e32 v[52:53], v[72:73], v[22:23]
	v_fmac_f64_e32 v[30:31], v[74:75], v[22:23]
	v_fma_f64 v[52:53], -v[74:75], v[24:25], v[52:53]
	v_fmac_f64_e32 v[30:31], v[72:73], v[24:25]
	v_fmac_f64_e32 v[52:53], v[68:69], v[18:19]
	v_fmac_f64_e32 v[30:31], v[70:71], v[18:19]
	v_fma_f64 v[22:23], -v[70:71], v[20:21], v[52:53]
	v_fmac_f64_e32 v[30:31], v[68:69], v[20:21]
	;; [unrolled: 4-line block ×3, first 2 shown]
	v_fmac_f64_e32 v[18:19], v[60:61], v[10:11]
	v_fmac_f64_e32 v[30:31], v[62:63], v[10:11]
	global_load_dwordx2 v[10:11], v[50:51], off offset:-128
	v_fma_f64 v[82:83], -v[62:63], v[12:13], v[18:19]
	v_fmac_f64_e32 v[30:31], v[60:61], v[12:13]
	s_waitcnt vmcnt(0)
	v_sub_co_u32_e32 v24, vcc, v10, v28
	s_nop 1
	v_subb_co_u32_e32 v25, vcc, v11, v29, vcc
	v_add_co_u32_e32 v10, vcc, s24, v46
	v_lshlrev_b64 v[24:25], 6, v[24:25]
	s_nop 0
	v_addc_co_u32_e32 v11, vcc, 0, v47, vcc
	v_lshl_add_u64 v[24:25], s[4:5], 0, v[24:25]
	global_load_dwordx4 v[12:15], v[10:11], off offset:-4096
	global_load_dwordx4 v[16:19], v[84:85], off offset:48
	global_load_dwordx4 v[20:23], v[84:85], off offset:32
	;; [unrolled: 1-line block ×6, first 2 shown]
	global_load_dwordx4 v[72:75], v[24:25], off
	s_waitcnt vmcnt(0)
	v_fmac_f64_e32 v[56:57], v[12:13], v[72:73]
	v_fmac_f64_e32 v[42:43], v[14:15], v[72:73]
	v_fma_f64 v[24:25], -v[14:15], v[74:75], v[56:57]
	v_fmac_f64_e32 v[42:43], v[12:13], v[74:75]
	v_fmac_f64_e32 v[24:25], v[52:53], v[68:69]
	v_fmac_f64_e32 v[42:43], v[54:55], v[68:69]
	v_fma_f64 v[12:13], -v[54:55], v[70:71], v[24:25]
	v_fmac_f64_e32 v[42:43], v[52:53], v[70:71]
	;; [unrolled: 4-line block ×4, first 2 shown]
	global_load_dwordx4 v[16:19], v[84:85], off offset:112
	global_load_dwordx4 v[20:23], v[84:85], off offset:96
	global_load_dwordx4 v[52:55], v[84:85], off offset:80
	global_load_dwordx4 v[76:79], v[84:85], off offset:64
	s_waitcnt vmcnt(0)
	v_fmac_f64_e32 v[58:59], v[76:77], v[72:73]
	v_fma_f64 v[14:15], -v[78:79], v[74:75], v[58:59]
	v_fmac_f64_e32 v[40:41], v[78:79], v[72:73]
	v_fmac_f64_e32 v[40:41], v[76:77], v[74:75]
	v_fmac_f64_e32 v[14:15], v[52:53], v[68:69]
	v_fma_f64 v[14:15], -v[54:55], v[70:71], v[14:15]
	v_fmac_f64_e32 v[40:41], v[54:55], v[68:69]
	v_fmac_f64_e32 v[40:41], v[52:53], v[70:71]
	;; [unrolled: 4-line block ×3, first 2 shown]
	v_fmac_f64_e32 v[14:15], v[16:17], v[60:61]
	v_fma_f64 v[14:15], -v[18:19], v[62:63], v[14:15]
	v_fmac_f64_e32 v[40:41], v[18:19], v[60:61]
	global_load_dwordx4 v[18:21], v[84:85], off offset:176
	global_load_dwordx4 v[22:25], v[84:85], off offset:160
	;; [unrolled: 1-line block ×4, first 2 shown]
	v_fmac_f64_e32 v[40:41], v[16:17], v[62:63]
	s_waitcnt vmcnt(0)
	v_fmac_f64_e32 v[80:81], v[56:57], v[72:73]
	v_fma_f64 v[16:17], -v[58:59], v[74:75], v[80:81]
	v_fmac_f64_e32 v[36:37], v[58:59], v[72:73]
	v_fmac_f64_e32 v[36:37], v[56:57], v[74:75]
	v_fmac_f64_e32 v[16:17], v[52:53], v[68:69]
	v_fma_f64 v[16:17], -v[54:55], v[70:71], v[16:17]
	v_fmac_f64_e32 v[36:37], v[54:55], v[68:69]
	v_fmac_f64_e32 v[36:37], v[52:53], v[70:71]
	;; [unrolled: 4-line block ×3, first 2 shown]
	v_fmac_f64_e32 v[16:17], v[18:19], v[60:61]
	v_fma_f64 v[16:17], -v[20:21], v[62:63], v[16:17]
	v_fmac_f64_e32 v[36:37], v[20:21], v[60:61]
	global_load_dwordx4 v[20:23], v[84:85], off offset:240
	global_load_dwordx4 v[52:55], v[84:85], off offset:224
	;; [unrolled: 1-line block ×4, first 2 shown]
	v_fmac_f64_e32 v[36:37], v[18:19], v[62:63]
	v_lshl_add_u64 v[80:81], v[46:47], 0, s[16:17]
	s_waitcnt vmcnt(0)
	v_fmac_f64_e32 v[30:31], v[78:79], v[72:73]
	v_fmac_f64_e32 v[82:83], v[76:77], v[72:73]
	v_fmac_f64_e32 v[30:31], v[76:77], v[74:75]
	v_fma_f64 v[18:19], -v[78:79], v[74:75], v[82:83]
	v_fmac_f64_e32 v[30:31], v[58:59], v[68:69]
	v_fmac_f64_e32 v[18:19], v[56:57], v[68:69]
	v_fmac_f64_e32 v[30:31], v[56:57], v[70:71]
	v_fma_f64 v[18:19], -v[58:59], v[70:71], v[18:19]
	;; [unrolled: 4-line block ×3, first 2 shown]
	v_fmac_f64_e32 v[30:31], v[22:23], v[60:61]
	v_fmac_f64_e32 v[18:19], v[20:21], v[60:61]
	;; [unrolled: 1-line block ×3, first 2 shown]
	global_load_dwordx2 v[20:21], v[50:51], off
	v_fma_f64 v[18:19], -v[22:23], v[62:63], v[18:19]
	global_load_dwordx4 v[22:25], v[10:11], off
	global_load_dwordx4 v[52:55], v[80:81], off offset:48
	global_load_dwordx4 v[56:59], v[80:81], off offset:32
	;; [unrolled: 1-line block ×3, first 2 shown]
	s_waitcnt vmcnt(4)
	v_sub_co_u32_e32 v20, vcc, v20, v28
	s_nop 1
	v_subb_co_u32_e32 v21, vcc, v21, v29, vcc
	v_lshlrev_b64 v[10:11], 6, v[20:21]
	v_lshl_add_u64 v[10:11], s[4:5], 0, v[10:11]
	global_load_dwordx4 v[64:67], v[10:11], off offset:48
	global_load_dwordx4 v[68:71], v[10:11], off offset:32
	;; [unrolled: 1-line block ×3, first 2 shown]
	global_load_dwordx4 v[76:79], v[10:11], off
	s_waitcnt vmcnt(0)
	v_fmac_f64_e32 v[12:13], v[22:23], v[76:77]
	v_fmac_f64_e32 v[42:43], v[24:25], v[76:77]
	v_fma_f64 v[10:11], -v[24:25], v[78:79], v[12:13]
	v_fmac_f64_e32 v[42:43], v[22:23], v[78:79]
	v_fmac_f64_e32 v[10:11], v[60:61], v[72:73]
	v_fmac_f64_e32 v[42:43], v[62:63], v[72:73]
	v_fma_f64 v[10:11], -v[62:63], v[74:75], v[10:11]
	v_fmac_f64_e32 v[42:43], v[60:61], v[74:75]
	v_fmac_f64_e32 v[10:11], v[56:57], v[68:69]
	v_fmac_f64_e32 v[42:43], v[58:59], v[68:69]
	v_fma_f64 v[10:11], -v[58:59], v[70:71], v[10:11]
	v_fmac_f64_e32 v[42:43], v[56:57], v[70:71]
	v_fmac_f64_e32 v[10:11], v[52:53], v[64:65]
	v_fmac_f64_e32 v[42:43], v[54:55], v[64:65]
	v_fma_f64 v[56:57], -v[54:55], v[66:67], v[10:11]
	v_fmac_f64_e32 v[42:43], v[52:53], v[66:67]
	global_load_dwordx4 v[10:13], v[80:81], off offset:112
	global_load_dwordx4 v[20:23], v[80:81], off offset:96
	global_load_dwordx4 v[52:55], v[80:81], off offset:80
	global_load_dwordx4 v[58:61], v[80:81], off offset:64
	s_waitcnt vmcnt(0)
	v_fmac_f64_e32 v[14:15], v[58:59], v[76:77]
	v_fmac_f64_e32 v[40:41], v[60:61], v[76:77]
	v_fma_f64 v[14:15], -v[60:61], v[78:79], v[14:15]
	v_fmac_f64_e32 v[40:41], v[58:59], v[78:79]
	v_fmac_f64_e32 v[14:15], v[52:53], v[72:73]
	v_fmac_f64_e32 v[40:41], v[54:55], v[72:73]
	v_fma_f64 v[14:15], -v[54:55], v[74:75], v[14:15]
	v_fmac_f64_e32 v[40:41], v[52:53], v[74:75]
	v_fmac_f64_e32 v[14:15], v[20:21], v[68:69]
	v_fmac_f64_e32 v[40:41], v[22:23], v[68:69]
	v_fma_f64 v[14:15], -v[22:23], v[70:71], v[14:15]
	v_fmac_f64_e32 v[40:41], v[20:21], v[70:71]
	v_fmac_f64_e32 v[14:15], v[10:11], v[64:65]
	v_fmac_f64_e32 v[40:41], v[12:13], v[64:65]
	v_fma_f64 v[58:59], -v[12:13], v[66:67], v[14:15]
	v_fmac_f64_e32 v[40:41], v[10:11], v[66:67]
	global_load_dwordx4 v[10:13], v[80:81], off offset:176
	global_load_dwordx4 v[20:23], v[80:81], off offset:160
	global_load_dwordx4 v[52:55], v[80:81], off offset:144
	global_load_dwordx4 v[60:63], v[80:81], off offset:128
	;; [unrolled: 21-line block ×3, first 2 shown]
	s_waitcnt vmcnt(0)
	v_fmac_f64_e32 v[30:31], v[62:63], v[76:77]
	v_fmac_f64_e32 v[18:19], v[60:61], v[76:77]
	v_fmac_f64_e32 v[30:31], v[60:61], v[78:79]
	v_fma_f64 v[18:19], -v[62:63], v[78:79], v[18:19]
	v_fmac_f64_e32 v[30:31], v[22:23], v[72:73]
	v_fmac_f64_e32 v[18:19], v[20:21], v[72:73]
	v_fmac_f64_e32 v[30:31], v[20:21], v[74:75]
	v_fma_f64 v[18:19], -v[22:23], v[74:75], v[18:19]
	;; [unrolled: 4-line block ×3, first 2 shown]
	v_fmac_f64_e32 v[30:31], v[12:13], v[64:65]
	v_fmac_f64_e32 v[18:19], v[10:11], v[64:65]
	;; [unrolled: 1-line block ×3, first 2 shown]
	global_load_dwordx2 v[10:11], v[50:51], off offset:128
	v_fma_f64 v[52:53], -v[12:13], v[66:67], v[18:19]
	v_lshl_add_u64 v[60:61], v[46:47], 0, s[18:19]
	v_lshl_add_u64 v[50:51], v[50:51], 0, s[20:21]
	s_waitcnt vmcnt(0)
	v_sub_co_u32_e32 v10, vcc, v10, v28
	s_nop 1
	v_subb_co_u32_e32 v11, vcc, v11, v29, vcc
	v_add_co_u32_e32 v12, vcc, s25, v46
	v_lshlrev_b64 v[10:11], 6, v[10:11]
	s_nop 0
	v_addc_co_u32_e32 v13, vcc, 0, v47, vcc
	v_lshl_add_u64 v[78:79], s[4:5], 0, v[10:11]
	global_load_dwordx4 v[62:65], v[12:13], off
	global_load_dwordx4 v[66:69], v[60:61], off offset:48
	global_load_dwordx4 v[70:73], v[60:61], off offset:32
	;; [unrolled: 1-line block ×3, first 2 shown]
	s_nop 0
	global_load_dwordx4 v[10:13], v[78:79], off offset:48
	global_load_dwordx4 v[14:17], v[78:79], off offset:32
	global_load_dwordx4 v[18:21], v[78:79], off offset:16
	global_load_dwordx4 v[22:25], v[78:79], off
	v_cmp_ge_i64_e32 vcc, v[48:49], v[34:35]
	v_lshl_add_u64 v[46:47], v[46:47], 0, s[22:23]
	s_or_b64 s[12:13], vcc, s[12:13]
	s_waitcnt vmcnt(0)
	v_fmac_f64_e32 v[56:57], v[62:63], v[22:23]
	v_fmac_f64_e32 v[42:43], v[64:65], v[22:23]
	v_fma_f64 v[56:57], -v[64:65], v[24:25], v[56:57]
	v_fmac_f64_e32 v[42:43], v[62:63], v[24:25]
	v_fmac_f64_e32 v[56:57], v[74:75], v[18:19]
	v_fmac_f64_e32 v[42:43], v[76:77], v[18:19]
	v_fma_f64 v[56:57], -v[76:77], v[20:21], v[56:57]
	v_fmac_f64_e32 v[42:43], v[74:75], v[20:21]
	v_fmac_f64_e32 v[56:57], v[70:71], v[14:15]
	v_fmac_f64_e32 v[42:43], v[72:73], v[14:15]
	v_fma_f64 v[56:57], -v[72:73], v[16:17], v[56:57]
	v_fmac_f64_e32 v[42:43], v[70:71], v[16:17]
	v_fmac_f64_e32 v[56:57], v[66:67], v[10:11]
	v_fmac_f64_e32 v[42:43], v[68:69], v[10:11]
	v_fma_f64 v[56:57], -v[68:69], v[12:13], v[56:57]
	v_fmac_f64_e32 v[42:43], v[66:67], v[12:13]
	global_load_dwordx4 v[62:65], v[60:61], off offset:112
	global_load_dwordx4 v[66:69], v[60:61], off offset:96
	global_load_dwordx4 v[70:73], v[60:61], off offset:80
	global_load_dwordx4 v[74:77], v[60:61], off offset:64
	s_waitcnt vmcnt(0)
	v_fmac_f64_e32 v[58:59], v[74:75], v[22:23]
	v_fmac_f64_e32 v[40:41], v[76:77], v[22:23]
	v_fma_f64 v[58:59], -v[76:77], v[24:25], v[58:59]
	v_fmac_f64_e32 v[40:41], v[74:75], v[24:25]
	v_fmac_f64_e32 v[58:59], v[70:71], v[18:19]
	v_fmac_f64_e32 v[40:41], v[72:73], v[18:19]
	v_fma_f64 v[58:59], -v[72:73], v[20:21], v[58:59]
	v_fmac_f64_e32 v[40:41], v[70:71], v[20:21]
	v_fmac_f64_e32 v[58:59], v[66:67], v[14:15]
	v_fmac_f64_e32 v[40:41], v[68:69], v[14:15]
	v_fma_f64 v[58:59], -v[68:69], v[16:17], v[58:59]
	v_fmac_f64_e32 v[40:41], v[66:67], v[16:17]
	v_fmac_f64_e32 v[58:59], v[62:63], v[10:11]
	v_fmac_f64_e32 v[40:41], v[64:65], v[10:11]
	v_fma_f64 v[58:59], -v[64:65], v[12:13], v[58:59]
	v_fmac_f64_e32 v[40:41], v[62:63], v[12:13]
	global_load_dwordx4 v[62:65], v[60:61], off offset:176
	global_load_dwordx4 v[66:69], v[60:61], off offset:160
	global_load_dwordx4 v[70:73], v[60:61], off offset:144
	global_load_dwordx4 v[74:77], v[60:61], off offset:128
	;; [unrolled: 21-line block ×3, first 2 shown]
	s_waitcnt vmcnt(0)
	v_fmac_f64_e32 v[52:53], v[74:75], v[22:23]
	v_fmac_f64_e32 v[30:31], v[76:77], v[22:23]
	v_fma_f64 v[52:53], -v[76:77], v[24:25], v[52:53]
	v_fmac_f64_e32 v[30:31], v[74:75], v[24:25]
	v_fmac_f64_e32 v[52:53], v[70:71], v[18:19]
	v_fmac_f64_e32 v[30:31], v[72:73], v[18:19]
	v_fma_f64 v[22:23], -v[72:73], v[20:21], v[52:53]
	v_fmac_f64_e32 v[30:31], v[70:71], v[20:21]
	;; [unrolled: 4-line block ×4, first 2 shown]
	s_andn2_b64 exec, exec, s[12:13]
	s_cbranch_execnz .LBB57_21
; %bb.22:
	s_or_b64 exec, exec, s[12:13]
.LBB57_23:
	s_or_b64 exec, exec, s[10:11]
.LBB57_24:
	s_or_b64 exec, exec, s[6:7]
	s_cbranch_execz .LBB57_26
	s_branch .LBB57_37
.LBB57_25:
                                        ; implicit-def: $vgpr42_vgpr43
                                        ; implicit-def: $vgpr56_vgpr57
                                        ; implicit-def: $vgpr52_vgpr53
                                        ; implicit-def: $vgpr30_vgpr31
                                        ; implicit-def: $vgpr54_vgpr55
                                        ; implicit-def: $vgpr36_vgpr37
                                        ; implicit-def: $vgpr58_vgpr59
                                        ; implicit-def: $vgpr40_vgpr41
.LBB57_26:
	v_mov_b64_e32 v[42:43], 0
	v_mov_b64_e32 v[56:57], 0
	;; [unrolled: 1-line block ×8, first 2 shown]
	s_and_saveexec_b64 s[6:7], s[2:3]
	s_cbranch_execz .LBB57_36
; %bb.27:
	v_or_b32_e32 v1, 16, v0
	v_sub_co_u32_e32 v10, vcc, v1, v28
	v_not_b32_e32 v13, v45
	s_nop 0
	v_subb_co_u32_e32 v11, vcc, 0, v29, vcc
	v_lshl_add_u64 v[10:11], v[10:11], 0, v[44:45]
	v_cmp_gt_i64_e32 vcc, v[10:11], v[34:35]
	v_not_b32_e32 v12, v44
	v_mov_b64_e32 v[40:41], 0
	v_cndmask_b32_e32 v11, v35, v11, vcc
	v_cndmask_b32_e32 v10, v34, v10, vcc
	v_sub_co_u32_e32 v14, vcc, v28, v0
	v_mov_b64_e32 v[58:59], 0
	s_nop 0
	v_subbrev_co_u32_e32 v15, vcc, 0, v29, vcc
	v_lshl_add_u64 v[12:13], v[14:15], 0, v[12:13]
	v_lshl_add_u64 v[44:45], v[12:13], 0, v[10:11]
	v_and_b32_e32 v10, 48, v44
	v_mov_b32_e32 v11, 0
	v_cmp_ne_u64_e32 vcc, 48, v[10:11]
	v_mov_b64_e32 v[36:37], 0
	v_mov_b64_e32 v[54:55], 0
	v_mov_b64_e32 v[30:31], 0
	v_mov_b64_e32 v[52:53], 0
	v_mov_b64_e32 v[56:57], 0
	v_mov_b64_e32 v[42:43], 0
	s_and_saveexec_b64 s[2:3], vcc
	s_cbranch_execz .LBB57_31
; %bb.28:
	v_lshrrev_b32_e32 v1, 4, v44
	v_add_u32_e32 v1, 1, v1
	v_and_b32_e32 v1, 3, v1
	v_sub_co_u32_e32 v48, vcc, 0, v1
	v_lshl_add_u64 v[46:47], v[32:33], 3, s[8:9]
	s_nop 0
	v_subb_co_u32_e64 v49, s[12:13], 0, 0, vcc
	s_mov_b64 s[10:11], 0
	v_mov_b64_e32 v[42:43], 0
	s_mov_b64 s[12:13], 0x1000
	s_mov_b64 s[14:15], 0x80
	v_mov_b64_e32 v[56:57], 0
	v_mov_b64_e32 v[52:53], 0
	;; [unrolled: 1-line block ×7, first 2 shown]
.LBB57_29:                              ; =>This Inner Loop Header: Depth=1
	global_load_dwordx2 v[50:51], v[46:47], off
	global_load_dwordx4 v[10:13], v[38:39], off offset:48
	global_load_dwordx4 v[14:17], v[38:39], off offset:32
	;; [unrolled: 1-line block ×3, first 2 shown]
	global_load_dwordx4 v[22:25], v[38:39], off
	global_load_dwordx4 v[60:63], v[38:39], off offset:112
	global_load_dwordx4 v[64:67], v[38:39], off offset:96
	;; [unrolled: 1-line block ×12, first 2 shown]
	v_lshl_add_u64 v[48:49], v[48:49], 0, 1
	v_lshl_add_u64 v[38:39], v[38:39], 0, s[12:13]
	;; [unrolled: 1-line block ×4, first 2 shown]
	s_waitcnt vmcnt(16)
	v_sub_co_u32_e32 v50, vcc, v50, v28
	s_nop 1
	v_subb_co_u32_e32 v51, vcc, v51, v29, vcc
	v_lshlrev_b64 v[50:51], 6, v[50:51]
	v_lshl_add_u64 v[50:51], s[4:5], 0, v[50:51]
	global_load_dwordx4 v[108:111], v[50:51], off
	global_load_dwordx4 v[112:115], v[50:51], off offset:16
	global_load_dwordx4 v[116:119], v[50:51], off offset:32
	;; [unrolled: 1-line block ×3, first 2 shown]
	v_cmp_eq_u64_e32 vcc, 0, v[48:49]
	s_or_b64 s[10:11], vcc, s[10:11]
	s_waitcnt vmcnt(3)
	v_fmac_f64_e32 v[56:57], v[22:23], v[108:109]
	v_fmac_f64_e32 v[42:43], v[24:25], v[108:109]
	v_fmac_f64_e32 v[58:59], v[18:19], v[108:109]
	v_fmac_f64_e32 v[40:41], v[20:21], v[108:109]
	v_fmac_f64_e32 v[54:55], v[14:15], v[108:109]
	v_fmac_f64_e32 v[36:37], v[16:17], v[108:109]
	v_fmac_f64_e32 v[52:53], v[10:11], v[108:109]
	v_fmac_f64_e32 v[30:31], v[12:13], v[108:109]
	v_fma_f64 v[24:25], -v[24:25], v[110:111], v[56:57]
	v_fmac_f64_e32 v[42:43], v[22:23], v[110:111]
	v_fma_f64 v[20:21], -v[20:21], v[110:111], v[58:59]
	v_fmac_f64_e32 v[40:41], v[18:19], v[110:111]
	v_fma_f64 v[16:17], -v[16:17], v[110:111], v[54:55]
	v_fmac_f64_e32 v[36:37], v[14:15], v[110:111]
	v_fma_f64 v[12:13], -v[12:13], v[110:111], v[52:53]
	v_fmac_f64_e32 v[30:31], v[10:11], v[110:111]
	s_waitcnt vmcnt(2)
	v_fmac_f64_e32 v[24:25], v[72:73], v[112:113]
	v_fmac_f64_e32 v[42:43], v[74:75], v[112:113]
	v_fmac_f64_e32 v[20:21], v[68:69], v[112:113]
	v_fmac_f64_e32 v[40:41], v[70:71], v[112:113]
	v_fmac_f64_e32 v[16:17], v[64:65], v[112:113]
	v_fmac_f64_e32 v[36:37], v[66:67], v[112:113]
	v_fmac_f64_e32 v[12:13], v[60:61], v[112:113]
	v_fmac_f64_e32 v[30:31], v[62:63], v[112:113]
	v_fma_f64 v[10:11], -v[74:75], v[114:115], v[24:25]
	v_fmac_f64_e32 v[42:43], v[72:73], v[114:115]
	v_fma_f64 v[14:15], -v[70:71], v[114:115], v[20:21]
	v_fmac_f64_e32 v[40:41], v[68:69], v[114:115]
	v_fma_f64 v[16:17], -v[66:67], v[114:115], v[16:17]
	v_fmac_f64_e32 v[36:37], v[64:65], v[114:115]
	v_fma_f64 v[12:13], -v[62:63], v[114:115], v[12:13]
	v_fmac_f64_e32 v[30:31], v[60:61], v[114:115]
	;; [unrolled: 17-line block ×4, first 2 shown]
	s_andn2_b64 exec, exec, s[10:11]
	s_cbranch_execnz .LBB57_29
; %bb.30:
	s_or_b64 exec, exec, s[10:11]
.LBB57_31:
	s_or_b64 exec, exec, s[2:3]
	v_cmp_lt_u64_e32 vcc, 47, v[44:45]
	s_and_saveexec_b64 s[2:3], vcc
	s_cbranch_execz .LBB57_35
; %bb.32:
	v_lshl_add_u64 v[10:11], v[32:33], 3, s[8:9]
	s_mov_b64 s[8:9], 0x100
	v_lshl_add_u64 v[18:19], v[10:11], 0, s[8:9]
	s_mov_b64 s[8:9], 0
	s_mov_b64 s[10:11], 0x1000
	;; [unrolled: 1-line block ×3, first 2 shown]
	s_movk_i32 s20, 0x2000
	s_mov_b64 s[14:15], 0x3000
	s_movk_i32 s21, 0x3000
	s_mov_b64 s[16:17], 0x200
	s_mov_b64 s[18:19], 0x4000
.LBB57_33:                              ; =>This Inner Loop Header: Depth=1
	global_load_dwordx2 v[10:11], v[18:19], off offset:-256
	global_load_dwordx4 v[14:17], v[38:39], off offset:48
	global_load_dwordx4 v[20:23], v[38:39], off offset:32
	global_load_dwordx4 v[44:47], v[38:39], off offset:16
	global_load_dwordx4 v[48:51], v[38:39], off
	v_lshl_add_u64 v[74:75], v[38:39], 0, s[10:11]
	v_lshl_add_u64 v[32:33], v[32:33], 0, 64
	s_waitcnt vmcnt(4)
	v_sub_co_u32_e32 v10, vcc, v10, v28
	s_nop 1
	v_subb_co_u32_e32 v11, vcc, v11, v29, vcc
	v_lshlrev_b64 v[10:11], 6, v[10:11]
	v_lshl_add_u64 v[24:25], s[4:5], 0, v[10:11]
	global_load_dwordx4 v[10:13], v[24:25], off offset:48
	global_load_dwordx4 v[60:63], v[24:25], off offset:32
	global_load_dwordx4 v[64:67], v[24:25], off offset:16
	global_load_dwordx4 v[68:71], v[24:25], off
	s_waitcnt vmcnt(0)
	v_fmac_f64_e32 v[56:57], v[48:49], v[68:69]
	v_fmac_f64_e32 v[42:43], v[50:51], v[68:69]
	;; [unrolled: 1-line block ×8, first 2 shown]
	v_fma_f64 v[24:25], -v[50:51], v[70:71], v[56:57]
	v_fmac_f64_e32 v[42:43], v[48:49], v[70:71]
	v_fma_f64 v[56:57], -v[46:47], v[70:71], v[58:59]
	v_fmac_f64_e32 v[40:41], v[44:45], v[70:71]
	v_fma_f64 v[54:55], -v[22:23], v[70:71], v[54:55]
	v_fmac_f64_e32 v[36:37], v[20:21], v[70:71]
	v_fma_f64 v[52:53], -v[16:17], v[70:71], v[52:53]
	v_fmac_f64_e32 v[30:31], v[14:15], v[70:71]
	global_load_dwordx4 v[14:17], v[38:39], off offset:112
	global_load_dwordx4 v[20:23], v[38:39], off offset:96
	global_load_dwordx4 v[44:47], v[38:39], off offset:80
	global_load_dwordx4 v[48:51], v[38:39], off offset:64
	s_waitcnt vmcnt(3)
	v_fmac_f64_e32 v[52:53], v[14:15], v[64:65]
	s_waitcnt vmcnt(2)
	v_fmac_f64_e32 v[54:55], v[20:21], v[64:65]
	s_waitcnt vmcnt(1)
	v_fmac_f64_e32 v[56:57], v[44:45], v[64:65]
	s_waitcnt vmcnt(0)
	v_fmac_f64_e32 v[24:25], v[48:49], v[64:65]
	v_fmac_f64_e32 v[42:43], v[50:51], v[64:65]
	v_fmac_f64_e32 v[40:41], v[46:47], v[64:65]
	v_fmac_f64_e32 v[36:37], v[22:23], v[64:65]
	v_fmac_f64_e32 v[30:31], v[16:17], v[64:65]
	v_fma_f64 v[24:25], -v[50:51], v[66:67], v[24:25]
	v_fmac_f64_e32 v[42:43], v[48:49], v[66:67]
	v_fma_f64 v[56:57], -v[46:47], v[66:67], v[56:57]
	v_fmac_f64_e32 v[40:41], v[44:45], v[66:67]
	v_fma_f64 v[54:55], -v[22:23], v[66:67], v[54:55]
	v_fmac_f64_e32 v[36:37], v[20:21], v[66:67]
	v_fma_f64 v[52:53], -v[16:17], v[66:67], v[52:53]
	v_fmac_f64_e32 v[30:31], v[14:15], v[66:67]
	global_load_dwordx4 v[14:17], v[38:39], off offset:176
	global_load_dwordx4 v[20:23], v[38:39], off offset:160
	global_load_dwordx4 v[44:47], v[38:39], off offset:144
	global_load_dwordx4 v[48:51], v[38:39], off offset:128
	s_waitcnt vmcnt(3)
	v_fmac_f64_e32 v[52:53], v[14:15], v[60:61]
	s_waitcnt vmcnt(2)
	v_fmac_f64_e32 v[54:55], v[20:21], v[60:61]
	s_waitcnt vmcnt(1)
	v_fmac_f64_e32 v[56:57], v[44:45], v[60:61]
	s_waitcnt vmcnt(0)
	v_fmac_f64_e32 v[24:25], v[48:49], v[60:61]
	v_fmac_f64_e32 v[42:43], v[50:51], v[60:61]
	v_fmac_f64_e32 v[40:41], v[46:47], v[60:61]
	v_fmac_f64_e32 v[36:37], v[22:23], v[60:61]
	v_fmac_f64_e32 v[30:31], v[16:17], v[60:61]
	;; [unrolled: 24-line block ×3, first 2 shown]
	global_load_dwordx2 v[10:11], v[18:19], off offset:-128
	v_fma_f64 v[72:73], -v[16:17], v[12:13], v[52:53]
	v_fma_f64 v[24:25], -v[50:51], v[12:13], v[24:25]
	v_fmac_f64_e32 v[42:43], v[48:49], v[12:13]
	v_fma_f64 v[68:69], -v[46:47], v[12:13], v[56:57]
	v_fmac_f64_e32 v[40:41], v[44:45], v[12:13]
	;; [unrolled: 2-line block ×3, first 2 shown]
	v_fmac_f64_e32 v[30:31], v[14:15], v[12:13]
	s_waitcnt vmcnt(0)
	v_sub_co_u32_e32 v16, vcc, v10, v28
	s_nop 1
	v_subb_co_u32_e32 v17, vcc, v11, v29, vcc
	v_add_co_u32_e32 v10, vcc, s20, v38
	v_lshlrev_b64 v[16:17], 6, v[16:17]
	s_nop 0
	v_addc_co_u32_e32 v11, vcc, 0, v39, vcc
	v_lshl_add_u64 v[16:17], s[4:5], 0, v[16:17]
	global_load_dwordx4 v[12:15], v[10:11], off offset:-4096
	global_load_dwordx4 v[20:23], v[74:75], off offset:48
	global_load_dwordx4 v[44:47], v[74:75], off offset:32
	global_load_dwordx4 v[48:51], v[74:75], off offset:16
	global_load_dwordx4 v[52:55], v[16:17], off offset:48
	global_load_dwordx4 v[56:59], v[16:17], off offset:32
	global_load_dwordx4 v[60:63], v[16:17], off offset:16
	global_load_dwordx4 v[64:67], v[16:17], off
	s_waitcnt vmcnt(0)
	v_fmac_f64_e32 v[24:25], v[12:13], v[64:65]
	v_fmac_f64_e32 v[42:43], v[14:15], v[64:65]
	v_fmac_f64_e32 v[68:69], v[48:49], v[64:65]
	v_fmac_f64_e32 v[40:41], v[50:51], v[64:65]
	v_fmac_f64_e32 v[70:71], v[44:45], v[64:65]
	v_fmac_f64_e32 v[36:37], v[46:47], v[64:65]
	v_fmac_f64_e32 v[72:73], v[20:21], v[64:65]
	v_fmac_f64_e32 v[30:31], v[22:23], v[64:65]
	v_fma_f64 v[16:17], -v[14:15], v[66:67], v[24:25]
	v_fmac_f64_e32 v[42:43], v[12:13], v[66:67]
	v_fma_f64 v[24:25], -v[50:51], v[66:67], v[68:69]
	v_fmac_f64_e32 v[40:41], v[48:49], v[66:67]
	;; [unrolled: 2-line block ×4, first 2 shown]
	global_load_dwordx4 v[12:15], v[74:75], off offset:112
	global_load_dwordx4 v[20:23], v[74:75], off offset:96
	;; [unrolled: 1-line block ×4, first 2 shown]
	v_lshl_add_u64 v[72:73], v[38:39], 0, s[12:13]
	s_waitcnt vmcnt(3)
	v_fmac_f64_e32 v[70:71], v[12:13], v[60:61]
	s_waitcnt vmcnt(2)
	v_fmac_f64_e32 v[68:69], v[20:21], v[60:61]
	;; [unrolled: 2-line block ×4, first 2 shown]
	v_fmac_f64_e32 v[42:43], v[50:51], v[60:61]
	v_fmac_f64_e32 v[40:41], v[46:47], v[60:61]
	v_fmac_f64_e32 v[36:37], v[22:23], v[60:61]
	v_fmac_f64_e32 v[30:31], v[14:15], v[60:61]
	v_fma_f64 v[16:17], -v[50:51], v[62:63], v[16:17]
	v_fmac_f64_e32 v[42:43], v[48:49], v[62:63]
	v_fma_f64 v[24:25], -v[46:47], v[62:63], v[24:25]
	v_fmac_f64_e32 v[40:41], v[44:45], v[62:63]
	;; [unrolled: 2-line block ×4, first 2 shown]
	global_load_dwordx4 v[12:15], v[74:75], off offset:176
	global_load_dwordx4 v[20:23], v[74:75], off offset:160
	;; [unrolled: 1-line block ×4, first 2 shown]
	s_waitcnt vmcnt(3)
	v_fmac_f64_e32 v[66:67], v[12:13], v[56:57]
	s_waitcnt vmcnt(2)
	v_fmac_f64_e32 v[64:65], v[20:21], v[56:57]
	s_waitcnt vmcnt(1)
	v_fmac_f64_e32 v[24:25], v[44:45], v[56:57]
	s_waitcnt vmcnt(0)
	v_fmac_f64_e32 v[16:17], v[48:49], v[56:57]
	v_fmac_f64_e32 v[42:43], v[50:51], v[56:57]
	v_fmac_f64_e32 v[40:41], v[46:47], v[56:57]
	;; [unrolled: 1-line block ×3, first 2 shown]
	v_fma_f64 v[60:61], -v[50:51], v[58:59], v[16:17]
	v_fmac_f64_e32 v[42:43], v[48:49], v[58:59]
	v_fma_f64 v[62:63], -v[46:47], v[58:59], v[24:25]
	v_fmac_f64_e32 v[40:41], v[44:45], v[58:59]
	v_fma_f64 v[64:65], -v[22:23], v[58:59], v[64:65]
	v_fmac_f64_e32 v[36:37], v[20:21], v[58:59]
	v_fma_f64 v[20:21], -v[14:15], v[58:59], v[66:67]
	v_fmac_f64_e32 v[30:31], v[14:15], v[56:57]
	global_load_dwordx4 v[22:25], v[74:75], off offset:240
	global_load_dwordx4 v[44:47], v[74:75], off offset:224
	;; [unrolled: 1-line block ×4, first 2 shown]
	v_fmac_f64_e32 v[30:31], v[12:13], v[58:59]
	s_waitcnt vmcnt(3)
	v_fmac_f64_e32 v[30:31], v[24:25], v[52:53]
	v_fmac_f64_e32 v[20:21], v[22:23], v[52:53]
	;; [unrolled: 1-line block ×3, first 2 shown]
	global_load_dwordx2 v[22:23], v[18:19], off
	s_waitcnt vmcnt(1)
	v_fmac_f64_e32 v[60:61], v[14:15], v[52:53]
	v_fmac_f64_e32 v[42:43], v[16:17], v[52:53]
	v_fmac_f64_e32 v[62:63], v[48:49], v[52:53]
	v_fmac_f64_e32 v[40:41], v[50:51], v[52:53]
	v_fmac_f64_e32 v[64:65], v[44:45], v[52:53]
	v_fmac_f64_e32 v[36:37], v[46:47], v[52:53]
	v_fma_f64 v[12:13], -v[16:17], v[54:55], v[60:61]
	v_fmac_f64_e32 v[42:43], v[14:15], v[54:55]
	v_fma_f64 v[14:15], -v[50:51], v[54:55], v[62:63]
	v_fmac_f64_e32 v[40:41], v[48:49], v[54:55]
	;; [unrolled: 2-line block ×3, first 2 shown]
	v_fma_f64 v[20:21], -v[24:25], v[54:55], v[20:21]
	global_load_dwordx4 v[44:47], v[10:11], off
	global_load_dwordx4 v[48:51], v[72:73], off offset:48
	global_load_dwordx4 v[52:55], v[72:73], off offset:32
	global_load_dwordx4 v[56:59], v[72:73], off offset:16
	s_waitcnt vmcnt(4)
	v_sub_co_u32_e32 v22, vcc, v22, v28
	s_nop 1
	v_subb_co_u32_e32 v23, vcc, v23, v29, vcc
	v_lshlrev_b64 v[10:11], 6, v[22:23]
	v_lshl_add_u64 v[10:11], s[4:5], 0, v[10:11]
	global_load_dwordx4 v[60:63], v[10:11], off offset:48
	global_load_dwordx4 v[22:25], v[10:11], off offset:32
	global_load_dwordx4 v[64:67], v[10:11], off offset:16
	global_load_dwordx4 v[68:71], v[10:11], off
	s_waitcnt vmcnt(0)
	v_fmac_f64_e32 v[12:13], v[44:45], v[68:69]
	v_fmac_f64_e32 v[42:43], v[46:47], v[68:69]
	;; [unrolled: 1-line block ×7, first 2 shown]
	v_fma_f64 v[74:75], -v[46:47], v[70:71], v[12:13]
	v_fmac_f64_e32 v[42:43], v[44:45], v[70:71]
	v_fma_f64 v[76:77], -v[58:59], v[70:71], v[14:15]
	v_fmac_f64_e32 v[40:41], v[56:57], v[70:71]
	v_fma_f64 v[56:57], -v[54:55], v[70:71], v[16:17]
	v_fma_f64 v[20:21], -v[50:51], v[70:71], v[20:21]
	v_fmac_f64_e32 v[30:31], v[48:49], v[70:71]
	global_load_dwordx4 v[10:13], v[72:73], off offset:112
	global_load_dwordx4 v[14:17], v[72:73], off offset:96
	;; [unrolled: 1-line block ×4, first 2 shown]
	v_fmac_f64_e32 v[36:37], v[54:55], v[68:69]
	v_fmac_f64_e32 v[36:37], v[52:53], v[70:71]
	s_waitcnt vmcnt(3)
	v_fmac_f64_e32 v[20:21], v[10:11], v[64:65]
	s_waitcnt vmcnt(2)
	;; [unrolled: 2-line block ×4, first 2 shown]
	v_fmac_f64_e32 v[74:75], v[48:49], v[64:65]
	v_fmac_f64_e32 v[42:43], v[50:51], v[64:65]
	v_fmac_f64_e32 v[40:41], v[46:47], v[64:65]
	v_fmac_f64_e32 v[36:37], v[16:17], v[64:65]
	v_fmac_f64_e32 v[30:31], v[12:13], v[64:65]
	v_fma_f64 v[52:53], -v[50:51], v[66:67], v[74:75]
	v_fmac_f64_e32 v[42:43], v[48:49], v[66:67]
	v_fma_f64 v[54:55], -v[46:47], v[66:67], v[76:77]
	v_fmac_f64_e32 v[40:41], v[44:45], v[66:67]
	;; [unrolled: 2-line block ×4, first 2 shown]
	global_load_dwordx4 v[10:13], v[72:73], off offset:176
	global_load_dwordx4 v[14:17], v[72:73], off offset:160
	;; [unrolled: 1-line block ×4, first 2 shown]
	s_waitcnt vmcnt(3)
	v_fmac_f64_e32 v[20:21], v[10:11], v[22:23]
	s_waitcnt vmcnt(2)
	v_fmac_f64_e32 v[56:57], v[14:15], v[22:23]
	;; [unrolled: 2-line block ×4, first 2 shown]
	v_fmac_f64_e32 v[42:43], v[50:51], v[22:23]
	v_fmac_f64_e32 v[40:41], v[46:47], v[22:23]
	;; [unrolled: 1-line block ×4, first 2 shown]
	v_fma_f64 v[52:53], -v[50:51], v[24:25], v[52:53]
	v_fmac_f64_e32 v[42:43], v[48:49], v[24:25]
	v_fma_f64 v[54:55], -v[46:47], v[24:25], v[54:55]
	v_fmac_f64_e32 v[40:41], v[44:45], v[24:25]
	;; [unrolled: 2-line block ×4, first 2 shown]
	global_load_dwordx4 v[10:13], v[72:73], off offset:240
	global_load_dwordx4 v[14:17], v[72:73], off offset:224
	;; [unrolled: 1-line block ×4, first 2 shown]
	s_waitcnt vmcnt(3)
	v_fmac_f64_e32 v[30:31], v[12:13], v[60:61]
	v_fmac_f64_e32 v[20:21], v[10:11], v[60:61]
	;; [unrolled: 1-line block ×3, first 2 shown]
	global_load_dwordx2 v[10:11], v[18:19], off offset:128
	s_waitcnt vmcnt(2)
	v_fmac_f64_e32 v[54:55], v[44:45], v[60:61]
	v_fma_f64 v[24:25], -v[46:47], v[62:63], v[54:55]
	v_fmac_f64_e32 v[40:41], v[46:47], v[60:61]
	v_fma_f64 v[46:47], -v[12:13], v[62:63], v[20:21]
	s_waitcnt vmcnt(1)
	v_fmac_f64_e32 v[52:53], v[48:49], v[60:61]
	v_fmac_f64_e32 v[42:43], v[50:51], v[60:61]
	;; [unrolled: 1-line block ×4, first 2 shown]
	v_fma_f64 v[22:23], -v[50:51], v[62:63], v[52:53]
	v_fmac_f64_e32 v[42:43], v[48:49], v[62:63]
	v_fmac_f64_e32 v[40:41], v[44:45], v[62:63]
	v_fma_f64 v[44:45], -v[16:17], v[62:63], v[56:57]
	v_fmac_f64_e32 v[36:37], v[14:15], v[62:63]
	v_lshl_add_u64 v[20:21], v[38:39], 0, s[14:15]
	v_lshl_add_u64 v[18:19], v[18:19], 0, s[16:17]
	s_waitcnt vmcnt(0)
	v_sub_co_u32_e32 v10, vcc, v10, v28
	s_nop 1
	v_subb_co_u32_e32 v11, vcc, v11, v29, vcc
	v_add_co_u32_e32 v12, vcc, s21, v38
	v_lshlrev_b64 v[10:11], 6, v[10:11]
	s_nop 0
	v_addc_co_u32_e32 v13, vcc, 0, v39, vcc
	v_lshl_add_u64 v[72:73], s[4:5], 0, v[10:11]
	global_load_dwordx4 v[48:51], v[12:13], off
	global_load_dwordx4 v[52:55], v[20:21], off offset:48
	global_load_dwordx4 v[56:59], v[20:21], off offset:32
	;; [unrolled: 1-line block ×3, first 2 shown]
	s_nop 0
	global_load_dwordx4 v[10:13], v[72:73], off offset:48
	global_load_dwordx4 v[14:17], v[72:73], off offset:32
	;; [unrolled: 1-line block ×3, first 2 shown]
	global_load_dwordx4 v[68:71], v[72:73], off
	v_cmp_ge_i64_e32 vcc, v[32:33], v[34:35]
	v_lshl_add_u64 v[38:39], v[38:39], 0, s[18:19]
	s_or_b64 s[8:9], vcc, s[8:9]
	s_waitcnt vmcnt(0)
	v_fmac_f64_e32 v[22:23], v[48:49], v[68:69]
	v_fmac_f64_e32 v[42:43], v[50:51], v[68:69]
	;; [unrolled: 1-line block ×8, first 2 shown]
	v_fma_f64 v[72:73], -v[50:51], v[70:71], v[22:23]
	v_fmac_f64_e32 v[42:43], v[48:49], v[70:71]
	v_fma_f64 v[74:75], -v[62:63], v[70:71], v[24:25]
	v_fmac_f64_e32 v[40:41], v[60:61], v[70:71]
	v_fma_f64 v[60:61], -v[58:59], v[70:71], v[44:45]
	v_fmac_f64_e32 v[36:37], v[56:57], v[70:71]
	v_fma_f64 v[56:57], -v[54:55], v[70:71], v[46:47]
	v_fmac_f64_e32 v[30:31], v[52:53], v[70:71]
	global_load_dwordx4 v[22:25], v[20:21], off offset:112
	global_load_dwordx4 v[44:47], v[20:21], off offset:96
	global_load_dwordx4 v[48:51], v[20:21], off offset:80
	global_load_dwordx4 v[52:55], v[20:21], off offset:64
	s_waitcnt vmcnt(3)
	v_fmac_f64_e32 v[56:57], v[22:23], v[64:65]
	s_waitcnt vmcnt(2)
	v_fmac_f64_e32 v[60:61], v[44:45], v[64:65]
	s_waitcnt vmcnt(1)
	v_fmac_f64_e32 v[74:75], v[48:49], v[64:65]
	s_waitcnt vmcnt(0)
	v_fmac_f64_e32 v[72:73], v[52:53], v[64:65]
	v_fmac_f64_e32 v[42:43], v[54:55], v[64:65]
	v_fmac_f64_e32 v[40:41], v[50:51], v[64:65]
	v_fmac_f64_e32 v[36:37], v[46:47], v[64:65]
	v_fmac_f64_e32 v[30:31], v[24:25], v[64:65]
	v_fma_f64 v[58:59], -v[54:55], v[66:67], v[72:73]
	v_fmac_f64_e32 v[42:43], v[52:53], v[66:67]
	v_fma_f64 v[62:63], -v[50:51], v[66:67], v[74:75]
	v_fmac_f64_e32 v[40:41], v[48:49], v[66:67]
	v_fma_f64 v[60:61], -v[46:47], v[66:67], v[60:61]
	v_fmac_f64_e32 v[36:37], v[44:45], v[66:67]
	v_fma_f64 v[56:57], -v[24:25], v[66:67], v[56:57]
	v_fmac_f64_e32 v[30:31], v[22:23], v[66:67]
	global_load_dwordx4 v[22:25], v[20:21], off offset:176
	global_load_dwordx4 v[44:47], v[20:21], off offset:160
	global_load_dwordx4 v[48:51], v[20:21], off offset:144
	global_load_dwordx4 v[52:55], v[20:21], off offset:128
	s_waitcnt vmcnt(3)
	v_fmac_f64_e32 v[56:57], v[22:23], v[14:15]
	s_waitcnt vmcnt(2)
	v_fmac_f64_e32 v[60:61], v[44:45], v[14:15]
	s_waitcnt vmcnt(1)
	v_fmac_f64_e32 v[62:63], v[48:49], v[14:15]
	s_waitcnt vmcnt(0)
	v_fmac_f64_e32 v[58:59], v[52:53], v[14:15]
	v_fmac_f64_e32 v[42:43], v[54:55], v[14:15]
	v_fmac_f64_e32 v[40:41], v[50:51], v[14:15]
	v_fmac_f64_e32 v[36:37], v[46:47], v[14:15]
	v_fmac_f64_e32 v[30:31], v[24:25], v[14:15]
	;; [unrolled: 24-line block ×3, first 2 shown]
	v_fma_f64 v[56:57], -v[50:51], v[12:13], v[58:59]
	v_fmac_f64_e32 v[42:43], v[48:49], v[12:13]
	v_fma_f64 v[58:59], -v[46:47], v[12:13], v[52:53]
	v_fmac_f64_e32 v[40:41], v[44:45], v[12:13]
	;; [unrolled: 2-line block ×4, first 2 shown]
	s_andn2_b64 exec, exec, s[8:9]
	s_cbranch_execnz .LBB57_33
; %bb.34:
	s_or_b64 exec, exec, s[8:9]
.LBB57_35:
	s_or_b64 exec, exec, s[2:3]
.LBB57_36:
	s_or_b64 exec, exec, s[6:7]
.LBB57_37:
	v_mov_b32_dpp v14, v42 row_shr:1 row_mask:0xf bank_mask:0xf
	v_mov_b32_dpp v15, v43 row_shr:1 row_mask:0xf bank_mask:0xf
	;; [unrolled: 1-line block ×4, first 2 shown]
	v_add_f64 v[14:15], v[42:43], v[14:15]
	v_mov_b32_dpp v18, v58 row_shr:1 row_mask:0xf bank_mask:0xf
	v_mov_b32_dpp v19, v59 row_shr:1 row_mask:0xf bank_mask:0xf
	;; [unrolled: 1-line block ×12, first 2 shown]
	v_add_f64 v[10:11], v[56:57], v[10:11]
	v_add_f64 v[18:19], v[58:59], v[18:19]
	;; [unrolled: 1-line block ×7, first 2 shown]
	v_mov_b32_dpp v12, v10 row_shr:2 row_mask:0xf bank_mask:0xf
	v_mov_b32_dpp v13, v11 row_shr:2 row_mask:0xf bank_mask:0xf
	;; [unrolled: 1-line block ×16, first 2 shown]
	v_add_f64 v[10:11], v[10:11], v[12:13]
	v_add_f64 v[14:15], v[14:15], v[16:17]
	;; [unrolled: 1-line block ×8, first 2 shown]
	v_mov_b32_dpp v12, v10 row_shr:4 row_mask:0xf bank_mask:0xe
	v_mov_b32_dpp v13, v11 row_shr:4 row_mask:0xf bank_mask:0xe
	;; [unrolled: 1-line block ×16, first 2 shown]
	v_add_f64 v[10:11], v[10:11], v[12:13]
	v_add_f64 v[14:15], v[14:15], v[16:17]
	;; [unrolled: 1-line block ×8, first 2 shown]
	v_mov_b32_dpp v12, v10 row_shr:8 row_mask:0xf bank_mask:0xc
	v_mov_b32_dpp v13, v11 row_shr:8 row_mask:0xf bank_mask:0xc
	;; [unrolled: 1-line block ×16, first 2 shown]
	v_cmp_eq_u32_e32 vcc, 15, v0
	s_and_b64 exec, exec, vcc
	s_cbranch_execz .LBB57_8
; %bb.38:
	s_load_dwordx2 s[2:3], s[0:1], 0x68
	v_add_f64 v[0:1], v[10:11], v[12:13]
	v_add_f64 v[10:11], v[14:15], v[16:17]
	v_add_f64 v[12:13], v[22:23], v[24:25]
	v_add_f64 v[16:17], v[34:35], v[36:37]
	v_add_f64 v[30:31], v[30:31], v[42:43]
	v_add_f64 v[44:45], v[18:19], v[20:21]
	v_add_f64 v[28:29], v[28:29], v[32:33]
	v_add_f64 v[32:33], v[38:39], v[40:41]
	v_cmp_eq_f64_e32 vcc, 0, v[2:3]
	v_cmp_eq_f64_e64 s[0:1], 0, v[4:5]
	v_mul_f64 v[22:23], v[10:11], -v[8:9]
	v_mul_f64 v[24:25], v[6:7], v[10:11]
	v_mul_f64 v[18:19], v[12:13], -v[8:9]
	v_mul_f64 v[20:21], v[6:7], v[12:13]
	;; [unrolled: 2-line block ×4, first 2 shown]
	s_and_b64 s[0:1], vcc, s[0:1]
	v_fmac_f64_e32 v[22:23], v[6:7], v[0:1]
	v_fmac_f64_e32 v[24:25], v[8:9], v[0:1]
	v_lshlrev_b64 v[0:1], 6, v[26:27]
	v_fmac_f64_e32 v[18:19], v[6:7], v[44:45]
	v_fmac_f64_e32 v[20:21], v[8:9], v[44:45]
	;; [unrolled: 1-line block ×6, first 2 shown]
	s_and_saveexec_b64 s[4:5], s[0:1]
	s_xor_b64 s[0:1], exec, s[4:5]
	s_cbranch_execz .LBB57_40
; %bb.39:
	s_waitcnt lgkmcnt(0)
	v_lshl_add_u64 v[0:1], s[2:3], 0, v[0:1]
	global_store_dwordx4 v[0:1], v[22:25], off
	global_store_dwordx4 v[0:1], v[18:21], off offset:16
	global_store_dwordx4 v[0:1], v[14:17], off offset:32
	;; [unrolled: 1-line block ×3, first 2 shown]
                                        ; implicit-def: $vgpr4_vgpr5
                                        ; implicit-def: $vgpr22_vgpr23
                                        ; implicit-def: $vgpr0_vgpr1
                                        ; implicit-def: $vgpr18_vgpr19
                                        ; implicit-def: $vgpr14_vgpr15
                                        ; implicit-def: $vgpr10_vgpr11
.LBB57_40:
	s_andn2_saveexec_b64 s[0:1], s[0:1]
	s_cbranch_execz .LBB57_8
; %bb.41:
	s_waitcnt lgkmcnt(0)
	v_lshl_add_u64 v[0:1], s[2:3], 0, v[0:1]
	global_load_dwordx4 v[6:9], v[0:1], off
	global_load_dwordx4 v[26:29], v[0:1], off offset:16
	global_load_dwordx4 v[30:33], v[0:1], off offset:32
	;; [unrolled: 1-line block ×3, first 2 shown]
	s_waitcnt vmcnt(3)
	v_fmac_f64_e32 v[22:23], v[2:3], v[6:7]
	v_fmac_f64_e32 v[24:25], v[4:5], v[6:7]
	s_waitcnt vmcnt(2)
	v_fmac_f64_e32 v[18:19], v[2:3], v[26:27]
	v_fmac_f64_e32 v[20:21], v[4:5], v[26:27]
	;; [unrolled: 3-line block ×4, first 2 shown]
	v_fma_f64 v[22:23], -v[4:5], v[8:9], v[22:23]
	v_fmac_f64_e32 v[24:25], v[2:3], v[8:9]
	v_fma_f64 v[18:19], -v[4:5], v[28:29], v[18:19]
	v_fmac_f64_e32 v[20:21], v[2:3], v[28:29]
	;; [unrolled: 2-line block ×4, first 2 shown]
	global_store_dwordx4 v[0:1], v[22:25], off
	global_store_dwordx4 v[0:1], v[18:21], off offset:16
	global_store_dwordx4 v[0:1], v[14:17], off offset:32
	global_store_dwordx4 v[0:1], v[10:13], off offset:48
	s_endpgm
	.section	.rodata,"a",@progbits
	.p2align	6, 0x0
	.amdhsa_kernel _ZN9rocsparseL18bsrxmvn_4x4_kernelILj128ELj16E21rocsparse_complex_numIdEllS2_S2_S2_EEvT3_20rocsparse_direction_NS_24const_host_device_scalarIT1_EES3_PKS3_PKT2_SC_S9_PKT4_PKT5_S7_PT6_21rocsparse_index_base_b
		.amdhsa_group_segment_fixed_size 0
		.amdhsa_private_segment_fixed_size 0
		.amdhsa_kernarg_size 120
		.amdhsa_user_sgpr_count 2
		.amdhsa_user_sgpr_dispatch_ptr 0
		.amdhsa_user_sgpr_queue_ptr 0
		.amdhsa_user_sgpr_kernarg_segment_ptr 1
		.amdhsa_user_sgpr_dispatch_id 0
		.amdhsa_user_sgpr_kernarg_preload_length 0
		.amdhsa_user_sgpr_kernarg_preload_offset 0
		.amdhsa_user_sgpr_private_segment_size 0
		.amdhsa_uses_dynamic_stack 0
		.amdhsa_enable_private_segment 0
		.amdhsa_system_sgpr_workgroup_id_x 1
		.amdhsa_system_sgpr_workgroup_id_y 0
		.amdhsa_system_sgpr_workgroup_id_z 0
		.amdhsa_system_sgpr_workgroup_info 0
		.amdhsa_system_vgpr_workitem_id 0
		.amdhsa_next_free_vgpr 124
		.amdhsa_next_free_sgpr 26
		.amdhsa_accum_offset 124
		.amdhsa_reserve_vcc 1
		.amdhsa_float_round_mode_32 0
		.amdhsa_float_round_mode_16_64 0
		.amdhsa_float_denorm_mode_32 3
		.amdhsa_float_denorm_mode_16_64 3
		.amdhsa_dx10_clamp 1
		.amdhsa_ieee_mode 1
		.amdhsa_fp16_overflow 0
		.amdhsa_tg_split 0
		.amdhsa_exception_fp_ieee_invalid_op 0
		.amdhsa_exception_fp_denorm_src 0
		.amdhsa_exception_fp_ieee_div_zero 0
		.amdhsa_exception_fp_ieee_overflow 0
		.amdhsa_exception_fp_ieee_underflow 0
		.amdhsa_exception_fp_ieee_inexact 0
		.amdhsa_exception_int_div_zero 0
	.end_amdhsa_kernel
	.section	.text._ZN9rocsparseL18bsrxmvn_4x4_kernelILj128ELj16E21rocsparse_complex_numIdEllS2_S2_S2_EEvT3_20rocsparse_direction_NS_24const_host_device_scalarIT1_EES3_PKS3_PKT2_SC_S9_PKT4_PKT5_S7_PT6_21rocsparse_index_base_b,"axG",@progbits,_ZN9rocsparseL18bsrxmvn_4x4_kernelILj128ELj16E21rocsparse_complex_numIdEllS2_S2_S2_EEvT3_20rocsparse_direction_NS_24const_host_device_scalarIT1_EES3_PKS3_PKT2_SC_S9_PKT4_PKT5_S7_PT6_21rocsparse_index_base_b,comdat
.Lfunc_end57:
	.size	_ZN9rocsparseL18bsrxmvn_4x4_kernelILj128ELj16E21rocsparse_complex_numIdEllS2_S2_S2_EEvT3_20rocsparse_direction_NS_24const_host_device_scalarIT1_EES3_PKS3_PKT2_SC_S9_PKT4_PKT5_S7_PT6_21rocsparse_index_base_b, .Lfunc_end57-_ZN9rocsparseL18bsrxmvn_4x4_kernelILj128ELj16E21rocsparse_complex_numIdEllS2_S2_S2_EEvT3_20rocsparse_direction_NS_24const_host_device_scalarIT1_EES3_PKS3_PKT2_SC_S9_PKT4_PKT5_S7_PT6_21rocsparse_index_base_b
                                        ; -- End function
	.set _ZN9rocsparseL18bsrxmvn_4x4_kernelILj128ELj16E21rocsparse_complex_numIdEllS2_S2_S2_EEvT3_20rocsparse_direction_NS_24const_host_device_scalarIT1_EES3_PKS3_PKT2_SC_S9_PKT4_PKT5_S7_PT6_21rocsparse_index_base_b.num_vgpr, 124
	.set _ZN9rocsparseL18bsrxmvn_4x4_kernelILj128ELj16E21rocsparse_complex_numIdEllS2_S2_S2_EEvT3_20rocsparse_direction_NS_24const_host_device_scalarIT1_EES3_PKS3_PKT2_SC_S9_PKT4_PKT5_S7_PT6_21rocsparse_index_base_b.num_agpr, 0
	.set _ZN9rocsparseL18bsrxmvn_4x4_kernelILj128ELj16E21rocsparse_complex_numIdEllS2_S2_S2_EEvT3_20rocsparse_direction_NS_24const_host_device_scalarIT1_EES3_PKS3_PKT2_SC_S9_PKT4_PKT5_S7_PT6_21rocsparse_index_base_b.numbered_sgpr, 26
	.set _ZN9rocsparseL18bsrxmvn_4x4_kernelILj128ELj16E21rocsparse_complex_numIdEllS2_S2_S2_EEvT3_20rocsparse_direction_NS_24const_host_device_scalarIT1_EES3_PKS3_PKT2_SC_S9_PKT4_PKT5_S7_PT6_21rocsparse_index_base_b.num_named_barrier, 0
	.set _ZN9rocsparseL18bsrxmvn_4x4_kernelILj128ELj16E21rocsparse_complex_numIdEllS2_S2_S2_EEvT3_20rocsparse_direction_NS_24const_host_device_scalarIT1_EES3_PKS3_PKT2_SC_S9_PKT4_PKT5_S7_PT6_21rocsparse_index_base_b.private_seg_size, 0
	.set _ZN9rocsparseL18bsrxmvn_4x4_kernelILj128ELj16E21rocsparse_complex_numIdEllS2_S2_S2_EEvT3_20rocsparse_direction_NS_24const_host_device_scalarIT1_EES3_PKS3_PKT2_SC_S9_PKT4_PKT5_S7_PT6_21rocsparse_index_base_b.uses_vcc, 1
	.set _ZN9rocsparseL18bsrxmvn_4x4_kernelILj128ELj16E21rocsparse_complex_numIdEllS2_S2_S2_EEvT3_20rocsparse_direction_NS_24const_host_device_scalarIT1_EES3_PKS3_PKT2_SC_S9_PKT4_PKT5_S7_PT6_21rocsparse_index_base_b.uses_flat_scratch, 0
	.set _ZN9rocsparseL18bsrxmvn_4x4_kernelILj128ELj16E21rocsparse_complex_numIdEllS2_S2_S2_EEvT3_20rocsparse_direction_NS_24const_host_device_scalarIT1_EES3_PKS3_PKT2_SC_S9_PKT4_PKT5_S7_PT6_21rocsparse_index_base_b.has_dyn_sized_stack, 0
	.set _ZN9rocsparseL18bsrxmvn_4x4_kernelILj128ELj16E21rocsparse_complex_numIdEllS2_S2_S2_EEvT3_20rocsparse_direction_NS_24const_host_device_scalarIT1_EES3_PKS3_PKT2_SC_S9_PKT4_PKT5_S7_PT6_21rocsparse_index_base_b.has_recursion, 0
	.set _ZN9rocsparseL18bsrxmvn_4x4_kernelILj128ELj16E21rocsparse_complex_numIdEllS2_S2_S2_EEvT3_20rocsparse_direction_NS_24const_host_device_scalarIT1_EES3_PKS3_PKT2_SC_S9_PKT4_PKT5_S7_PT6_21rocsparse_index_base_b.has_indirect_call, 0
	.section	.AMDGPU.csdata,"",@progbits
; Kernel info:
; codeLenInByte = 8180
; TotalNumSgprs: 32
; NumVgprs: 124
; NumAgprs: 0
; TotalNumVgprs: 124
; ScratchSize: 0
; MemoryBound: 1
; FloatMode: 240
; IeeeMode: 1
; LDSByteSize: 0 bytes/workgroup (compile time only)
; SGPRBlocks: 3
; VGPRBlocks: 15
; NumSGPRsForWavesPerEU: 32
; NumVGPRsForWavesPerEU: 124
; AccumOffset: 124
; Occupancy: 4
; WaveLimiterHint : 1
; COMPUTE_PGM_RSRC2:SCRATCH_EN: 0
; COMPUTE_PGM_RSRC2:USER_SGPR: 2
; COMPUTE_PGM_RSRC2:TRAP_HANDLER: 0
; COMPUTE_PGM_RSRC2:TGID_X_EN: 1
; COMPUTE_PGM_RSRC2:TGID_Y_EN: 0
; COMPUTE_PGM_RSRC2:TGID_Z_EN: 0
; COMPUTE_PGM_RSRC2:TIDIG_COMP_CNT: 0
; COMPUTE_PGM_RSRC3_GFX90A:ACCUM_OFFSET: 30
; COMPUTE_PGM_RSRC3_GFX90A:TG_SPLIT: 0
	.section	.text._ZN9rocsparseL18bsrxmvn_4x4_kernelILj128ELj32E21rocsparse_complex_numIdEllS2_S2_S2_EEvT3_20rocsparse_direction_NS_24const_host_device_scalarIT1_EES3_PKS3_PKT2_SC_S9_PKT4_PKT5_S7_PT6_21rocsparse_index_base_b,"axG",@progbits,_ZN9rocsparseL18bsrxmvn_4x4_kernelILj128ELj32E21rocsparse_complex_numIdEllS2_S2_S2_EEvT3_20rocsparse_direction_NS_24const_host_device_scalarIT1_EES3_PKS3_PKT2_SC_S9_PKT4_PKT5_S7_PT6_21rocsparse_index_base_b,comdat
	.globl	_ZN9rocsparseL18bsrxmvn_4x4_kernelILj128ELj32E21rocsparse_complex_numIdEllS2_S2_S2_EEvT3_20rocsparse_direction_NS_24const_host_device_scalarIT1_EES3_PKS3_PKT2_SC_S9_PKT4_PKT5_S7_PT6_21rocsparse_index_base_b ; -- Begin function _ZN9rocsparseL18bsrxmvn_4x4_kernelILj128ELj32E21rocsparse_complex_numIdEllS2_S2_S2_EEvT3_20rocsparse_direction_NS_24const_host_device_scalarIT1_EES3_PKS3_PKT2_SC_S9_PKT4_PKT5_S7_PT6_21rocsparse_index_base_b
	.p2align	8
	.type	_ZN9rocsparseL18bsrxmvn_4x4_kernelILj128ELj32E21rocsparse_complex_numIdEllS2_S2_S2_EEvT3_20rocsparse_direction_NS_24const_host_device_scalarIT1_EES3_PKS3_PKT2_SC_S9_PKT4_PKT5_S7_PT6_21rocsparse_index_base_b,@function
_ZN9rocsparseL18bsrxmvn_4x4_kernelILj128ELj32E21rocsparse_complex_numIdEllS2_S2_S2_EEvT3_20rocsparse_direction_NS_24const_host_device_scalarIT1_EES3_PKS3_PKT2_SC_S9_PKT4_PKT5_S7_PT6_21rocsparse_index_base_b: ; @_ZN9rocsparseL18bsrxmvn_4x4_kernelILj128ELj32E21rocsparse_complex_numIdEllS2_S2_S2_EEvT3_20rocsparse_direction_NS_24const_host_device_scalarIT1_EES3_PKS3_PKT2_SC_S9_PKT4_PKT5_S7_PT6_21rocsparse_index_base_b
; %bb.0:
	s_load_dwordx2 s[4:5], s[0:1], 0x10
	s_load_dwordx2 s[6:7], s[0:1], 0x70
	s_add_u32 s3, s0, 16
	s_addc_u32 s10, s1, 0
	s_add_u32 s11, s0, 0x58
	s_load_dwordx2 s[8:9], s[0:1], 0x58
	s_addc_u32 s12, s1, 0
	s_waitcnt lgkmcnt(0)
	s_bitcmp1_b32 s7, 0
	s_cselect_b32 s5, s10, s5
	s_cselect_b32 s3, s3, s4
	v_mov_b32_e32 v2, s3
	v_mov_b32_e32 v3, s5
	flat_load_dwordx4 v[6:9], v[2:3]
	s_cselect_b32 s3, s12, s9
	s_cselect_b32 s4, s11, s8
	v_mov_b32_e32 v2, s4
	v_mov_b32_e32 v3, s3
	flat_load_dwordx4 v[2:5], v[2:3]
	s_waitcnt vmcnt(0) lgkmcnt(0)
	v_cmp_eq_f64_e32 vcc, 0, v[6:7]
	v_cmp_eq_f64_e64 s[4:5], 0, v[8:9]
	s_and_b64 s[10:11], vcc, s[4:5]
	s_mov_b64 s[4:5], -1
	s_and_saveexec_b64 s[8:9], s[10:11]
; %bb.1:
	v_cmp_neq_f64_e32 vcc, 1.0, v[2:3]
	v_cmp_neq_f64_e64 s[4:5], 0, v[4:5]
	s_or_b64 s[4:5], vcc, s[4:5]
	s_orn2_b64 s[4:5], s[4:5], exec
; %bb.2:
	s_or_b64 exec, exec, s[8:9]
	s_and_saveexec_b64 s[8:9], s[4:5]
	s_cbranch_execz .LBB58_8
; %bb.3:
	s_load_dwordx2 s[4:5], s[0:1], 0x28
	v_lshrrev_b32_e32 v1, 5, v0
	v_lshl_or_b32 v10, s2, 2, v1
	v_mov_b32_e32 v11, 0
	s_mov_b64 s[2:3], 0
	s_waitcnt lgkmcnt(0)
	s_cmp_lg_u64 s[4:5], 0
	s_cbranch_scc0 .LBB58_9
; %bb.4:
	s_load_dwordx2 s[8:9], s[0:1], 0x20
                                        ; implicit-def: $vgpr26_vgpr27
                                        ; implicit-def: $vgpr28_vgpr29
	s_waitcnt lgkmcnt(0)
	v_cmp_gt_i64_e32 vcc, s[8:9], v[10:11]
	s_and_saveexec_b64 s[8:9], vcc
	s_xor_b64 s[8:9], exec, s[8:9]
	s_cbranch_execz .LBB58_6
; %bb.5:
	v_lshl_add_u64 v[12:13], v[10:11], 3, s[4:5]
	global_load_dwordx2 v[12:13], v[12:13], off
	s_mov_b32 s7, 0
	s_mov_b64 s[2:3], exec
	v_mov_b64_e32 v[28:29], s[6:7]
	s_waitcnt vmcnt(0)
	v_subrev_co_u32_e32 v26, vcc, s6, v12
	s_nop 1
	v_subbrev_co_u32_e32 v27, vcc, 0, v13, vcc
.LBB58_6:
	s_or_b64 exec, exec, s[8:9]
.LBB58_7:
	s_and_b64 exec, exec, s[2:3]
	s_cbranch_execnz .LBB58_13
.LBB58_8:
	s_endpgm
.LBB58_9:
                                        ; implicit-def: $vgpr26_vgpr27
                                        ; implicit-def: $vgpr28_vgpr29
	s_cbranch_execz .LBB58_7
; %bb.10:
	s_load_dwordx2 s[4:5], s[0:1], 0x0
	s_waitcnt lgkmcnt(0)
	v_cmp_gt_i64_e32 vcc, s[4:5], v[10:11]
	s_and_saveexec_b64 s[4:5], vcc
; %bb.11:
	s_mov_b32 s7, 0
	s_or_b64 s[2:3], s[2:3], exec
; %bb.12:
	s_or_b64 exec, exec, s[4:5]
	v_mov_b64_e32 v[28:29], s[6:7]
	v_mov_b64_e32 v[26:27], v[10:11]
	s_and_b64 exec, exec, s[2:3]
	s_cbranch_execz .LBB58_8
.LBB58_13:
	s_load_dwordx8 s[4:11], s[0:1], 0x30
	v_lshlrev_b64 v[10:11], 3, v[26:27]
	v_and_b32_e32 v0, 31, v0
	v_mov_b32_e32 v1, 0
	s_waitcnt lgkmcnt(0)
	v_lshl_add_u64 v[12:13], s[4:5], 0, v[10:11]
	s_cmp_eq_u64 s[6:7], 0
	v_lshl_add_u64 v[10:11], s[6:7], 0, v[10:11]
	global_load_dwordx2 v[44:45], v[12:13], off
	v_lshl_add_u64 v[12:13], v[12:13], 0, 8
	s_cselect_b64 vcc, -1, 0
	v_cndmask_b32_e32 v11, v11, v13, vcc
	v_cndmask_b32_e32 v10, v10, v12, vcc
	global_load_dwordx2 v[10:11], v[10:11], off
	s_load_dword s2, s[0:1], 0x8
	s_load_dwordx2 s[4:5], s[0:1], 0x50
	s_waitcnt lgkmcnt(0)
	s_cmp_eq_u32 s2, 1
	s_waitcnt vmcnt(1)
	v_sub_co_u32_e32 v12, vcc, v44, v28
	s_nop 1
	v_subb_co_u32_e32 v13, vcc, v45, v29, vcc
	v_lshl_add_u64 v[34:35], v[12:13], 0, v[0:1]
	s_waitcnt vmcnt(0)
	v_sub_co_u32_e32 v36, vcc, v10, v28
	s_nop 1
	v_subb_co_u32_e32 v37, vcc, v11, v29, vcc
	v_lshlrev_b64 v[10:11], 8, v[34:35]
	v_lshl_add_u64 v[38:39], s[10:11], 0, v[10:11]
	v_cmp_lt_i64_e64 s[2:3], v[34:35], v[36:37]
	s_cbranch_scc1 .LBB58_25
; %bb.14:
	v_mov_b64_e32 v[42:43], 0
	v_mov_b64_e32 v[58:59], 0
	;; [unrolled: 1-line block ×8, first 2 shown]
	s_and_saveexec_b64 s[6:7], s[2:3]
	s_cbranch_execz .LBB58_24
; %bb.15:
	v_or_b32_e32 v1, 32, v0
	v_sub_co_u32_e32 v10, vcc, v1, v28
	v_not_b32_e32 v13, v45
	s_nop 0
	v_subb_co_u32_e32 v11, vcc, 0, v29, vcc
	v_lshl_add_u64 v[10:11], v[10:11], 0, v[44:45]
	v_cmp_gt_i64_e32 vcc, v[10:11], v[36:37]
	v_not_b32_e32 v12, v44
	s_mov_b64 s[10:11], 0x60
	v_cndmask_b32_e32 v11, v37, v11, vcc
	v_cndmask_b32_e32 v10, v36, v10, vcc
	v_sub_co_u32_e32 v14, vcc, v28, v0
	v_mov_b64_e32 v[40:41], 0
	s_nop 0
	v_subbrev_co_u32_e32 v15, vcc, 0, v29, vcc
	v_lshl_add_u64 v[12:13], v[14:15], 0, v[12:13]
	v_lshl_add_u64 v[10:11], v[12:13], 0, v[10:11]
	v_and_b32_e32 v12, 0x60, v10
	v_mov_b32_e32 v13, 0
	v_cmp_ne_u64_e32 vcc, s[10:11], v[12:13]
	v_mov_b64_e32 v[56:57], 0
	v_mov_b64_e32 v[32:33], 0
	;; [unrolled: 1-line block ×9, first 2 shown]
	s_and_saveexec_b64 s[10:11], vcc
	s_cbranch_execz .LBB58_19
; %bb.16:
	v_lshrrev_b32_e32 v1, 5, v10
	v_add_u32_e32 v1, 1, v1
	v_and_b32_e32 v1, 3, v1
	v_sub_co_u32_e32 v14, vcc, 0, v1
	v_lshl_add_u64 v[12:13], v[34:35], 3, s[8:9]
	s_nop 0
	v_subb_co_u32_e64 v15, s[14:15], 0, 0, vcc
	s_mov_b64 s[12:13], 0
	v_mov_b64_e32 v[42:43], 0
	s_mov_b64 s[14:15], 0x2000
	s_mov_b64 s[16:17], 0x100
	v_mov_b64_e32 v[48:49], v[34:35]
	v_mov_b64_e32 v[46:47], v[38:39]
	v_mov_b64_e32 v[58:59], 0
	v_mov_b64_e32 v[52:53], 0
	v_mov_b64_e32 v[30:31], 0
	v_mov_b64_e32 v[54:55], 0
	v_mov_b64_e32 v[32:33], 0
	v_mov_b64_e32 v[56:57], 0
	v_mov_b64_e32 v[40:41], 0
.LBB58_17:                              ; =>This Inner Loop Header: Depth=1
	global_load_dwordx2 v[24:25], v[12:13], off
	global_load_dwordx4 v[16:19], v[46:47], off offset:16
	global_load_dwordx4 v[20:23], v[46:47], off
	global_load_dwordx4 v[60:63], v[46:47], off offset:80
	global_load_dwordx4 v[64:67], v[46:47], off offset:64
	;; [unrolled: 1-line block ×5, first 2 shown]
	v_lshl_add_u64 v[14:15], v[14:15], 0, 1
	v_lshl_add_u64 v[48:49], v[48:49], 0, 32
	;; [unrolled: 1-line block ×3, first 2 shown]
	s_waitcnt vmcnt(7)
	v_sub_co_u32_e32 v24, vcc, v24, v28
	s_nop 1
	v_subb_co_u32_e32 v25, vcc, v25, v29, vcc
	v_lshlrev_b64 v[24:25], 6, v[24:25]
	v_lshl_add_u64 v[24:25], s[4:5], 0, v[24:25]
	global_load_dwordx4 v[80:83], v[24:25], off
	v_cmp_eq_u64_e32 vcc, 0, v[14:15]
	s_or_b64 s[12:13], vcc, s[12:13]
	s_waitcnt vmcnt(0)
	v_fmac_f64_e32 v[58:59], v[20:21], v[80:81]
	v_fmac_f64_e32 v[42:43], v[22:23], v[80:81]
	v_fmac_f64_e32 v[56:57], v[64:65], v[80:81]
	v_fmac_f64_e32 v[40:41], v[66:67], v[80:81]
	v_fmac_f64_e32 v[54:55], v[72:73], v[80:81]
	v_fmac_f64_e32 v[32:33], v[74:75], v[80:81]
	v_fmac_f64_e32 v[52:53], v[76:77], v[80:81]
	v_fma_f64 v[84:85], -v[22:23], v[82:83], v[58:59]
	v_fmac_f64_e32 v[42:43], v[20:21], v[82:83]
	global_load_dwordx4 v[20:23], v[46:47], off offset:208
	v_fma_f64 v[86:87], -v[66:67], v[82:83], v[56:57]
	v_fmac_f64_e32 v[40:41], v[64:65], v[82:83]
	global_load_dwordx4 v[56:59], v[46:47], off offset:48
	global_load_dwordx4 v[64:67], v[46:47], off offset:32
	v_fma_f64 v[54:55], -v[74:75], v[82:83], v[54:55]
	v_fmac_f64_e32 v[32:33], v[72:73], v[82:83]
	v_fmac_f64_e32 v[30:31], v[78:79], v[80:81]
	v_fma_f64 v[78:79], -v[78:79], v[82:83], v[52:53]
	global_load_dwordx4 v[50:53], v[46:47], off offset:112
	global_load_dwordx4 v[72:75], v[24:25], off offset:16
	v_fmac_f64_e32 v[30:31], v[76:77], v[82:83]
	s_waitcnt vmcnt(0)
	v_fmac_f64_e32 v[84:85], v[16:17], v[72:73]
	v_fmac_f64_e32 v[42:43], v[18:19], v[72:73]
	;; [unrolled: 1-line block ×8, first 2 shown]
	v_fma_f64 v[76:77], -v[18:19], v[74:75], v[84:85]
	v_fmac_f64_e32 v[42:43], v[16:17], v[74:75]
	global_load_dwordx4 v[16:19], v[46:47], off offset:96
	v_fma_f64 v[80:81], -v[62:63], v[74:75], v[86:87]
	v_fmac_f64_e32 v[40:41], v[60:61], v[74:75]
	global_load_dwordx4 v[60:63], v[46:47], off offset:176
	v_fma_f64 v[54:55], -v[70:71], v[74:75], v[54:55]
	v_fmac_f64_e32 v[32:33], v[68:69], v[74:75]
	global_load_dwordx4 v[68:71], v[46:47], off offset:160
	v_fma_f64 v[78:79], -v[22:23], v[74:75], v[78:79]
	v_fmac_f64_e32 v[30:31], v[20:21], v[74:75]
	global_load_dwordx4 v[20:23], v[46:47], off offset:224
	global_load_dwordx4 v[72:75], v[24:25], off offset:32
	s_waitcnt vmcnt(0)
	v_fmac_f64_e32 v[76:77], v[64:65], v[72:73]
	v_fmac_f64_e32 v[42:43], v[66:67], v[72:73]
	;; [unrolled: 1-line block ×4, first 2 shown]
	v_fma_f64 v[76:77], -v[66:67], v[74:75], v[76:77]
	v_fmac_f64_e32 v[42:43], v[64:65], v[74:75]
	global_load_dwordx4 v[64:67], v[46:47], off offset:240
	v_fma_f64 v[80:81], -v[18:19], v[74:75], v[80:81]
	v_fmac_f64_e32 v[40:41], v[16:17], v[74:75]
	global_load_dwordx4 v[16:19], v[24:25], off offset:48
	v_fmac_f64_e32 v[54:55], v[68:69], v[72:73]
	v_fmac_f64_e32 v[32:33], v[70:71], v[72:73]
	;; [unrolled: 1-line block ×4, first 2 shown]
	v_fma_f64 v[24:25], -v[70:71], v[74:75], v[54:55]
	v_fmac_f64_e32 v[32:33], v[68:69], v[74:75]
	v_fma_f64 v[22:23], -v[22:23], v[74:75], v[78:79]
	v_fmac_f64_e32 v[30:31], v[20:21], v[74:75]
	v_lshl_add_u64 v[46:47], v[46:47], 0, s[14:15]
	s_waitcnt vmcnt(0)
	v_fmac_f64_e32 v[76:77], v[56:57], v[16:17]
	v_fmac_f64_e32 v[42:43], v[58:59], v[16:17]
	v_fmac_f64_e32 v[80:81], v[50:51], v[16:17]
	v_fmac_f64_e32 v[40:41], v[52:53], v[16:17]
	v_fmac_f64_e32 v[24:25], v[60:61], v[16:17]
	v_fmac_f64_e32 v[32:33], v[62:63], v[16:17]
	v_fmac_f64_e32 v[22:23], v[64:65], v[16:17]
	v_fmac_f64_e32 v[30:31], v[66:67], v[16:17]
	v_fma_f64 v[58:59], -v[58:59], v[18:19], v[76:77]
	v_fmac_f64_e32 v[42:43], v[56:57], v[18:19]
	v_fma_f64 v[56:57], -v[52:53], v[18:19], v[80:81]
	v_fmac_f64_e32 v[40:41], v[50:51], v[18:19]
	;; [unrolled: 2-line block ×4, first 2 shown]
	s_andn2_b64 exec, exec, s[12:13]
	s_cbranch_execnz .LBB58_17
; %bb.18:
	s_or_b64 exec, exec, s[12:13]
.LBB58_19:
	s_or_b64 exec, exec, s[10:11]
	s_mov_b64 s[10:11], 0x5f
	v_cmp_lt_u64_e32 vcc, s[10:11], v[10:11]
	s_and_saveexec_b64 s[10:11], vcc
	s_cbranch_execz .LBB58_23
; %bb.20:
	v_lshl_add_u64 v[10:11], v[48:49], 3, s[8:9]
	s_mov_b64 s[12:13], 0x200
	v_lshl_add_u64 v[50:51], v[10:11], 0, s[12:13]
	s_mov_b64 s[12:13], 0
	s_mov_b64 s[14:15], 0x2000
	s_movk_i32 s26, 0x2000
	s_mov_b64 s[16:17], 0x4000
	s_movk_i32 s27, 0x4000
	;; [unrolled: 2-line block ×3, first 2 shown]
	s_mov_b64 s[20:21], 0x80
	s_mov_b64 s[22:23], 0x400
	;; [unrolled: 1-line block ×3, first 2 shown]
.LBB58_21:                              ; =>This Inner Loop Header: Depth=1
	global_load_dwordx2 v[10:11], v[50:51], off offset:-512
	global_load_dwordx4 v[60:63], v[46:47], off offset:48
	global_load_dwordx4 v[64:67], v[46:47], off offset:32
	;; [unrolled: 1-line block ×3, first 2 shown]
	global_load_dwordx4 v[72:75], v[46:47], off
	v_lshl_add_u64 v[80:81], v[46:47], 0, s[14:15]
	v_lshl_add_u64 v[48:49], v[48:49], 0, s[20:21]
	s_waitcnt vmcnt(4)
	v_sub_co_u32_e32 v10, vcc, v10, v28
	s_nop 1
	v_subb_co_u32_e32 v11, vcc, v11, v29, vcc
	v_lshlrev_b64 v[10:11], 6, v[10:11]
	v_lshl_add_u64 v[76:77], s[4:5], 0, v[10:11]
	global_load_dwordx4 v[10:13], v[76:77], off offset:48
	global_load_dwordx4 v[14:17], v[76:77], off offset:32
	;; [unrolled: 1-line block ×3, first 2 shown]
	global_load_dwordx4 v[22:25], v[76:77], off
	s_waitcnt vmcnt(0)
	v_fmac_f64_e32 v[58:59], v[72:73], v[22:23]
	v_fmac_f64_e32 v[42:43], v[74:75], v[22:23]
	v_fma_f64 v[58:59], -v[74:75], v[24:25], v[58:59]
	v_fmac_f64_e32 v[42:43], v[72:73], v[24:25]
	v_fmac_f64_e32 v[58:59], v[68:69], v[18:19]
	v_fmac_f64_e32 v[42:43], v[70:71], v[18:19]
	v_fma_f64 v[58:59], -v[70:71], v[20:21], v[58:59]
	v_fmac_f64_e32 v[42:43], v[68:69], v[20:21]
	v_fmac_f64_e32 v[58:59], v[64:65], v[14:15]
	v_fmac_f64_e32 v[42:43], v[66:67], v[14:15]
	v_fma_f64 v[58:59], -v[66:67], v[16:17], v[58:59]
	v_fmac_f64_e32 v[42:43], v[64:65], v[16:17]
	v_fmac_f64_e32 v[58:59], v[60:61], v[10:11]
	v_fmac_f64_e32 v[42:43], v[62:63], v[10:11]
	v_fma_f64 v[58:59], -v[62:63], v[12:13], v[58:59]
	v_fmac_f64_e32 v[42:43], v[60:61], v[12:13]
	global_load_dwordx4 v[60:63], v[46:47], off offset:112
	global_load_dwordx4 v[64:67], v[46:47], off offset:96
	global_load_dwordx4 v[68:71], v[46:47], off offset:80
	global_load_dwordx4 v[72:75], v[46:47], off offset:64
	s_waitcnt vmcnt(0)
	v_fmac_f64_e32 v[56:57], v[72:73], v[22:23]
	v_fmac_f64_e32 v[40:41], v[74:75], v[22:23]
	v_fma_f64 v[56:57], -v[74:75], v[24:25], v[56:57]
	v_fmac_f64_e32 v[40:41], v[72:73], v[24:25]
	v_fmac_f64_e32 v[56:57], v[68:69], v[18:19]
	v_fmac_f64_e32 v[40:41], v[70:71], v[18:19]
	v_fma_f64 v[56:57], -v[70:71], v[20:21], v[56:57]
	v_fmac_f64_e32 v[40:41], v[68:69], v[20:21]
	v_fmac_f64_e32 v[56:57], v[64:65], v[14:15]
	v_fmac_f64_e32 v[40:41], v[66:67], v[14:15]
	v_fma_f64 v[56:57], -v[66:67], v[16:17], v[56:57]
	v_fmac_f64_e32 v[40:41], v[64:65], v[16:17]
	v_fmac_f64_e32 v[56:57], v[60:61], v[10:11]
	v_fmac_f64_e32 v[40:41], v[62:63], v[10:11]
	v_fma_f64 v[56:57], -v[62:63], v[12:13], v[56:57]
	v_fmac_f64_e32 v[40:41], v[60:61], v[12:13]
	global_load_dwordx4 v[60:63], v[46:47], off offset:176
	global_load_dwordx4 v[64:67], v[46:47], off offset:160
	global_load_dwordx4 v[68:71], v[46:47], off offset:144
	global_load_dwordx4 v[72:75], v[46:47], off offset:128
	;; [unrolled: 21-line block ×3, first 2 shown]
	s_waitcnt vmcnt(0)
	v_fmac_f64_e32 v[52:53], v[72:73], v[22:23]
	v_fmac_f64_e32 v[30:31], v[74:75], v[22:23]
	v_fma_f64 v[52:53], -v[74:75], v[24:25], v[52:53]
	v_fmac_f64_e32 v[30:31], v[72:73], v[24:25]
	v_fmac_f64_e32 v[52:53], v[68:69], v[18:19]
	v_fmac_f64_e32 v[30:31], v[70:71], v[18:19]
	v_fma_f64 v[22:23], -v[70:71], v[20:21], v[52:53]
	v_fmac_f64_e32 v[30:31], v[68:69], v[20:21]
	;; [unrolled: 4-line block ×3, first 2 shown]
	v_fmac_f64_e32 v[18:19], v[60:61], v[10:11]
	v_fmac_f64_e32 v[30:31], v[62:63], v[10:11]
	global_load_dwordx2 v[10:11], v[50:51], off offset:-256
	v_fma_f64 v[78:79], -v[62:63], v[12:13], v[18:19]
	v_fmac_f64_e32 v[30:31], v[60:61], v[12:13]
	s_waitcnt vmcnt(0)
	v_sub_co_u32_e32 v52, vcc, v10, v28
	s_nop 1
	v_subb_co_u32_e32 v53, vcc, v11, v29, vcc
	v_add_co_u32_e32 v54, vcc, s26, v46
	v_lshlrev_b64 v[52:53], 6, v[52:53]
	s_nop 0
	v_addc_co_u32_e32 v55, vcc, 0, v47, vcc
	v_lshl_add_u64 v[72:73], s[4:5], 0, v[52:53]
	global_load_dwordx4 v[10:13], v[54:55], off
	global_load_dwordx4 v[14:17], v[80:81], off offset:48
	global_load_dwordx4 v[18:21], v[80:81], off offset:32
	;; [unrolled: 1-line block ×3, first 2 shown]
	s_nop 0
	global_load_dwordx4 v[52:55], v[72:73], off offset:48
	global_load_dwordx4 v[60:63], v[72:73], off offset:32
	;; [unrolled: 1-line block ×3, first 2 shown]
	global_load_dwordx4 v[68:71], v[72:73], off
	s_waitcnt vmcnt(0)
	v_fmac_f64_e32 v[58:59], v[10:11], v[68:69]
	v_fmac_f64_e32 v[42:43], v[12:13], v[68:69]
	v_fma_f64 v[58:59], -v[12:13], v[70:71], v[58:59]
	v_fmac_f64_e32 v[42:43], v[10:11], v[70:71]
	v_fmac_f64_e32 v[58:59], v[22:23], v[64:65]
	v_fmac_f64_e32 v[42:43], v[24:25], v[64:65]
	v_fma_f64 v[10:11], -v[24:25], v[66:67], v[58:59]
	v_fmac_f64_e32 v[42:43], v[22:23], v[66:67]
	v_fmac_f64_e32 v[10:11], v[18:19], v[60:61]
	v_fmac_f64_e32 v[42:43], v[20:21], v[60:61]
	v_fma_f64 v[10:11], -v[20:21], v[62:63], v[10:11]
	v_fmac_f64_e32 v[42:43], v[18:19], v[62:63]
	v_fmac_f64_e32 v[10:11], v[14:15], v[52:53]
	v_fmac_f64_e32 v[42:43], v[16:17], v[52:53]
	v_fma_f64 v[10:11], -v[16:17], v[54:55], v[10:11]
	v_fmac_f64_e32 v[42:43], v[14:15], v[54:55]
	global_load_dwordx4 v[14:17], v[80:81], off offset:112
	global_load_dwordx4 v[18:21], v[80:81], off offset:96
	;; [unrolled: 1-line block ×4, first 2 shown]
	s_waitcnt vmcnt(0)
	v_fmac_f64_e32 v[56:57], v[72:73], v[68:69]
	v_fma_f64 v[12:13], -v[74:75], v[70:71], v[56:57]
	v_fmac_f64_e32 v[40:41], v[74:75], v[68:69]
	v_fmac_f64_e32 v[40:41], v[72:73], v[70:71]
	v_fmac_f64_e32 v[12:13], v[22:23], v[64:65]
	v_fma_f64 v[12:13], -v[24:25], v[66:67], v[12:13]
	v_fmac_f64_e32 v[40:41], v[24:25], v[64:65]
	v_fmac_f64_e32 v[40:41], v[22:23], v[66:67]
	;; [unrolled: 4-line block ×3, first 2 shown]
	v_fmac_f64_e32 v[12:13], v[14:15], v[52:53]
	v_fma_f64 v[12:13], -v[16:17], v[54:55], v[12:13]
	v_fmac_f64_e32 v[40:41], v[16:17], v[52:53]
	global_load_dwordx4 v[16:19], v[80:81], off offset:176
	global_load_dwordx4 v[20:23], v[80:81], off offset:160
	;; [unrolled: 1-line block ×4, first 2 shown]
	v_fmac_f64_e32 v[40:41], v[14:15], v[54:55]
	s_waitcnt vmcnt(0)
	v_fmac_f64_e32 v[76:77], v[72:73], v[68:69]
	v_fma_f64 v[14:15], -v[74:75], v[70:71], v[76:77]
	v_fmac_f64_e32 v[32:33], v[74:75], v[68:69]
	v_fmac_f64_e32 v[32:33], v[72:73], v[70:71]
	v_fmac_f64_e32 v[14:15], v[56:57], v[64:65]
	v_fma_f64 v[14:15], -v[58:59], v[66:67], v[14:15]
	v_fmac_f64_e32 v[32:33], v[58:59], v[64:65]
	v_fmac_f64_e32 v[32:33], v[56:57], v[66:67]
	;; [unrolled: 4-line block ×3, first 2 shown]
	v_fmac_f64_e32 v[14:15], v[16:17], v[52:53]
	v_fma_f64 v[14:15], -v[18:19], v[54:55], v[14:15]
	v_fmac_f64_e32 v[32:33], v[18:19], v[52:53]
	global_load_dwordx4 v[18:21], v[80:81], off offset:240
	global_load_dwordx4 v[22:25], v[80:81], off offset:224
	;; [unrolled: 1-line block ×4, first 2 shown]
	v_fmac_f64_e32 v[32:33], v[16:17], v[54:55]
	v_lshl_add_u64 v[80:81], v[46:47], 0, s[16:17]
	s_waitcnt vmcnt(0)
	v_fmac_f64_e32 v[30:31], v[74:75], v[68:69]
	v_fmac_f64_e32 v[78:79], v[72:73], v[68:69]
	v_fmac_f64_e32 v[30:31], v[72:73], v[70:71]
	v_fma_f64 v[16:17], -v[74:75], v[70:71], v[78:79]
	v_fmac_f64_e32 v[30:31], v[58:59], v[64:65]
	v_fmac_f64_e32 v[16:17], v[56:57], v[64:65]
	v_fmac_f64_e32 v[30:31], v[56:57], v[66:67]
	v_fma_f64 v[16:17], -v[58:59], v[66:67], v[16:17]
	;; [unrolled: 4-line block ×3, first 2 shown]
	v_fmac_f64_e32 v[30:31], v[20:21], v[52:53]
	v_fmac_f64_e32 v[16:17], v[18:19], v[52:53]
	;; [unrolled: 1-line block ×3, first 2 shown]
	global_load_dwordx2 v[18:19], v[50:51], off
	v_fma_f64 v[16:17], -v[20:21], v[54:55], v[16:17]
	s_waitcnt vmcnt(0)
	v_sub_co_u32_e32 v18, vcc, v18, v28
	s_nop 1
	v_subb_co_u32_e32 v19, vcc, v19, v29, vcc
	v_add_co_u32_e32 v24, vcc, s27, v46
	v_lshlrev_b64 v[18:19], 6, v[18:19]
	s_nop 0
	v_addc_co_u32_e32 v25, vcc, 0, v47, vcc
	v_lshl_add_u64 v[18:19], s[4:5], 0, v[18:19]
	global_load_dwordx4 v[20:23], v[24:25], off
	global_load_dwordx4 v[52:55], v[80:81], off offset:48
	global_load_dwordx4 v[56:59], v[80:81], off offset:32
	;; [unrolled: 1-line block ×6, first 2 shown]
	global_load_dwordx4 v[76:79], v[18:19], off
	s_waitcnt vmcnt(0)
	v_fmac_f64_e32 v[10:11], v[20:21], v[76:77]
	v_fmac_f64_e32 v[42:43], v[22:23], v[76:77]
	v_fma_f64 v[10:11], -v[22:23], v[78:79], v[10:11]
	v_fmac_f64_e32 v[42:43], v[20:21], v[78:79]
	v_fmac_f64_e32 v[10:11], v[60:61], v[72:73]
	v_fmac_f64_e32 v[42:43], v[62:63], v[72:73]
	v_fma_f64 v[10:11], -v[62:63], v[74:75], v[10:11]
	v_fmac_f64_e32 v[42:43], v[60:61], v[74:75]
	v_fmac_f64_e32 v[10:11], v[56:57], v[68:69]
	v_fmac_f64_e32 v[42:43], v[58:59], v[68:69]
	v_fma_f64 v[10:11], -v[58:59], v[70:71], v[10:11]
	v_fmac_f64_e32 v[42:43], v[56:57], v[70:71]
	v_fmac_f64_e32 v[10:11], v[52:53], v[64:65]
	v_fmac_f64_e32 v[42:43], v[54:55], v[64:65]
	v_fma_f64 v[58:59], -v[54:55], v[66:67], v[10:11]
	v_fmac_f64_e32 v[42:43], v[52:53], v[66:67]
	global_load_dwordx4 v[18:21], v[80:81], off offset:112
	global_load_dwordx4 v[22:25], v[80:81], off offset:96
	global_load_dwordx4 v[52:55], v[80:81], off offset:80
	global_load_dwordx4 v[60:63], v[80:81], off offset:64
	s_waitcnt vmcnt(0)
	v_fmac_f64_e32 v[12:13], v[60:61], v[76:77]
	v_fmac_f64_e32 v[40:41], v[62:63], v[76:77]
	v_fma_f64 v[10:11], -v[62:63], v[78:79], v[12:13]
	v_fmac_f64_e32 v[40:41], v[60:61], v[78:79]
	v_fmac_f64_e32 v[10:11], v[52:53], v[72:73]
	v_fmac_f64_e32 v[40:41], v[54:55], v[72:73]
	v_fma_f64 v[10:11], -v[54:55], v[74:75], v[10:11]
	v_fmac_f64_e32 v[40:41], v[52:53], v[74:75]
	v_fmac_f64_e32 v[10:11], v[22:23], v[68:69]
	v_fmac_f64_e32 v[40:41], v[24:25], v[68:69]
	v_fma_f64 v[10:11], -v[24:25], v[70:71], v[10:11]
	v_fmac_f64_e32 v[40:41], v[22:23], v[70:71]
	v_fmac_f64_e32 v[10:11], v[18:19], v[64:65]
	v_fmac_f64_e32 v[40:41], v[20:21], v[64:65]
	v_fma_f64 v[56:57], -v[20:21], v[66:67], v[10:11]
	v_fmac_f64_e32 v[40:41], v[18:19], v[66:67]
	global_load_dwordx4 v[10:13], v[80:81], off offset:176
	global_load_dwordx4 v[18:21], v[80:81], off offset:160
	global_load_dwordx4 v[22:25], v[80:81], off offset:144
	global_load_dwordx4 v[52:55], v[80:81], off offset:128
	;; [unrolled: 21-line block ×3, first 2 shown]
	s_waitcnt vmcnt(0)
	v_fmac_f64_e32 v[30:31], v[62:63], v[76:77]
	v_fmac_f64_e32 v[16:17], v[60:61], v[76:77]
	v_fmac_f64_e32 v[30:31], v[60:61], v[78:79]
	v_fma_f64 v[14:15], -v[62:63], v[78:79], v[16:17]
	v_fmac_f64_e32 v[30:31], v[24:25], v[72:73]
	v_fmac_f64_e32 v[14:15], v[22:23], v[72:73]
	v_fmac_f64_e32 v[30:31], v[22:23], v[74:75]
	v_fma_f64 v[14:15], -v[24:25], v[74:75], v[14:15]
	v_fmac_f64_e32 v[30:31], v[20:21], v[68:69]
	v_fmac_f64_e32 v[14:15], v[18:19], v[68:69]
	v_fmac_f64_e32 v[30:31], v[18:19], v[70:71]
	v_fma_f64 v[14:15], -v[20:21], v[70:71], v[14:15]
	v_fmac_f64_e32 v[30:31], v[12:13], v[64:65]
	v_fmac_f64_e32 v[14:15], v[10:11], v[64:65]
	;; [unrolled: 1-line block ×3, first 2 shown]
	global_load_dwordx2 v[10:11], v[50:51], off offset:256
	v_fma_f64 v[52:53], -v[12:13], v[66:67], v[14:15]
	v_lshl_add_u64 v[60:61], v[46:47], 0, s[18:19]
	v_lshl_add_u64 v[50:51], v[50:51], 0, s[22:23]
	s_waitcnt vmcnt(0)
	v_sub_co_u32_e32 v10, vcc, v10, v28
	s_nop 1
	v_subb_co_u32_e32 v11, vcc, v11, v29, vcc
	v_add_co_u32_e32 v12, vcc, s28, v46
	v_lshlrev_b64 v[10:11], 6, v[10:11]
	s_nop 0
	v_addc_co_u32_e32 v13, vcc, 0, v47, vcc
	v_lshl_add_u64 v[78:79], s[4:5], 0, v[10:11]
	global_load_dwordx4 v[62:65], v[12:13], off
	global_load_dwordx4 v[66:69], v[60:61], off offset:48
	global_load_dwordx4 v[70:73], v[60:61], off offset:32
	;; [unrolled: 1-line block ×3, first 2 shown]
	s_nop 0
	global_load_dwordx4 v[10:13], v[78:79], off offset:48
	global_load_dwordx4 v[14:17], v[78:79], off offset:32
	;; [unrolled: 1-line block ×3, first 2 shown]
	global_load_dwordx4 v[22:25], v[78:79], off
	v_cmp_ge_i64_e32 vcc, v[48:49], v[36:37]
	v_lshl_add_u64 v[46:47], v[46:47], 0, s[24:25]
	s_or_b64 s[12:13], vcc, s[12:13]
	s_waitcnt vmcnt(0)
	v_fmac_f64_e32 v[58:59], v[62:63], v[22:23]
	v_fmac_f64_e32 v[42:43], v[64:65], v[22:23]
	v_fma_f64 v[58:59], -v[64:65], v[24:25], v[58:59]
	v_fmac_f64_e32 v[42:43], v[62:63], v[24:25]
	v_fmac_f64_e32 v[58:59], v[74:75], v[18:19]
	v_fmac_f64_e32 v[42:43], v[76:77], v[18:19]
	v_fma_f64 v[58:59], -v[76:77], v[20:21], v[58:59]
	v_fmac_f64_e32 v[42:43], v[74:75], v[20:21]
	v_fmac_f64_e32 v[58:59], v[70:71], v[14:15]
	v_fmac_f64_e32 v[42:43], v[72:73], v[14:15]
	v_fma_f64 v[58:59], -v[72:73], v[16:17], v[58:59]
	v_fmac_f64_e32 v[42:43], v[70:71], v[16:17]
	v_fmac_f64_e32 v[58:59], v[66:67], v[10:11]
	v_fmac_f64_e32 v[42:43], v[68:69], v[10:11]
	v_fma_f64 v[58:59], -v[68:69], v[12:13], v[58:59]
	v_fmac_f64_e32 v[42:43], v[66:67], v[12:13]
	global_load_dwordx4 v[62:65], v[60:61], off offset:112
	global_load_dwordx4 v[66:69], v[60:61], off offset:96
	global_load_dwordx4 v[70:73], v[60:61], off offset:80
	global_load_dwordx4 v[74:77], v[60:61], off offset:64
	s_waitcnt vmcnt(0)
	v_fmac_f64_e32 v[56:57], v[74:75], v[22:23]
	v_fmac_f64_e32 v[40:41], v[76:77], v[22:23]
	v_fma_f64 v[56:57], -v[76:77], v[24:25], v[56:57]
	v_fmac_f64_e32 v[40:41], v[74:75], v[24:25]
	v_fmac_f64_e32 v[56:57], v[70:71], v[18:19]
	v_fmac_f64_e32 v[40:41], v[72:73], v[18:19]
	v_fma_f64 v[56:57], -v[72:73], v[20:21], v[56:57]
	v_fmac_f64_e32 v[40:41], v[70:71], v[20:21]
	v_fmac_f64_e32 v[56:57], v[66:67], v[14:15]
	v_fmac_f64_e32 v[40:41], v[68:69], v[14:15]
	v_fma_f64 v[56:57], -v[68:69], v[16:17], v[56:57]
	v_fmac_f64_e32 v[40:41], v[66:67], v[16:17]
	v_fmac_f64_e32 v[56:57], v[62:63], v[10:11]
	v_fmac_f64_e32 v[40:41], v[64:65], v[10:11]
	v_fma_f64 v[56:57], -v[64:65], v[12:13], v[56:57]
	v_fmac_f64_e32 v[40:41], v[62:63], v[12:13]
	global_load_dwordx4 v[62:65], v[60:61], off offset:176
	global_load_dwordx4 v[66:69], v[60:61], off offset:160
	global_load_dwordx4 v[70:73], v[60:61], off offset:144
	global_load_dwordx4 v[74:77], v[60:61], off offset:128
	;; [unrolled: 21-line block ×3, first 2 shown]
	s_waitcnt vmcnt(0)
	v_fmac_f64_e32 v[52:53], v[74:75], v[22:23]
	v_fmac_f64_e32 v[30:31], v[76:77], v[22:23]
	v_fma_f64 v[52:53], -v[76:77], v[24:25], v[52:53]
	v_fmac_f64_e32 v[30:31], v[74:75], v[24:25]
	v_fmac_f64_e32 v[52:53], v[70:71], v[18:19]
	v_fmac_f64_e32 v[30:31], v[72:73], v[18:19]
	v_fma_f64 v[22:23], -v[72:73], v[20:21], v[52:53]
	v_fmac_f64_e32 v[30:31], v[70:71], v[20:21]
	;; [unrolled: 4-line block ×4, first 2 shown]
	s_andn2_b64 exec, exec, s[12:13]
	s_cbranch_execnz .LBB58_21
; %bb.22:
	s_or_b64 exec, exec, s[12:13]
.LBB58_23:
	s_or_b64 exec, exec, s[10:11]
.LBB58_24:
	s_or_b64 exec, exec, s[6:7]
	s_cbranch_execz .LBB58_26
	s_branch .LBB58_37
.LBB58_25:
                                        ; implicit-def: $vgpr42_vgpr43
                                        ; implicit-def: $vgpr58_vgpr59
                                        ; implicit-def: $vgpr52_vgpr53
                                        ; implicit-def: $vgpr30_vgpr31
                                        ; implicit-def: $vgpr54_vgpr55
                                        ; implicit-def: $vgpr32_vgpr33
                                        ; implicit-def: $vgpr56_vgpr57
                                        ; implicit-def: $vgpr40_vgpr41
.LBB58_26:
	v_mov_b64_e32 v[42:43], 0
	v_mov_b64_e32 v[58:59], 0
	;; [unrolled: 1-line block ×8, first 2 shown]
	s_and_saveexec_b64 s[6:7], s[2:3]
	s_cbranch_execz .LBB58_36
; %bb.27:
	v_or_b32_e32 v1, 32, v0
	v_sub_co_u32_e32 v10, vcc, v1, v28
	v_not_b32_e32 v13, v45
	s_nop 0
	v_subb_co_u32_e32 v11, vcc, 0, v29, vcc
	v_lshl_add_u64 v[10:11], v[10:11], 0, v[44:45]
	v_cmp_gt_i64_e32 vcc, v[10:11], v[36:37]
	v_not_b32_e32 v12, v44
	s_mov_b64 s[2:3], 0x60
	v_cndmask_b32_e32 v11, v37, v11, vcc
	v_cndmask_b32_e32 v10, v36, v10, vcc
	v_sub_co_u32_e32 v14, vcc, v28, v0
	v_mov_b64_e32 v[40:41], 0
	s_nop 0
	v_subbrev_co_u32_e32 v15, vcc, 0, v29, vcc
	v_lshl_add_u64 v[12:13], v[14:15], 0, v[12:13]
	v_lshl_add_u64 v[44:45], v[12:13], 0, v[10:11]
	v_and_b32_e32 v10, 0x60, v44
	v_mov_b32_e32 v11, 0
	v_cmp_ne_u64_e32 vcc, s[2:3], v[10:11]
	v_mov_b64_e32 v[56:57], 0
	v_mov_b64_e32 v[32:33], 0
	;; [unrolled: 1-line block ×7, first 2 shown]
	s_and_saveexec_b64 s[2:3], vcc
	s_cbranch_execz .LBB58_31
; %bb.28:
	v_lshrrev_b32_e32 v1, 5, v44
	v_add_u32_e32 v1, 1, v1
	v_and_b32_e32 v1, 3, v1
	v_sub_co_u32_e32 v48, vcc, 0, v1
	v_lshl_add_u64 v[46:47], v[34:35], 3, s[8:9]
	s_nop 0
	v_subb_co_u32_e64 v49, s[12:13], 0, 0, vcc
	s_mov_b64 s[10:11], 0
	v_mov_b64_e32 v[42:43], 0
	s_mov_b64 s[12:13], 0x2000
	s_mov_b64 s[14:15], 0x100
	v_mov_b64_e32 v[58:59], 0
	v_mov_b64_e32 v[52:53], 0
	;; [unrolled: 1-line block ×7, first 2 shown]
.LBB58_29:                              ; =>This Inner Loop Header: Depth=1
	global_load_dwordx2 v[50:51], v[46:47], off
	global_load_dwordx4 v[10:13], v[38:39], off offset:48
	global_load_dwordx4 v[14:17], v[38:39], off offset:32
	;; [unrolled: 1-line block ×3, first 2 shown]
	global_load_dwordx4 v[22:25], v[38:39], off
	global_load_dwordx4 v[60:63], v[38:39], off offset:112
	global_load_dwordx4 v[64:67], v[38:39], off offset:96
	;; [unrolled: 1-line block ×12, first 2 shown]
	v_lshl_add_u64 v[48:49], v[48:49], 0, 1
	v_lshl_add_u64 v[38:39], v[38:39], 0, s[12:13]
	;; [unrolled: 1-line block ×4, first 2 shown]
	s_waitcnt vmcnt(16)
	v_sub_co_u32_e32 v50, vcc, v50, v28
	s_nop 1
	v_subb_co_u32_e32 v51, vcc, v51, v29, vcc
	v_lshlrev_b64 v[50:51], 6, v[50:51]
	v_lshl_add_u64 v[50:51], s[4:5], 0, v[50:51]
	global_load_dwordx4 v[108:111], v[50:51], off
	global_load_dwordx4 v[112:115], v[50:51], off offset:16
	global_load_dwordx4 v[116:119], v[50:51], off offset:32
	;; [unrolled: 1-line block ×3, first 2 shown]
	v_cmp_eq_u64_e32 vcc, 0, v[48:49]
	s_or_b64 s[10:11], vcc, s[10:11]
	s_waitcnt vmcnt(3)
	v_fmac_f64_e32 v[58:59], v[22:23], v[108:109]
	v_fmac_f64_e32 v[42:43], v[24:25], v[108:109]
	v_fmac_f64_e32 v[56:57], v[18:19], v[108:109]
	v_fmac_f64_e32 v[40:41], v[20:21], v[108:109]
	v_fmac_f64_e32 v[54:55], v[14:15], v[108:109]
	v_fmac_f64_e32 v[32:33], v[16:17], v[108:109]
	v_fmac_f64_e32 v[52:53], v[10:11], v[108:109]
	v_fmac_f64_e32 v[30:31], v[12:13], v[108:109]
	v_fma_f64 v[24:25], -v[24:25], v[110:111], v[58:59]
	v_fmac_f64_e32 v[42:43], v[22:23], v[110:111]
	v_fma_f64 v[20:21], -v[20:21], v[110:111], v[56:57]
	v_fmac_f64_e32 v[40:41], v[18:19], v[110:111]
	v_fma_f64 v[16:17], -v[16:17], v[110:111], v[54:55]
	v_fmac_f64_e32 v[32:33], v[14:15], v[110:111]
	v_fma_f64 v[12:13], -v[12:13], v[110:111], v[52:53]
	v_fmac_f64_e32 v[30:31], v[10:11], v[110:111]
	s_waitcnt vmcnt(2)
	v_fmac_f64_e32 v[24:25], v[72:73], v[112:113]
	v_fmac_f64_e32 v[42:43], v[74:75], v[112:113]
	v_fmac_f64_e32 v[20:21], v[68:69], v[112:113]
	v_fmac_f64_e32 v[40:41], v[70:71], v[112:113]
	v_fmac_f64_e32 v[16:17], v[64:65], v[112:113]
	v_fmac_f64_e32 v[32:33], v[66:67], v[112:113]
	v_fmac_f64_e32 v[12:13], v[60:61], v[112:113]
	v_fmac_f64_e32 v[30:31], v[62:63], v[112:113]
	v_fma_f64 v[10:11], -v[74:75], v[114:115], v[24:25]
	v_fmac_f64_e32 v[42:43], v[72:73], v[114:115]
	v_fma_f64 v[14:15], -v[70:71], v[114:115], v[20:21]
	v_fmac_f64_e32 v[40:41], v[68:69], v[114:115]
	v_fma_f64 v[16:17], -v[66:67], v[114:115], v[16:17]
	v_fmac_f64_e32 v[32:33], v[64:65], v[114:115]
	v_fma_f64 v[12:13], -v[62:63], v[114:115], v[12:13]
	v_fmac_f64_e32 v[30:31], v[60:61], v[114:115]
	;; [unrolled: 17-line block ×4, first 2 shown]
	s_andn2_b64 exec, exec, s[10:11]
	s_cbranch_execnz .LBB58_29
; %bb.30:
	s_or_b64 exec, exec, s[10:11]
.LBB58_31:
	s_or_b64 exec, exec, s[2:3]
	s_mov_b64 s[2:3], 0x5f
	v_cmp_lt_u64_e32 vcc, s[2:3], v[44:45]
	s_and_saveexec_b64 s[2:3], vcc
	s_cbranch_execz .LBB58_35
; %bb.32:
	v_lshl_add_u64 v[10:11], v[34:35], 3, s[8:9]
	s_mov_b64 s[8:9], 0x200
	v_lshl_add_u64 v[18:19], v[10:11], 0, s[8:9]
	s_mov_b64 s[8:9], 0
	s_mov_b64 s[10:11], 0x2000
	s_movk_i32 s22, 0x2000
	s_mov_b64 s[12:13], 0x4000
	s_movk_i32 s23, 0x4000
	s_mov_b64 s[14:15], 0x6000
	s_movk_i32 s24, 0x6000
	s_mov_b64 s[16:17], 0x80
	s_mov_b64 s[18:19], 0x400
	;; [unrolled: 1-line block ×3, first 2 shown]
.LBB58_33:                              ; =>This Inner Loop Header: Depth=1
	global_load_dwordx2 v[10:11], v[18:19], off offset:-512
	global_load_dwordx4 v[14:17], v[38:39], off offset:48
	global_load_dwordx4 v[20:23], v[38:39], off offset:32
	global_load_dwordx4 v[44:47], v[38:39], off offset:16
	global_load_dwordx4 v[48:51], v[38:39], off
	v_lshl_add_u64 v[34:35], v[34:35], 0, s[16:17]
	s_waitcnt vmcnt(4)
	v_sub_co_u32_e32 v10, vcc, v10, v28
	s_nop 1
	v_subb_co_u32_e32 v11, vcc, v11, v29, vcc
	v_lshlrev_b64 v[10:11], 6, v[10:11]
	v_lshl_add_u64 v[24:25], s[4:5], 0, v[10:11]
	global_load_dwordx4 v[10:13], v[24:25], off offset:48
	global_load_dwordx4 v[60:63], v[24:25], off offset:32
	;; [unrolled: 1-line block ×3, first 2 shown]
	global_load_dwordx4 v[68:71], v[24:25], off
	s_waitcnt vmcnt(0)
	v_fmac_f64_e32 v[58:59], v[48:49], v[68:69]
	v_fmac_f64_e32 v[42:43], v[50:51], v[68:69]
	;; [unrolled: 1-line block ×8, first 2 shown]
	v_fma_f64 v[24:25], -v[50:51], v[70:71], v[58:59]
	v_fmac_f64_e32 v[42:43], v[48:49], v[70:71]
	v_fma_f64 v[56:57], -v[46:47], v[70:71], v[56:57]
	v_fmac_f64_e32 v[40:41], v[44:45], v[70:71]
	;; [unrolled: 2-line block ×4, first 2 shown]
	global_load_dwordx4 v[14:17], v[38:39], off offset:112
	global_load_dwordx4 v[20:23], v[38:39], off offset:96
	;; [unrolled: 1-line block ×4, first 2 shown]
	v_lshl_add_u64 v[70:71], v[38:39], 0, s[10:11]
	s_waitcnt vmcnt(3)
	v_fmac_f64_e32 v[52:53], v[14:15], v[64:65]
	s_waitcnt vmcnt(2)
	v_fmac_f64_e32 v[54:55], v[20:21], v[64:65]
	;; [unrolled: 2-line block ×4, first 2 shown]
	v_fmac_f64_e32 v[42:43], v[50:51], v[64:65]
	v_fmac_f64_e32 v[40:41], v[46:47], v[64:65]
	;; [unrolled: 1-line block ×4, first 2 shown]
	v_fma_f64 v[24:25], -v[50:51], v[66:67], v[24:25]
	v_fmac_f64_e32 v[42:43], v[48:49], v[66:67]
	v_fma_f64 v[56:57], -v[46:47], v[66:67], v[56:57]
	v_fmac_f64_e32 v[40:41], v[44:45], v[66:67]
	;; [unrolled: 2-line block ×4, first 2 shown]
	global_load_dwordx4 v[14:17], v[38:39], off offset:176
	global_load_dwordx4 v[20:23], v[38:39], off offset:160
	;; [unrolled: 1-line block ×4, first 2 shown]
	s_waitcnt vmcnt(3)
	v_fmac_f64_e32 v[52:53], v[14:15], v[60:61]
	s_waitcnt vmcnt(2)
	v_fmac_f64_e32 v[54:55], v[20:21], v[60:61]
	;; [unrolled: 2-line block ×4, first 2 shown]
	v_fmac_f64_e32 v[42:43], v[50:51], v[60:61]
	v_fmac_f64_e32 v[40:41], v[46:47], v[60:61]
	;; [unrolled: 1-line block ×4, first 2 shown]
	v_fma_f64 v[24:25], -v[50:51], v[62:63], v[24:25]
	v_fmac_f64_e32 v[42:43], v[48:49], v[62:63]
	v_fma_f64 v[56:57], -v[46:47], v[62:63], v[56:57]
	v_fmac_f64_e32 v[40:41], v[44:45], v[62:63]
	;; [unrolled: 2-line block ×4, first 2 shown]
	global_load_dwordx4 v[14:17], v[38:39], off offset:240
	global_load_dwordx4 v[20:23], v[38:39], off offset:224
	;; [unrolled: 1-line block ×4, first 2 shown]
	s_waitcnt vmcnt(3)
	v_fmac_f64_e32 v[52:53], v[14:15], v[10:11]
	s_waitcnt vmcnt(2)
	v_fmac_f64_e32 v[54:55], v[20:21], v[10:11]
	;; [unrolled: 2-line block ×4, first 2 shown]
	v_fmac_f64_e32 v[42:43], v[50:51], v[10:11]
	v_fmac_f64_e32 v[40:41], v[46:47], v[10:11]
	;; [unrolled: 1-line block ×4, first 2 shown]
	global_load_dwordx2 v[10:11], v[18:19], off offset:-256
	v_fmac_f64_e32 v[42:43], v[48:49], v[12:13]
	v_fma_f64 v[24:25], -v[50:51], v[12:13], v[24:25]
	v_fma_f64 v[64:65], -v[46:47], v[12:13], v[56:57]
	v_fmac_f64_e32 v[40:41], v[44:45], v[12:13]
	v_fma_f64 v[66:67], -v[22:23], v[12:13], v[54:55]
	v_fmac_f64_e32 v[32:33], v[20:21], v[12:13]
	;; [unrolled: 2-line block ×3, first 2 shown]
	s_waitcnt vmcnt(0)
	v_sub_co_u32_e32 v48, vcc, v10, v28
	s_nop 1
	v_subb_co_u32_e32 v49, vcc, v11, v29, vcc
	v_add_co_u32_e32 v50, vcc, s22, v38
	v_lshlrev_b64 v[48:49], 6, v[48:49]
	s_nop 0
	v_addc_co_u32_e32 v51, vcc, 0, v39, vcc
	v_lshl_add_u64 v[72:73], s[4:5], 0, v[48:49]
	global_load_dwordx4 v[10:13], v[50:51], off
	global_load_dwordx4 v[14:17], v[70:71], off offset:48
	global_load_dwordx4 v[20:23], v[70:71], off offset:32
	;; [unrolled: 1-line block ×3, first 2 shown]
	s_nop 0
	global_load_dwordx4 v[48:51], v[72:73], off offset:48
	global_load_dwordx4 v[52:55], v[72:73], off offset:32
	;; [unrolled: 1-line block ×3, first 2 shown]
	global_load_dwordx4 v[60:63], v[72:73], off
	v_lshl_add_u64 v[72:73], v[38:39], 0, s[12:13]
	s_waitcnt vmcnt(0)
	v_fmac_f64_e32 v[24:25], v[10:11], v[60:61]
	v_fmac_f64_e32 v[42:43], v[12:13], v[60:61]
	;; [unrolled: 1-line block ×8, first 2 shown]
	v_fma_f64 v[24:25], -v[12:13], v[62:63], v[24:25]
	v_fmac_f64_e32 v[42:43], v[10:11], v[62:63]
	v_fma_f64 v[64:65], -v[46:47], v[62:63], v[64:65]
	v_fmac_f64_e32 v[40:41], v[44:45], v[62:63]
	;; [unrolled: 2-line block ×4, first 2 shown]
	global_load_dwordx4 v[10:13], v[70:71], off offset:112
	global_load_dwordx4 v[14:17], v[70:71], off offset:96
	;; [unrolled: 1-line block ×4, first 2 shown]
	s_waitcnt vmcnt(3)
	v_fmac_f64_e32 v[68:69], v[10:11], v[56:57]
	s_waitcnt vmcnt(2)
	v_fmac_f64_e32 v[66:67], v[14:15], v[56:57]
	;; [unrolled: 2-line block ×4, first 2 shown]
	v_fmac_f64_e32 v[42:43], v[46:47], v[56:57]
	v_fmac_f64_e32 v[40:41], v[22:23], v[56:57]
	;; [unrolled: 1-line block ×4, first 2 shown]
	v_fma_f64 v[24:25], -v[46:47], v[58:59], v[24:25]
	v_fmac_f64_e32 v[42:43], v[44:45], v[58:59]
	v_fma_f64 v[60:61], -v[22:23], v[58:59], v[64:65]
	v_fmac_f64_e32 v[40:41], v[20:21], v[58:59]
	;; [unrolled: 2-line block ×4, first 2 shown]
	global_load_dwordx4 v[10:13], v[70:71], off offset:176
	global_load_dwordx4 v[14:17], v[70:71], off offset:160
	;; [unrolled: 1-line block ×4, first 2 shown]
	s_waitcnt vmcnt(3)
	v_fmac_f64_e32 v[64:65], v[10:11], v[52:53]
	s_waitcnt vmcnt(2)
	v_fmac_f64_e32 v[62:63], v[14:15], v[52:53]
	;; [unrolled: 2-line block ×4, first 2 shown]
	v_fmac_f64_e32 v[42:43], v[46:47], v[52:53]
	v_fmac_f64_e32 v[40:41], v[22:23], v[52:53]
	;; [unrolled: 1-line block ×4, first 2 shown]
	v_fma_f64 v[24:25], -v[46:47], v[54:55], v[24:25]
	v_fmac_f64_e32 v[42:43], v[44:45], v[54:55]
	v_fma_f64 v[56:57], -v[22:23], v[54:55], v[60:61]
	v_fmac_f64_e32 v[40:41], v[20:21], v[54:55]
	;; [unrolled: 2-line block ×4, first 2 shown]
	global_load_dwordx4 v[20:23], v[70:71], off offset:240
	global_load_dwordx4 v[44:47], v[70:71], off offset:224
	;; [unrolled: 1-line block ×4, first 2 shown]
	s_waitcnt vmcnt(3)
	v_fmac_f64_e32 v[30:31], v[22:23], v[48:49]
	v_fmac_f64_e32 v[60:61], v[20:21], v[48:49]
	;; [unrolled: 1-line block ×3, first 2 shown]
	global_load_dwordx2 v[20:21], v[18:19], off
	s_waitcnt vmcnt(2)
	v_fmac_f64_e32 v[56:57], v[14:15], v[48:49]
	v_fma_f64 v[12:13], -v[16:17], v[50:51], v[56:57]
	s_waitcnt vmcnt(1)
	v_fmac_f64_e32 v[24:25], v[52:53], v[48:49]
	v_fmac_f64_e32 v[42:43], v[54:55], v[48:49]
	;; [unrolled: 1-line block ×5, first 2 shown]
	v_fma_f64 v[10:11], -v[54:55], v[50:51], v[24:25]
	v_fmac_f64_e32 v[42:43], v[52:53], v[50:51]
	v_fmac_f64_e32 v[40:41], v[14:15], v[50:51]
	v_fma_f64 v[14:15], -v[46:47], v[50:51], v[58:59]
	v_fmac_f64_e32 v[32:33], v[44:45], v[50:51]
	v_fma_f64 v[16:17], -v[22:23], v[50:51], v[60:61]
	s_waitcnt vmcnt(0)
	v_sub_co_u32_e32 v20, vcc, v20, v28
	s_nop 1
	v_subb_co_u32_e32 v21, vcc, v21, v29, vcc
	v_add_co_u32_e32 v56, vcc, s23, v38
	v_lshlrev_b64 v[20:21], 6, v[20:21]
	s_nop 0
	v_addc_co_u32_e32 v57, vcc, 0, v39, vcc
	v_lshl_add_u64 v[20:21], s[4:5], 0, v[20:21]
	global_load_dwordx4 v[22:25], v[56:57], off
	global_load_dwordx4 v[44:47], v[72:73], off offset:48
	global_load_dwordx4 v[48:51], v[72:73], off offset:32
	;; [unrolled: 1-line block ×3, first 2 shown]
	s_nop 0
	global_load_dwordx4 v[56:59], v[20:21], off offset:48
	global_load_dwordx4 v[60:63], v[20:21], off offset:32
	;; [unrolled: 1-line block ×3, first 2 shown]
	global_load_dwordx4 v[68:71], v[20:21], off
	s_waitcnt vmcnt(0)
	v_fmac_f64_e32 v[10:11], v[22:23], v[68:69]
	v_fmac_f64_e32 v[42:43], v[24:25], v[68:69]
	;; [unrolled: 1-line block ×8, first 2 shown]
	v_fma_f64 v[74:75], -v[24:25], v[70:71], v[10:11]
	v_fmac_f64_e32 v[42:43], v[22:23], v[70:71]
	v_fma_f64 v[24:25], -v[54:55], v[70:71], v[12:13]
	v_fmac_f64_e32 v[40:41], v[52:53], v[70:71]
	;; [unrolled: 2-line block ×4, first 2 shown]
	global_load_dwordx4 v[10:13], v[72:73], off offset:112
	global_load_dwordx4 v[14:17], v[72:73], off offset:96
	;; [unrolled: 1-line block ×4, first 2 shown]
	s_waitcnt vmcnt(3)
	v_fmac_f64_e32 v[48:49], v[10:11], v[64:65]
	s_waitcnt vmcnt(2)
	v_fmac_f64_e32 v[52:53], v[14:15], v[64:65]
	;; [unrolled: 2-line block ×4, first 2 shown]
	v_fmac_f64_e32 v[42:43], v[46:47], v[64:65]
	v_fmac_f64_e32 v[40:41], v[22:23], v[64:65]
	;; [unrolled: 1-line block ×4, first 2 shown]
	v_fma_f64 v[50:51], -v[46:47], v[66:67], v[74:75]
	v_fmac_f64_e32 v[42:43], v[44:45], v[66:67]
	v_fma_f64 v[24:25], -v[22:23], v[66:67], v[24:25]
	v_fmac_f64_e32 v[40:41], v[20:21], v[66:67]
	;; [unrolled: 2-line block ×4, first 2 shown]
	global_load_dwordx4 v[10:13], v[72:73], off offset:176
	global_load_dwordx4 v[14:17], v[72:73], off offset:160
	;; [unrolled: 1-line block ×4, first 2 shown]
	s_waitcnt vmcnt(3)
	v_fmac_f64_e32 v[48:49], v[10:11], v[60:61]
	s_waitcnt vmcnt(2)
	v_fmac_f64_e32 v[52:53], v[14:15], v[60:61]
	;; [unrolled: 2-line block ×4, first 2 shown]
	v_fmac_f64_e32 v[42:43], v[46:47], v[60:61]
	v_fmac_f64_e32 v[32:33], v[16:17], v[60:61]
	;; [unrolled: 1-line block ×3, first 2 shown]
	v_fma_f64 v[54:55], -v[46:47], v[62:63], v[50:51]
	v_fmac_f64_e32 v[42:43], v[44:45], v[62:63]
	v_fmac_f64_e32 v[24:25], v[20:21], v[60:61]
	;; [unrolled: 1-line block ×3, first 2 shown]
	v_fma_f64 v[20:21], -v[16:17], v[62:63], v[52:53]
	v_fmac_f64_e32 v[32:33], v[14:15], v[62:63]
	v_fma_f64 v[52:53], -v[12:13], v[62:63], v[48:49]
	v_fmac_f64_e32 v[30:31], v[10:11], v[62:63]
	global_load_dwordx4 v[10:13], v[72:73], off offset:240
	global_load_dwordx4 v[14:17], v[72:73], off offset:224
	;; [unrolled: 1-line block ×4, first 2 shown]
	v_fma_f64 v[24:25], -v[22:23], v[62:63], v[24:25]
	s_waitcnt vmcnt(3)
	v_fmac_f64_e32 v[30:31], v[12:13], v[56:57]
	v_fmac_f64_e32 v[52:53], v[10:11], v[56:57]
	;; [unrolled: 1-line block ×3, first 2 shown]
	global_load_dwordx2 v[10:11], v[18:19], off offset:256
	s_waitcnt vmcnt(2)
	v_fmac_f64_e32 v[24:25], v[44:45], v[56:57]
	v_fma_f64 v[24:25], -v[46:47], v[58:59], v[24:25]
	v_fmac_f64_e32 v[40:41], v[46:47], v[56:57]
	v_fma_f64 v[46:47], -v[12:13], v[58:59], v[52:53]
	s_waitcnt vmcnt(1)
	v_fmac_f64_e32 v[54:55], v[48:49], v[56:57]
	v_fmac_f64_e32 v[42:43], v[50:51], v[56:57]
	;; [unrolled: 1-line block ×4, first 2 shown]
	v_fma_f64 v[22:23], -v[50:51], v[58:59], v[54:55]
	v_fmac_f64_e32 v[42:43], v[48:49], v[58:59]
	v_fmac_f64_e32 v[40:41], v[44:45], v[58:59]
	v_fma_f64 v[44:45], -v[16:17], v[58:59], v[20:21]
	v_fmac_f64_e32 v[32:33], v[14:15], v[58:59]
	v_lshl_add_u64 v[20:21], v[38:39], 0, s[14:15]
	v_lshl_add_u64 v[18:19], v[18:19], 0, s[18:19]
	s_waitcnt vmcnt(0)
	v_sub_co_u32_e32 v10, vcc, v10, v28
	s_nop 1
	v_subb_co_u32_e32 v11, vcc, v11, v29, vcc
	v_add_co_u32_e32 v12, vcc, s24, v38
	v_lshlrev_b64 v[10:11], 6, v[10:11]
	s_nop 0
	v_addc_co_u32_e32 v13, vcc, 0, v39, vcc
	v_lshl_add_u64 v[72:73], s[4:5], 0, v[10:11]
	global_load_dwordx4 v[48:51], v[12:13], off
	global_load_dwordx4 v[52:55], v[20:21], off offset:48
	global_load_dwordx4 v[56:59], v[20:21], off offset:32
	;; [unrolled: 1-line block ×3, first 2 shown]
	s_nop 0
	global_load_dwordx4 v[10:13], v[72:73], off offset:48
	global_load_dwordx4 v[14:17], v[72:73], off offset:32
	;; [unrolled: 1-line block ×3, first 2 shown]
	global_load_dwordx4 v[68:71], v[72:73], off
	v_cmp_ge_i64_e32 vcc, v[34:35], v[36:37]
	v_lshl_add_u64 v[38:39], v[38:39], 0, s[20:21]
	s_or_b64 s[8:9], vcc, s[8:9]
	s_waitcnt vmcnt(0)
	v_fmac_f64_e32 v[22:23], v[48:49], v[68:69]
	v_fmac_f64_e32 v[42:43], v[50:51], v[68:69]
	;; [unrolled: 1-line block ×8, first 2 shown]
	v_fma_f64 v[72:73], -v[50:51], v[70:71], v[22:23]
	v_fmac_f64_e32 v[42:43], v[48:49], v[70:71]
	v_fma_f64 v[74:75], -v[62:63], v[70:71], v[24:25]
	v_fmac_f64_e32 v[40:41], v[60:61], v[70:71]
	v_fma_f64 v[60:61], -v[58:59], v[70:71], v[44:45]
	v_fmac_f64_e32 v[32:33], v[56:57], v[70:71]
	v_fma_f64 v[56:57], -v[54:55], v[70:71], v[46:47]
	v_fmac_f64_e32 v[30:31], v[52:53], v[70:71]
	global_load_dwordx4 v[22:25], v[20:21], off offset:112
	global_load_dwordx4 v[44:47], v[20:21], off offset:96
	global_load_dwordx4 v[48:51], v[20:21], off offset:80
	global_load_dwordx4 v[52:55], v[20:21], off offset:64
	s_waitcnt vmcnt(3)
	v_fmac_f64_e32 v[56:57], v[22:23], v[64:65]
	s_waitcnt vmcnt(2)
	v_fmac_f64_e32 v[60:61], v[44:45], v[64:65]
	s_waitcnt vmcnt(1)
	v_fmac_f64_e32 v[74:75], v[48:49], v[64:65]
	s_waitcnt vmcnt(0)
	v_fmac_f64_e32 v[72:73], v[52:53], v[64:65]
	v_fmac_f64_e32 v[42:43], v[54:55], v[64:65]
	v_fmac_f64_e32 v[40:41], v[50:51], v[64:65]
	v_fmac_f64_e32 v[32:33], v[46:47], v[64:65]
	v_fmac_f64_e32 v[30:31], v[24:25], v[64:65]
	v_fma_f64 v[58:59], -v[54:55], v[66:67], v[72:73]
	v_fmac_f64_e32 v[42:43], v[52:53], v[66:67]
	v_fma_f64 v[62:63], -v[50:51], v[66:67], v[74:75]
	v_fmac_f64_e32 v[40:41], v[48:49], v[66:67]
	v_fma_f64 v[60:61], -v[46:47], v[66:67], v[60:61]
	v_fmac_f64_e32 v[32:33], v[44:45], v[66:67]
	v_fma_f64 v[56:57], -v[24:25], v[66:67], v[56:57]
	v_fmac_f64_e32 v[30:31], v[22:23], v[66:67]
	global_load_dwordx4 v[22:25], v[20:21], off offset:176
	global_load_dwordx4 v[44:47], v[20:21], off offset:160
	global_load_dwordx4 v[48:51], v[20:21], off offset:144
	global_load_dwordx4 v[52:55], v[20:21], off offset:128
	s_waitcnt vmcnt(3)
	v_fmac_f64_e32 v[56:57], v[22:23], v[14:15]
	s_waitcnt vmcnt(2)
	v_fmac_f64_e32 v[60:61], v[44:45], v[14:15]
	s_waitcnt vmcnt(1)
	v_fmac_f64_e32 v[62:63], v[48:49], v[14:15]
	s_waitcnt vmcnt(0)
	v_fmac_f64_e32 v[58:59], v[52:53], v[14:15]
	v_fmac_f64_e32 v[42:43], v[54:55], v[14:15]
	v_fmac_f64_e32 v[40:41], v[50:51], v[14:15]
	v_fmac_f64_e32 v[32:33], v[46:47], v[14:15]
	v_fmac_f64_e32 v[30:31], v[24:25], v[14:15]
	;; [unrolled: 24-line block ×3, first 2 shown]
	v_fma_f64 v[58:59], -v[50:51], v[12:13], v[58:59]
	v_fmac_f64_e32 v[42:43], v[48:49], v[12:13]
	v_fma_f64 v[56:57], -v[46:47], v[12:13], v[52:53]
	v_fmac_f64_e32 v[40:41], v[44:45], v[12:13]
	;; [unrolled: 2-line block ×4, first 2 shown]
	s_andn2_b64 exec, exec, s[8:9]
	s_cbranch_execnz .LBB58_33
; %bb.34:
	s_or_b64 exec, exec, s[8:9]
.LBB58_35:
	s_or_b64 exec, exec, s[2:3]
.LBB58_36:
	s_or_b64 exec, exec, s[6:7]
.LBB58_37:
	v_mov_b32_dpp v14, v42 row_shr:1 row_mask:0xf bank_mask:0xf
	v_mov_b32_dpp v15, v43 row_shr:1 row_mask:0xf bank_mask:0xf
	;; [unrolled: 1-line block ×4, first 2 shown]
	v_add_f64 v[14:15], v[42:43], v[14:15]
	v_mov_b32_dpp v18, v56 row_shr:1 row_mask:0xf bank_mask:0xf
	v_mov_b32_dpp v19, v57 row_shr:1 row_mask:0xf bank_mask:0xf
	;; [unrolled: 1-line block ×12, first 2 shown]
	v_add_f64 v[10:11], v[58:59], v[10:11]
	v_add_f64 v[18:19], v[56:57], v[18:19]
	v_add_f64 v[22:23], v[40:41], v[22:23]
	v_add_f64 v[28:29], v[54:55], v[28:29]
	v_add_f64 v[32:33], v[32:33], v[36:37]
	v_add_f64 v[38:39], v[52:53], v[38:39]
	v_add_f64 v[30:31], v[30:31], v[42:43]
	v_mov_b32_dpp v12, v10 row_shr:2 row_mask:0xf bank_mask:0xf
	v_mov_b32_dpp v13, v11 row_shr:2 row_mask:0xf bank_mask:0xf
	v_mov_b32_dpp v16, v14 row_shr:2 row_mask:0xf bank_mask:0xf
	v_mov_b32_dpp v17, v15 row_shr:2 row_mask:0xf bank_mask:0xf
	v_mov_b32_dpp v20, v18 row_shr:2 row_mask:0xf bank_mask:0xf
	v_mov_b32_dpp v21, v19 row_shr:2 row_mask:0xf bank_mask:0xf
	v_mov_b32_dpp v24, v22 row_shr:2 row_mask:0xf bank_mask:0xf
	v_mov_b32_dpp v25, v23 row_shr:2 row_mask:0xf bank_mask:0xf
	v_mov_b32_dpp v34, v28 row_shr:2 row_mask:0xf bank_mask:0xf
	v_mov_b32_dpp v35, v29 row_shr:2 row_mask:0xf bank_mask:0xf
	v_mov_b32_dpp v36, v32 row_shr:2 row_mask:0xf bank_mask:0xf
	v_mov_b32_dpp v37, v33 row_shr:2 row_mask:0xf bank_mask:0xf
	v_mov_b32_dpp v40, v38 row_shr:2 row_mask:0xf bank_mask:0xf
	v_mov_b32_dpp v41, v39 row_shr:2 row_mask:0xf bank_mask:0xf
	v_mov_b32_dpp v42, v30 row_shr:2 row_mask:0xf bank_mask:0xf
	v_mov_b32_dpp v43, v31 row_shr:2 row_mask:0xf bank_mask:0xf
	v_add_f64 v[10:11], v[10:11], v[12:13]
	v_add_f64 v[14:15], v[14:15], v[16:17]
	v_add_f64 v[18:19], v[18:19], v[20:21]
	v_add_f64 v[22:23], v[22:23], v[24:25]
	v_add_f64 v[28:29], v[28:29], v[34:35]
	v_add_f64 v[32:33], v[32:33], v[36:37]
	v_add_f64 v[38:39], v[38:39], v[40:41]
	v_add_f64 v[30:31], v[30:31], v[42:43]
	v_mov_b32_dpp v12, v10 row_shr:4 row_mask:0xf bank_mask:0xe
	v_mov_b32_dpp v13, v11 row_shr:4 row_mask:0xf bank_mask:0xe
	v_mov_b32_dpp v16, v14 row_shr:4 row_mask:0xf bank_mask:0xe
	v_mov_b32_dpp v17, v15 row_shr:4 row_mask:0xf bank_mask:0xe
	v_mov_b32_dpp v20, v18 row_shr:4 row_mask:0xf bank_mask:0xe
	v_mov_b32_dpp v21, v19 row_shr:4 row_mask:0xf bank_mask:0xe
	v_mov_b32_dpp v24, v22 row_shr:4 row_mask:0xf bank_mask:0xe
	v_mov_b32_dpp v25, v23 row_shr:4 row_mask:0xf bank_mask:0xe
	v_mov_b32_dpp v34, v28 row_shr:4 row_mask:0xf bank_mask:0xe
	v_mov_b32_dpp v35, v29 row_shr:4 row_mask:0xf bank_mask:0xe
	v_mov_b32_dpp v36, v32 row_shr:4 row_mask:0xf bank_mask:0xe
	v_mov_b32_dpp v37, v33 row_shr:4 row_mask:0xf bank_mask:0xe
	v_mov_b32_dpp v40, v38 row_shr:4 row_mask:0xf bank_mask:0xe
	v_mov_b32_dpp v41, v39 row_shr:4 row_mask:0xf bank_mask:0xe
	v_mov_b32_dpp v42, v30 row_shr:4 row_mask:0xf bank_mask:0xe
	v_mov_b32_dpp v43, v31 row_shr:4 row_mask:0xf bank_mask:0xe
	v_add_f64 v[10:11], v[10:11], v[12:13]
	;; [unrolled: 24-line block ×3, first 2 shown]
	v_add_f64 v[14:15], v[14:15], v[16:17]
	v_add_f64 v[18:19], v[18:19], v[20:21]
	;; [unrolled: 1-line block ×7, first 2 shown]
	v_mov_b32_dpp v12, v10 row_bcast:15 row_mask:0xa bank_mask:0xf
	v_mov_b32_dpp v13, v11 row_bcast:15 row_mask:0xa bank_mask:0xf
	;; [unrolled: 1-line block ×16, first 2 shown]
	v_cmp_eq_u32_e32 vcc, 31, v0
	s_and_b64 exec, exec, vcc
	s_cbranch_execz .LBB58_8
; %bb.38:
	s_load_dwordx2 s[2:3], s[0:1], 0x68
	v_add_f64 v[0:1], v[10:11], v[12:13]
	v_add_f64 v[10:11], v[14:15], v[16:17]
	;; [unrolled: 1-line block ×8, first 2 shown]
	v_cmp_eq_f64_e32 vcc, 0, v[2:3]
	v_cmp_eq_f64_e64 s[0:1], 0, v[4:5]
	v_mul_f64 v[22:23], v[10:11], -v[8:9]
	v_mul_f64 v[24:25], v[6:7], v[10:11]
	v_mul_f64 v[18:19], v[12:13], -v[8:9]
	v_mul_f64 v[20:21], v[6:7], v[12:13]
	;; [unrolled: 2-line block ×4, first 2 shown]
	s_and_b64 s[0:1], vcc, s[0:1]
	v_fmac_f64_e32 v[22:23], v[6:7], v[0:1]
	v_fmac_f64_e32 v[24:25], v[8:9], v[0:1]
	v_lshlrev_b64 v[0:1], 6, v[26:27]
	v_fmac_f64_e32 v[18:19], v[6:7], v[44:45]
	v_fmac_f64_e32 v[20:21], v[8:9], v[44:45]
	;; [unrolled: 1-line block ×6, first 2 shown]
	s_and_saveexec_b64 s[4:5], s[0:1]
	s_xor_b64 s[0:1], exec, s[4:5]
	s_cbranch_execz .LBB58_40
; %bb.39:
	s_waitcnt lgkmcnt(0)
	v_lshl_add_u64 v[0:1], s[2:3], 0, v[0:1]
	global_store_dwordx4 v[0:1], v[22:25], off
	global_store_dwordx4 v[0:1], v[18:21], off offset:16
	global_store_dwordx4 v[0:1], v[14:17], off offset:32
	;; [unrolled: 1-line block ×3, first 2 shown]
                                        ; implicit-def: $vgpr4_vgpr5
                                        ; implicit-def: $vgpr22_vgpr23
                                        ; implicit-def: $vgpr0_vgpr1
                                        ; implicit-def: $vgpr18_vgpr19
                                        ; implicit-def: $vgpr14_vgpr15
                                        ; implicit-def: $vgpr10_vgpr11
.LBB58_40:
	s_andn2_saveexec_b64 s[0:1], s[0:1]
	s_cbranch_execz .LBB58_8
; %bb.41:
	s_waitcnt lgkmcnt(0)
	v_lshl_add_u64 v[0:1], s[2:3], 0, v[0:1]
	global_load_dwordx4 v[6:9], v[0:1], off
	global_load_dwordx4 v[26:29], v[0:1], off offset:16
	global_load_dwordx4 v[30:33], v[0:1], off offset:32
	;; [unrolled: 1-line block ×3, first 2 shown]
	s_waitcnt vmcnt(3)
	v_fmac_f64_e32 v[22:23], v[2:3], v[6:7]
	v_fmac_f64_e32 v[24:25], v[4:5], v[6:7]
	s_waitcnt vmcnt(2)
	v_fmac_f64_e32 v[18:19], v[2:3], v[26:27]
	v_fmac_f64_e32 v[20:21], v[4:5], v[26:27]
	;; [unrolled: 3-line block ×4, first 2 shown]
	v_fma_f64 v[22:23], -v[4:5], v[8:9], v[22:23]
	v_fmac_f64_e32 v[24:25], v[2:3], v[8:9]
	v_fma_f64 v[18:19], -v[4:5], v[28:29], v[18:19]
	v_fmac_f64_e32 v[20:21], v[2:3], v[28:29]
	;; [unrolled: 2-line block ×4, first 2 shown]
	global_store_dwordx4 v[0:1], v[22:25], off
	global_store_dwordx4 v[0:1], v[18:21], off offset:16
	global_store_dwordx4 v[0:1], v[14:17], off offset:32
	;; [unrolled: 1-line block ×3, first 2 shown]
	s_endpgm
	.section	.rodata,"a",@progbits
	.p2align	6, 0x0
	.amdhsa_kernel _ZN9rocsparseL18bsrxmvn_4x4_kernelILj128ELj32E21rocsparse_complex_numIdEllS2_S2_S2_EEvT3_20rocsparse_direction_NS_24const_host_device_scalarIT1_EES3_PKS3_PKT2_SC_S9_PKT4_PKT5_S7_PT6_21rocsparse_index_base_b
		.amdhsa_group_segment_fixed_size 0
		.amdhsa_private_segment_fixed_size 0
		.amdhsa_kernarg_size 120
		.amdhsa_user_sgpr_count 2
		.amdhsa_user_sgpr_dispatch_ptr 0
		.amdhsa_user_sgpr_queue_ptr 0
		.amdhsa_user_sgpr_kernarg_segment_ptr 1
		.amdhsa_user_sgpr_dispatch_id 0
		.amdhsa_user_sgpr_kernarg_preload_length 0
		.amdhsa_user_sgpr_kernarg_preload_offset 0
		.amdhsa_user_sgpr_private_segment_size 0
		.amdhsa_uses_dynamic_stack 0
		.amdhsa_enable_private_segment 0
		.amdhsa_system_sgpr_workgroup_id_x 1
		.amdhsa_system_sgpr_workgroup_id_y 0
		.amdhsa_system_sgpr_workgroup_id_z 0
		.amdhsa_system_sgpr_workgroup_info 0
		.amdhsa_system_vgpr_workitem_id 0
		.amdhsa_next_free_vgpr 124
		.amdhsa_next_free_sgpr 29
		.amdhsa_accum_offset 124
		.amdhsa_reserve_vcc 1
		.amdhsa_float_round_mode_32 0
		.amdhsa_float_round_mode_16_64 0
		.amdhsa_float_denorm_mode_32 3
		.amdhsa_float_denorm_mode_16_64 3
		.amdhsa_dx10_clamp 1
		.amdhsa_ieee_mode 1
		.amdhsa_fp16_overflow 0
		.amdhsa_tg_split 0
		.amdhsa_exception_fp_ieee_invalid_op 0
		.amdhsa_exception_fp_denorm_src 0
		.amdhsa_exception_fp_ieee_div_zero 0
		.amdhsa_exception_fp_ieee_overflow 0
		.amdhsa_exception_fp_ieee_underflow 0
		.amdhsa_exception_fp_ieee_inexact 0
		.amdhsa_exception_int_div_zero 0
	.end_amdhsa_kernel
	.section	.text._ZN9rocsparseL18bsrxmvn_4x4_kernelILj128ELj32E21rocsparse_complex_numIdEllS2_S2_S2_EEvT3_20rocsparse_direction_NS_24const_host_device_scalarIT1_EES3_PKS3_PKT2_SC_S9_PKT4_PKT5_S7_PT6_21rocsparse_index_base_b,"axG",@progbits,_ZN9rocsparseL18bsrxmvn_4x4_kernelILj128ELj32E21rocsparse_complex_numIdEllS2_S2_S2_EEvT3_20rocsparse_direction_NS_24const_host_device_scalarIT1_EES3_PKS3_PKT2_SC_S9_PKT4_PKT5_S7_PT6_21rocsparse_index_base_b,comdat
.Lfunc_end58:
	.size	_ZN9rocsparseL18bsrxmvn_4x4_kernelILj128ELj32E21rocsparse_complex_numIdEllS2_S2_S2_EEvT3_20rocsparse_direction_NS_24const_host_device_scalarIT1_EES3_PKS3_PKT2_SC_S9_PKT4_PKT5_S7_PT6_21rocsparse_index_base_b, .Lfunc_end58-_ZN9rocsparseL18bsrxmvn_4x4_kernelILj128ELj32E21rocsparse_complex_numIdEllS2_S2_S2_EEvT3_20rocsparse_direction_NS_24const_host_device_scalarIT1_EES3_PKS3_PKT2_SC_S9_PKT4_PKT5_S7_PT6_21rocsparse_index_base_b
                                        ; -- End function
	.set _ZN9rocsparseL18bsrxmvn_4x4_kernelILj128ELj32E21rocsparse_complex_numIdEllS2_S2_S2_EEvT3_20rocsparse_direction_NS_24const_host_device_scalarIT1_EES3_PKS3_PKT2_SC_S9_PKT4_PKT5_S7_PT6_21rocsparse_index_base_b.num_vgpr, 124
	.set _ZN9rocsparseL18bsrxmvn_4x4_kernelILj128ELj32E21rocsparse_complex_numIdEllS2_S2_S2_EEvT3_20rocsparse_direction_NS_24const_host_device_scalarIT1_EES3_PKS3_PKT2_SC_S9_PKT4_PKT5_S7_PT6_21rocsparse_index_base_b.num_agpr, 0
	.set _ZN9rocsparseL18bsrxmvn_4x4_kernelILj128ELj32E21rocsparse_complex_numIdEllS2_S2_S2_EEvT3_20rocsparse_direction_NS_24const_host_device_scalarIT1_EES3_PKS3_PKT2_SC_S9_PKT4_PKT5_S7_PT6_21rocsparse_index_base_b.numbered_sgpr, 29
	.set _ZN9rocsparseL18bsrxmvn_4x4_kernelILj128ELj32E21rocsparse_complex_numIdEllS2_S2_S2_EEvT3_20rocsparse_direction_NS_24const_host_device_scalarIT1_EES3_PKS3_PKT2_SC_S9_PKT4_PKT5_S7_PT6_21rocsparse_index_base_b.num_named_barrier, 0
	.set _ZN9rocsparseL18bsrxmvn_4x4_kernelILj128ELj32E21rocsparse_complex_numIdEllS2_S2_S2_EEvT3_20rocsparse_direction_NS_24const_host_device_scalarIT1_EES3_PKS3_PKT2_SC_S9_PKT4_PKT5_S7_PT6_21rocsparse_index_base_b.private_seg_size, 0
	.set _ZN9rocsparseL18bsrxmvn_4x4_kernelILj128ELj32E21rocsparse_complex_numIdEllS2_S2_S2_EEvT3_20rocsparse_direction_NS_24const_host_device_scalarIT1_EES3_PKS3_PKT2_SC_S9_PKT4_PKT5_S7_PT6_21rocsparse_index_base_b.uses_vcc, 1
	.set _ZN9rocsparseL18bsrxmvn_4x4_kernelILj128ELj32E21rocsparse_complex_numIdEllS2_S2_S2_EEvT3_20rocsparse_direction_NS_24const_host_device_scalarIT1_EES3_PKS3_PKT2_SC_S9_PKT4_PKT5_S7_PT6_21rocsparse_index_base_b.uses_flat_scratch, 0
	.set _ZN9rocsparseL18bsrxmvn_4x4_kernelILj128ELj32E21rocsparse_complex_numIdEllS2_S2_S2_EEvT3_20rocsparse_direction_NS_24const_host_device_scalarIT1_EES3_PKS3_PKT2_SC_S9_PKT4_PKT5_S7_PT6_21rocsparse_index_base_b.has_dyn_sized_stack, 0
	.set _ZN9rocsparseL18bsrxmvn_4x4_kernelILj128ELj32E21rocsparse_complex_numIdEllS2_S2_S2_EEvT3_20rocsparse_direction_NS_24const_host_device_scalarIT1_EES3_PKS3_PKT2_SC_S9_PKT4_PKT5_S7_PT6_21rocsparse_index_base_b.has_recursion, 0
	.set _ZN9rocsparseL18bsrxmvn_4x4_kernelILj128ELj32E21rocsparse_complex_numIdEllS2_S2_S2_EEvT3_20rocsparse_direction_NS_24const_host_device_scalarIT1_EES3_PKS3_PKT2_SC_S9_PKT4_PKT5_S7_PT6_21rocsparse_index_base_b.has_indirect_call, 0
	.section	.AMDGPU.csdata,"",@progbits
; Kernel info:
; codeLenInByte = 8476
; TotalNumSgprs: 35
; NumVgprs: 124
; NumAgprs: 0
; TotalNumVgprs: 124
; ScratchSize: 0
; MemoryBound: 1
; FloatMode: 240
; IeeeMode: 1
; LDSByteSize: 0 bytes/workgroup (compile time only)
; SGPRBlocks: 4
; VGPRBlocks: 15
; NumSGPRsForWavesPerEU: 35
; NumVGPRsForWavesPerEU: 124
; AccumOffset: 124
; Occupancy: 4
; WaveLimiterHint : 1
; COMPUTE_PGM_RSRC2:SCRATCH_EN: 0
; COMPUTE_PGM_RSRC2:USER_SGPR: 2
; COMPUTE_PGM_RSRC2:TRAP_HANDLER: 0
; COMPUTE_PGM_RSRC2:TGID_X_EN: 1
; COMPUTE_PGM_RSRC2:TGID_Y_EN: 0
; COMPUTE_PGM_RSRC2:TGID_Z_EN: 0
; COMPUTE_PGM_RSRC2:TIDIG_COMP_CNT: 0
; COMPUTE_PGM_RSRC3_GFX90A:ACCUM_OFFSET: 30
; COMPUTE_PGM_RSRC3_GFX90A:TG_SPLIT: 0
	.section	.text._ZN9rocsparseL18bsrxmvn_4x4_kernelILj128ELj64E21rocsparse_complex_numIdEllS2_S2_S2_EEvT3_20rocsparse_direction_NS_24const_host_device_scalarIT1_EES3_PKS3_PKT2_SC_S9_PKT4_PKT5_S7_PT6_21rocsparse_index_base_b,"axG",@progbits,_ZN9rocsparseL18bsrxmvn_4x4_kernelILj128ELj64E21rocsparse_complex_numIdEllS2_S2_S2_EEvT3_20rocsparse_direction_NS_24const_host_device_scalarIT1_EES3_PKS3_PKT2_SC_S9_PKT4_PKT5_S7_PT6_21rocsparse_index_base_b,comdat
	.globl	_ZN9rocsparseL18bsrxmvn_4x4_kernelILj128ELj64E21rocsparse_complex_numIdEllS2_S2_S2_EEvT3_20rocsparse_direction_NS_24const_host_device_scalarIT1_EES3_PKS3_PKT2_SC_S9_PKT4_PKT5_S7_PT6_21rocsparse_index_base_b ; -- Begin function _ZN9rocsparseL18bsrxmvn_4x4_kernelILj128ELj64E21rocsparse_complex_numIdEllS2_S2_S2_EEvT3_20rocsparse_direction_NS_24const_host_device_scalarIT1_EES3_PKS3_PKT2_SC_S9_PKT4_PKT5_S7_PT6_21rocsparse_index_base_b
	.p2align	8
	.type	_ZN9rocsparseL18bsrxmvn_4x4_kernelILj128ELj64E21rocsparse_complex_numIdEllS2_S2_S2_EEvT3_20rocsparse_direction_NS_24const_host_device_scalarIT1_EES3_PKS3_PKT2_SC_S9_PKT4_PKT5_S7_PT6_21rocsparse_index_base_b,@function
_ZN9rocsparseL18bsrxmvn_4x4_kernelILj128ELj64E21rocsparse_complex_numIdEllS2_S2_S2_EEvT3_20rocsparse_direction_NS_24const_host_device_scalarIT1_EES3_PKS3_PKT2_SC_S9_PKT4_PKT5_S7_PT6_21rocsparse_index_base_b: ; @_ZN9rocsparseL18bsrxmvn_4x4_kernelILj128ELj64E21rocsparse_complex_numIdEllS2_S2_S2_EEvT3_20rocsparse_direction_NS_24const_host_device_scalarIT1_EES3_PKS3_PKT2_SC_S9_PKT4_PKT5_S7_PT6_21rocsparse_index_base_b
; %bb.0:
	s_load_dwordx2 s[4:5], s[0:1], 0x10
	s_load_dwordx2 s[6:7], s[0:1], 0x70
	s_add_u32 s3, s0, 16
	s_addc_u32 s10, s1, 0
	s_add_u32 s11, s0, 0x58
	s_load_dwordx2 s[8:9], s[0:1], 0x58
	s_addc_u32 s12, s1, 0
	s_waitcnt lgkmcnt(0)
	s_bitcmp1_b32 s7, 0
	s_cselect_b32 s5, s10, s5
	s_cselect_b32 s3, s3, s4
	v_mov_b32_e32 v2, s3
	v_mov_b32_e32 v3, s5
	flat_load_dwordx4 v[6:9], v[2:3]
	s_cselect_b32 s3, s12, s9
	s_cselect_b32 s4, s11, s8
	v_mov_b32_e32 v2, s4
	v_mov_b32_e32 v3, s3
	flat_load_dwordx4 v[2:5], v[2:3]
	s_waitcnt vmcnt(0) lgkmcnt(0)
	v_cmp_eq_f64_e32 vcc, 0, v[6:7]
	v_cmp_eq_f64_e64 s[4:5], 0, v[8:9]
	s_and_b64 s[10:11], vcc, s[4:5]
	s_mov_b64 s[4:5], -1
	s_and_saveexec_b64 s[8:9], s[10:11]
; %bb.1:
	v_cmp_neq_f64_e32 vcc, 1.0, v[2:3]
	v_cmp_neq_f64_e64 s[4:5], 0, v[4:5]
	s_or_b64 s[4:5], vcc, s[4:5]
	s_orn2_b64 s[4:5], s[4:5], exec
; %bb.2:
	s_or_b64 exec, exec, s[8:9]
	s_and_saveexec_b64 s[8:9], s[4:5]
	s_cbranch_execz .LBB59_8
; %bb.3:
	s_load_dwordx2 s[4:5], s[0:1], 0x28
	v_lshrrev_b32_e32 v1, 6, v0
	v_lshl_or_b32 v10, s2, 1, v1
	v_mov_b32_e32 v11, 0
	s_mov_b64 s[2:3], 0
	s_waitcnt lgkmcnt(0)
	s_cmp_lg_u64 s[4:5], 0
	s_cbranch_scc0 .LBB59_9
; %bb.4:
	s_load_dwordx2 s[8:9], s[0:1], 0x20
                                        ; implicit-def: $vgpr26_vgpr27
                                        ; implicit-def: $vgpr30_vgpr31
	s_waitcnt lgkmcnt(0)
	v_cmp_gt_i64_e32 vcc, s[8:9], v[10:11]
	s_and_saveexec_b64 s[8:9], vcc
	s_xor_b64 s[8:9], exec, s[8:9]
	s_cbranch_execz .LBB59_6
; %bb.5:
	v_lshl_add_u64 v[12:13], v[10:11], 3, s[4:5]
	global_load_dwordx2 v[12:13], v[12:13], off
	s_mov_b32 s7, 0
	s_mov_b64 s[2:3], exec
	v_mov_b64_e32 v[30:31], s[6:7]
	s_waitcnt vmcnt(0)
	v_subrev_co_u32_e32 v26, vcc, s6, v12
	s_nop 1
	v_subbrev_co_u32_e32 v27, vcc, 0, v13, vcc
.LBB59_6:
	s_or_b64 exec, exec, s[8:9]
.LBB59_7:
	s_and_b64 exec, exec, s[2:3]
	s_cbranch_execnz .LBB59_13
.LBB59_8:
	s_endpgm
.LBB59_9:
                                        ; implicit-def: $vgpr26_vgpr27
                                        ; implicit-def: $vgpr30_vgpr31
	s_cbranch_execz .LBB59_7
; %bb.10:
	s_load_dwordx2 s[4:5], s[0:1], 0x0
	s_waitcnt lgkmcnt(0)
	v_cmp_gt_i64_e32 vcc, s[4:5], v[10:11]
	s_and_saveexec_b64 s[4:5], vcc
; %bb.11:
	s_mov_b32 s7, 0
	s_or_b64 s[2:3], s[2:3], exec
; %bb.12:
	s_or_b64 exec, exec, s[4:5]
	v_mov_b64_e32 v[30:31], s[6:7]
	v_mov_b64_e32 v[26:27], v[10:11]
	s_and_b64 exec, exec, s[2:3]
	s_cbranch_execz .LBB59_8
.LBB59_13:
	s_load_dwordx8 s[4:11], s[0:1], 0x30
	v_lshlrev_b64 v[10:11], 3, v[26:27]
	v_and_b32_e32 v0, 63, v0
	v_mov_b32_e32 v1, 0
	s_waitcnt lgkmcnt(0)
	v_lshl_add_u64 v[12:13], s[4:5], 0, v[10:11]
	s_cmp_eq_u64 s[6:7], 0
	v_lshl_add_u64 v[10:11], s[6:7], 0, v[10:11]
	global_load_dwordx2 v[44:45], v[12:13], off
	v_lshl_add_u64 v[12:13], v[12:13], 0, 8
	s_cselect_b64 vcc, -1, 0
	v_cndmask_b32_e32 v11, v11, v13, vcc
	v_cndmask_b32_e32 v10, v10, v12, vcc
	global_load_dwordx2 v[10:11], v[10:11], off
	s_load_dword s2, s[0:1], 0x8
	s_load_dwordx2 s[4:5], s[0:1], 0x50
	s_waitcnt lgkmcnt(0)
	s_cmp_eq_u32 s2, 1
	s_waitcnt vmcnt(1)
	v_sub_co_u32_e32 v12, vcc, v44, v30
	s_nop 1
	v_subb_co_u32_e32 v13, vcc, v45, v31, vcc
	v_lshl_add_u64 v[36:37], v[12:13], 0, v[0:1]
	s_waitcnt vmcnt(0)
	v_sub_co_u32_e32 v38, vcc, v10, v30
	s_nop 1
	v_subb_co_u32_e32 v39, vcc, v11, v31, vcc
	v_lshlrev_b64 v[10:11], 8, v[36:37]
	v_lshl_add_u64 v[40:41], s[10:11], 0, v[10:11]
	v_cmp_lt_i64_e64 s[2:3], v[36:37], v[38:39]
	s_cbranch_scc1 .LBB59_25
; %bb.14:
	v_mov_b64_e32 v[42:43], 0
	v_mov_b64_e32 v[58:59], 0
	;; [unrolled: 1-line block ×8, first 2 shown]
	s_and_saveexec_b64 s[6:7], s[2:3]
	s_cbranch_execz .LBB59_24
; %bb.15:
	v_or_b32_e32 v1, 64, v0
	v_sub_co_u32_e32 v10, vcc, v1, v30
	v_not_b32_e32 v13, v45
	s_nop 0
	v_subb_co_u32_e32 v11, vcc, 0, v31, vcc
	v_lshl_add_u64 v[10:11], v[10:11], 0, v[44:45]
	v_cmp_gt_i64_e32 vcc, v[10:11], v[38:39]
	v_not_b32_e32 v12, v44
	s_mov_b64 s[10:11], 0xc0
	v_cndmask_b32_e32 v11, v39, v11, vcc
	v_cndmask_b32_e32 v10, v38, v10, vcc
	v_sub_co_u32_e32 v14, vcc, v30, v0
	v_mov_b64_e32 v[34:35], 0
	s_nop 0
	v_subbrev_co_u32_e32 v15, vcc, 0, v31, vcc
	v_lshl_add_u64 v[12:13], v[14:15], 0, v[12:13]
	v_lshl_add_u64 v[10:11], v[12:13], 0, v[10:11]
	v_and_b32_e32 v12, 0xc0, v10
	v_mov_b32_e32 v13, 0
	v_cmp_ne_u64_e32 vcc, s[10:11], v[12:13]
	v_mov_b64_e32 v[56:57], 0
	v_mov_b64_e32 v[32:33], 0
	;; [unrolled: 1-line block ×9, first 2 shown]
	s_and_saveexec_b64 s[10:11], vcc
	s_cbranch_execz .LBB59_19
; %bb.16:
	v_lshrrev_b32_e32 v1, 6, v10
	v_add_u32_e32 v1, 1, v1
	v_and_b32_e32 v1, 3, v1
	v_sub_co_u32_e32 v14, vcc, 0, v1
	v_lshl_add_u64 v[12:13], v[36:37], 3, s[8:9]
	s_nop 0
	v_subb_co_u32_e64 v15, s[14:15], 0, 0, vcc
	s_mov_b64 s[12:13], 0
	v_mov_b64_e32 v[42:43], 0
	s_mov_b64 s[14:15], 0x4000
	s_mov_b64 s[16:17], 0x200
	v_mov_b64_e32 v[48:49], v[36:37]
	v_mov_b64_e32 v[46:47], v[40:41]
	;; [unrolled: 1-line block ×9, first 2 shown]
.LBB59_17:                              ; =>This Inner Loop Header: Depth=1
	global_load_dwordx2 v[24:25], v[12:13], off
	global_load_dwordx4 v[16:19], v[46:47], off offset:16
	global_load_dwordx4 v[20:23], v[46:47], off
	global_load_dwordx4 v[60:63], v[46:47], off offset:80
	global_load_dwordx4 v[64:67], v[46:47], off offset:64
	;; [unrolled: 1-line block ×5, first 2 shown]
	v_lshl_add_u64 v[14:15], v[14:15], 0, 1
	v_lshl_add_u64 v[48:49], v[48:49], 0, 64
	;; [unrolled: 1-line block ×3, first 2 shown]
	s_waitcnt vmcnt(7)
	v_sub_co_u32_e32 v24, vcc, v24, v30
	s_nop 1
	v_subb_co_u32_e32 v25, vcc, v25, v31, vcc
	v_lshlrev_b64 v[24:25], 6, v[24:25]
	v_lshl_add_u64 v[24:25], s[4:5], 0, v[24:25]
	global_load_dwordx4 v[80:83], v[24:25], off
	v_cmp_eq_u64_e32 vcc, 0, v[14:15]
	s_or_b64 s[12:13], vcc, s[12:13]
	s_waitcnt vmcnt(0)
	v_fmac_f64_e32 v[58:59], v[20:21], v[80:81]
	v_fmac_f64_e32 v[42:43], v[22:23], v[80:81]
	;; [unrolled: 1-line block ×7, first 2 shown]
	v_fma_f64 v[84:85], -v[22:23], v[82:83], v[58:59]
	v_fmac_f64_e32 v[42:43], v[20:21], v[82:83]
	global_load_dwordx4 v[20:23], v[46:47], off offset:208
	v_fma_f64 v[86:87], -v[66:67], v[82:83], v[56:57]
	v_fmac_f64_e32 v[34:35], v[64:65], v[82:83]
	global_load_dwordx4 v[56:59], v[46:47], off offset:48
	global_load_dwordx4 v[64:67], v[46:47], off offset:32
	v_fma_f64 v[54:55], -v[74:75], v[82:83], v[54:55]
	v_fmac_f64_e32 v[32:33], v[72:73], v[82:83]
	v_fmac_f64_e32 v[28:29], v[78:79], v[80:81]
	v_fma_f64 v[78:79], -v[78:79], v[82:83], v[52:53]
	global_load_dwordx4 v[50:53], v[46:47], off offset:112
	global_load_dwordx4 v[72:75], v[24:25], off offset:16
	v_fmac_f64_e32 v[28:29], v[76:77], v[82:83]
	s_waitcnt vmcnt(0)
	v_fmac_f64_e32 v[84:85], v[16:17], v[72:73]
	v_fmac_f64_e32 v[42:43], v[18:19], v[72:73]
	;; [unrolled: 1-line block ×8, first 2 shown]
	v_fma_f64 v[76:77], -v[18:19], v[74:75], v[84:85]
	v_fmac_f64_e32 v[42:43], v[16:17], v[74:75]
	global_load_dwordx4 v[16:19], v[46:47], off offset:96
	v_fma_f64 v[80:81], -v[62:63], v[74:75], v[86:87]
	v_fmac_f64_e32 v[34:35], v[60:61], v[74:75]
	global_load_dwordx4 v[60:63], v[46:47], off offset:176
	;; [unrolled: 3-line block ×4, first 2 shown]
	global_load_dwordx4 v[72:75], v[24:25], off offset:32
	s_waitcnt vmcnt(0)
	v_fmac_f64_e32 v[76:77], v[64:65], v[72:73]
	v_fmac_f64_e32 v[42:43], v[66:67], v[72:73]
	;; [unrolled: 1-line block ×4, first 2 shown]
	v_fma_f64 v[76:77], -v[66:67], v[74:75], v[76:77]
	v_fmac_f64_e32 v[42:43], v[64:65], v[74:75]
	global_load_dwordx4 v[64:67], v[46:47], off offset:240
	v_fma_f64 v[80:81], -v[18:19], v[74:75], v[80:81]
	v_fmac_f64_e32 v[34:35], v[16:17], v[74:75]
	global_load_dwordx4 v[16:19], v[24:25], off offset:48
	v_fmac_f64_e32 v[54:55], v[68:69], v[72:73]
	v_fmac_f64_e32 v[32:33], v[70:71], v[72:73]
	v_fmac_f64_e32 v[78:79], v[20:21], v[72:73]
	v_fmac_f64_e32 v[28:29], v[22:23], v[72:73]
	v_fma_f64 v[24:25], -v[70:71], v[74:75], v[54:55]
	v_fmac_f64_e32 v[32:33], v[68:69], v[74:75]
	v_fma_f64 v[22:23], -v[22:23], v[74:75], v[78:79]
	v_fmac_f64_e32 v[28:29], v[20:21], v[74:75]
	v_lshl_add_u64 v[46:47], v[46:47], 0, s[14:15]
	s_waitcnt vmcnt(0)
	v_fmac_f64_e32 v[76:77], v[56:57], v[16:17]
	v_fmac_f64_e32 v[42:43], v[58:59], v[16:17]
	;; [unrolled: 1-line block ×8, first 2 shown]
	v_fma_f64 v[58:59], -v[58:59], v[18:19], v[76:77]
	v_fmac_f64_e32 v[42:43], v[56:57], v[18:19]
	v_fma_f64 v[56:57], -v[52:53], v[18:19], v[80:81]
	v_fmac_f64_e32 v[34:35], v[50:51], v[18:19]
	;; [unrolled: 2-line block ×4, first 2 shown]
	s_andn2_b64 exec, exec, s[12:13]
	s_cbranch_execnz .LBB59_17
; %bb.18:
	s_or_b64 exec, exec, s[12:13]
.LBB59_19:
	s_or_b64 exec, exec, s[10:11]
	s_mov_b64 s[10:11], 0xbf
	v_cmp_lt_u64_e32 vcc, s[10:11], v[10:11]
	s_and_saveexec_b64 s[10:11], vcc
	s_cbranch_execz .LBB59_23
; %bb.20:
	v_lshl_add_u64 v[10:11], v[48:49], 3, s[8:9]
	s_mov_b64 s[12:13], 0x400
	v_lshl_add_u64 v[50:51], v[10:11], 0, s[12:13]
	s_mov_b64 s[12:13], 0
	s_mov_b64 s[14:15], 0x4000
	s_movk_i32 s26, 0x4000
	s_mov_b64 s[16:17], 0x8000
	s_mov_b32 s27, 0x8000
	s_mov_b64 s[18:19], 0xc000
	s_mov_b32 s28, 0xc000
	s_mov_b64 s[20:21], 0x100
	s_mov_b64 s[22:23], 0x800
	;; [unrolled: 1-line block ×3, first 2 shown]
.LBB59_21:                              ; =>This Inner Loop Header: Depth=1
	global_load_dwordx2 v[10:11], v[50:51], off offset:-1024
	global_load_dwordx4 v[60:63], v[46:47], off offset:48
	global_load_dwordx4 v[64:67], v[46:47], off offset:32
	;; [unrolled: 1-line block ×3, first 2 shown]
	global_load_dwordx4 v[72:75], v[46:47], off
	v_lshl_add_u64 v[80:81], v[46:47], 0, s[14:15]
	v_lshl_add_u64 v[48:49], v[48:49], 0, s[20:21]
	s_waitcnt vmcnt(4)
	v_sub_co_u32_e32 v10, vcc, v10, v30
	s_nop 1
	v_subb_co_u32_e32 v11, vcc, v11, v31, vcc
	v_lshlrev_b64 v[10:11], 6, v[10:11]
	v_lshl_add_u64 v[76:77], s[4:5], 0, v[10:11]
	global_load_dwordx4 v[10:13], v[76:77], off offset:48
	global_load_dwordx4 v[14:17], v[76:77], off offset:32
	;; [unrolled: 1-line block ×3, first 2 shown]
	global_load_dwordx4 v[22:25], v[76:77], off
	s_waitcnt vmcnt(0)
	v_fmac_f64_e32 v[58:59], v[72:73], v[22:23]
	v_fmac_f64_e32 v[42:43], v[74:75], v[22:23]
	v_fma_f64 v[58:59], -v[74:75], v[24:25], v[58:59]
	v_fmac_f64_e32 v[42:43], v[72:73], v[24:25]
	v_fmac_f64_e32 v[58:59], v[68:69], v[18:19]
	v_fmac_f64_e32 v[42:43], v[70:71], v[18:19]
	v_fma_f64 v[58:59], -v[70:71], v[20:21], v[58:59]
	v_fmac_f64_e32 v[42:43], v[68:69], v[20:21]
	v_fmac_f64_e32 v[58:59], v[64:65], v[14:15]
	v_fmac_f64_e32 v[42:43], v[66:67], v[14:15]
	v_fma_f64 v[58:59], -v[66:67], v[16:17], v[58:59]
	v_fmac_f64_e32 v[42:43], v[64:65], v[16:17]
	v_fmac_f64_e32 v[58:59], v[60:61], v[10:11]
	v_fmac_f64_e32 v[42:43], v[62:63], v[10:11]
	v_fma_f64 v[58:59], -v[62:63], v[12:13], v[58:59]
	v_fmac_f64_e32 v[42:43], v[60:61], v[12:13]
	global_load_dwordx4 v[60:63], v[46:47], off offset:112
	global_load_dwordx4 v[64:67], v[46:47], off offset:96
	global_load_dwordx4 v[68:71], v[46:47], off offset:80
	global_load_dwordx4 v[72:75], v[46:47], off offset:64
	s_waitcnt vmcnt(0)
	v_fmac_f64_e32 v[56:57], v[72:73], v[22:23]
	v_fmac_f64_e32 v[34:35], v[74:75], v[22:23]
	v_fma_f64 v[56:57], -v[74:75], v[24:25], v[56:57]
	v_fmac_f64_e32 v[34:35], v[72:73], v[24:25]
	v_fmac_f64_e32 v[56:57], v[68:69], v[18:19]
	v_fmac_f64_e32 v[34:35], v[70:71], v[18:19]
	v_fma_f64 v[56:57], -v[70:71], v[20:21], v[56:57]
	v_fmac_f64_e32 v[34:35], v[68:69], v[20:21]
	v_fmac_f64_e32 v[56:57], v[64:65], v[14:15]
	v_fmac_f64_e32 v[34:35], v[66:67], v[14:15]
	v_fma_f64 v[56:57], -v[66:67], v[16:17], v[56:57]
	v_fmac_f64_e32 v[34:35], v[64:65], v[16:17]
	v_fmac_f64_e32 v[56:57], v[60:61], v[10:11]
	v_fmac_f64_e32 v[34:35], v[62:63], v[10:11]
	v_fma_f64 v[56:57], -v[62:63], v[12:13], v[56:57]
	v_fmac_f64_e32 v[34:35], v[60:61], v[12:13]
	global_load_dwordx4 v[60:63], v[46:47], off offset:176
	global_load_dwordx4 v[64:67], v[46:47], off offset:160
	global_load_dwordx4 v[68:71], v[46:47], off offset:144
	global_load_dwordx4 v[72:75], v[46:47], off offset:128
	;; [unrolled: 21-line block ×3, first 2 shown]
	s_waitcnt vmcnt(0)
	v_fmac_f64_e32 v[52:53], v[72:73], v[22:23]
	v_fmac_f64_e32 v[28:29], v[74:75], v[22:23]
	v_fma_f64 v[52:53], -v[74:75], v[24:25], v[52:53]
	v_fmac_f64_e32 v[28:29], v[72:73], v[24:25]
	v_fmac_f64_e32 v[52:53], v[68:69], v[18:19]
	v_fmac_f64_e32 v[28:29], v[70:71], v[18:19]
	v_fma_f64 v[22:23], -v[70:71], v[20:21], v[52:53]
	v_fmac_f64_e32 v[28:29], v[68:69], v[20:21]
	v_fmac_f64_e32 v[22:23], v[64:65], v[14:15]
	v_fmac_f64_e32 v[28:29], v[66:67], v[14:15]
	v_fma_f64 v[18:19], -v[66:67], v[16:17], v[22:23]
	v_fmac_f64_e32 v[28:29], v[64:65], v[16:17]
	v_fmac_f64_e32 v[18:19], v[60:61], v[10:11]
	v_fmac_f64_e32 v[28:29], v[62:63], v[10:11]
	global_load_dwordx2 v[10:11], v[50:51], off offset:-512
	v_fma_f64 v[78:79], -v[62:63], v[12:13], v[18:19]
	v_fmac_f64_e32 v[28:29], v[60:61], v[12:13]
	s_waitcnt vmcnt(0)
	v_sub_co_u32_e32 v52, vcc, v10, v30
	s_nop 1
	v_subb_co_u32_e32 v53, vcc, v11, v31, vcc
	v_add_co_u32_e32 v54, vcc, s26, v46
	v_lshlrev_b64 v[52:53], 6, v[52:53]
	s_nop 0
	v_addc_co_u32_e32 v55, vcc, 0, v47, vcc
	v_lshl_add_u64 v[72:73], s[4:5], 0, v[52:53]
	global_load_dwordx4 v[10:13], v[54:55], off
	global_load_dwordx4 v[14:17], v[80:81], off offset:48
	global_load_dwordx4 v[18:21], v[80:81], off offset:32
	;; [unrolled: 1-line block ×3, first 2 shown]
	s_nop 0
	global_load_dwordx4 v[52:55], v[72:73], off offset:48
	global_load_dwordx4 v[60:63], v[72:73], off offset:32
	;; [unrolled: 1-line block ×3, first 2 shown]
	global_load_dwordx4 v[68:71], v[72:73], off
	s_waitcnt vmcnt(0)
	v_fmac_f64_e32 v[58:59], v[10:11], v[68:69]
	v_fmac_f64_e32 v[42:43], v[12:13], v[68:69]
	v_fma_f64 v[58:59], -v[12:13], v[70:71], v[58:59]
	v_fmac_f64_e32 v[42:43], v[10:11], v[70:71]
	v_fmac_f64_e32 v[58:59], v[22:23], v[64:65]
	v_fmac_f64_e32 v[42:43], v[24:25], v[64:65]
	v_fma_f64 v[10:11], -v[24:25], v[66:67], v[58:59]
	v_fmac_f64_e32 v[42:43], v[22:23], v[66:67]
	;; [unrolled: 4-line block ×4, first 2 shown]
	global_load_dwordx4 v[14:17], v[80:81], off offset:112
	global_load_dwordx4 v[18:21], v[80:81], off offset:96
	;; [unrolled: 1-line block ×4, first 2 shown]
	s_waitcnt vmcnt(0)
	v_fmac_f64_e32 v[56:57], v[72:73], v[68:69]
	v_fma_f64 v[12:13], -v[74:75], v[70:71], v[56:57]
	v_fmac_f64_e32 v[34:35], v[74:75], v[68:69]
	v_fmac_f64_e32 v[34:35], v[72:73], v[70:71]
	v_fmac_f64_e32 v[12:13], v[22:23], v[64:65]
	v_fma_f64 v[12:13], -v[24:25], v[66:67], v[12:13]
	v_fmac_f64_e32 v[34:35], v[24:25], v[64:65]
	v_fmac_f64_e32 v[34:35], v[22:23], v[66:67]
	;; [unrolled: 4-line block ×3, first 2 shown]
	v_fmac_f64_e32 v[12:13], v[14:15], v[52:53]
	v_fma_f64 v[12:13], -v[16:17], v[54:55], v[12:13]
	v_fmac_f64_e32 v[34:35], v[16:17], v[52:53]
	global_load_dwordx4 v[16:19], v[80:81], off offset:176
	global_load_dwordx4 v[20:23], v[80:81], off offset:160
	;; [unrolled: 1-line block ×4, first 2 shown]
	v_fmac_f64_e32 v[34:35], v[14:15], v[54:55]
	s_waitcnt vmcnt(0)
	v_fmac_f64_e32 v[76:77], v[72:73], v[68:69]
	v_fma_f64 v[14:15], -v[74:75], v[70:71], v[76:77]
	v_fmac_f64_e32 v[32:33], v[74:75], v[68:69]
	v_fmac_f64_e32 v[32:33], v[72:73], v[70:71]
	v_fmac_f64_e32 v[14:15], v[56:57], v[64:65]
	v_fma_f64 v[14:15], -v[58:59], v[66:67], v[14:15]
	v_fmac_f64_e32 v[32:33], v[58:59], v[64:65]
	v_fmac_f64_e32 v[32:33], v[56:57], v[66:67]
	;; [unrolled: 4-line block ×3, first 2 shown]
	v_fmac_f64_e32 v[14:15], v[16:17], v[52:53]
	v_fma_f64 v[14:15], -v[18:19], v[54:55], v[14:15]
	v_fmac_f64_e32 v[32:33], v[18:19], v[52:53]
	global_load_dwordx4 v[18:21], v[80:81], off offset:240
	global_load_dwordx4 v[22:25], v[80:81], off offset:224
	;; [unrolled: 1-line block ×4, first 2 shown]
	v_fmac_f64_e32 v[32:33], v[16:17], v[54:55]
	v_lshl_add_u64 v[80:81], v[46:47], 0, s[16:17]
	s_waitcnt vmcnt(0)
	v_fmac_f64_e32 v[28:29], v[74:75], v[68:69]
	v_fmac_f64_e32 v[78:79], v[72:73], v[68:69]
	v_fmac_f64_e32 v[28:29], v[72:73], v[70:71]
	v_fma_f64 v[16:17], -v[74:75], v[70:71], v[78:79]
	v_fmac_f64_e32 v[28:29], v[58:59], v[64:65]
	v_fmac_f64_e32 v[16:17], v[56:57], v[64:65]
	v_fmac_f64_e32 v[28:29], v[56:57], v[66:67]
	v_fma_f64 v[16:17], -v[58:59], v[66:67], v[16:17]
	;; [unrolled: 4-line block ×3, first 2 shown]
	v_fmac_f64_e32 v[28:29], v[20:21], v[52:53]
	v_fmac_f64_e32 v[16:17], v[18:19], v[52:53]
	;; [unrolled: 1-line block ×3, first 2 shown]
	global_load_dwordx2 v[18:19], v[50:51], off
	v_fma_f64 v[16:17], -v[20:21], v[54:55], v[16:17]
	s_waitcnt vmcnt(0)
	v_sub_co_u32_e32 v18, vcc, v18, v30
	s_nop 1
	v_subb_co_u32_e32 v19, vcc, v19, v31, vcc
	v_add_co_u32_e32 v24, vcc, s27, v46
	v_lshlrev_b64 v[18:19], 6, v[18:19]
	s_nop 0
	v_addc_co_u32_e32 v25, vcc, 0, v47, vcc
	v_lshl_add_u64 v[18:19], s[4:5], 0, v[18:19]
	global_load_dwordx4 v[20:23], v[24:25], off
	global_load_dwordx4 v[52:55], v[80:81], off offset:48
	global_load_dwordx4 v[56:59], v[80:81], off offset:32
	;; [unrolled: 1-line block ×6, first 2 shown]
	global_load_dwordx4 v[76:79], v[18:19], off
	s_waitcnt vmcnt(0)
	v_fmac_f64_e32 v[10:11], v[20:21], v[76:77]
	v_fmac_f64_e32 v[42:43], v[22:23], v[76:77]
	v_fma_f64 v[10:11], -v[22:23], v[78:79], v[10:11]
	v_fmac_f64_e32 v[42:43], v[20:21], v[78:79]
	v_fmac_f64_e32 v[10:11], v[60:61], v[72:73]
	v_fmac_f64_e32 v[42:43], v[62:63], v[72:73]
	v_fma_f64 v[10:11], -v[62:63], v[74:75], v[10:11]
	v_fmac_f64_e32 v[42:43], v[60:61], v[74:75]
	v_fmac_f64_e32 v[10:11], v[56:57], v[68:69]
	v_fmac_f64_e32 v[42:43], v[58:59], v[68:69]
	v_fma_f64 v[10:11], -v[58:59], v[70:71], v[10:11]
	v_fmac_f64_e32 v[42:43], v[56:57], v[70:71]
	v_fmac_f64_e32 v[10:11], v[52:53], v[64:65]
	v_fmac_f64_e32 v[42:43], v[54:55], v[64:65]
	v_fma_f64 v[58:59], -v[54:55], v[66:67], v[10:11]
	v_fmac_f64_e32 v[42:43], v[52:53], v[66:67]
	global_load_dwordx4 v[18:21], v[80:81], off offset:112
	global_load_dwordx4 v[22:25], v[80:81], off offset:96
	global_load_dwordx4 v[52:55], v[80:81], off offset:80
	global_load_dwordx4 v[60:63], v[80:81], off offset:64
	s_waitcnt vmcnt(0)
	v_fmac_f64_e32 v[12:13], v[60:61], v[76:77]
	v_fmac_f64_e32 v[34:35], v[62:63], v[76:77]
	v_fma_f64 v[10:11], -v[62:63], v[78:79], v[12:13]
	v_fmac_f64_e32 v[34:35], v[60:61], v[78:79]
	v_fmac_f64_e32 v[10:11], v[52:53], v[72:73]
	v_fmac_f64_e32 v[34:35], v[54:55], v[72:73]
	v_fma_f64 v[10:11], -v[54:55], v[74:75], v[10:11]
	v_fmac_f64_e32 v[34:35], v[52:53], v[74:75]
	v_fmac_f64_e32 v[10:11], v[22:23], v[68:69]
	v_fmac_f64_e32 v[34:35], v[24:25], v[68:69]
	v_fma_f64 v[10:11], -v[24:25], v[70:71], v[10:11]
	v_fmac_f64_e32 v[34:35], v[22:23], v[70:71]
	v_fmac_f64_e32 v[10:11], v[18:19], v[64:65]
	v_fmac_f64_e32 v[34:35], v[20:21], v[64:65]
	v_fma_f64 v[56:57], -v[20:21], v[66:67], v[10:11]
	v_fmac_f64_e32 v[34:35], v[18:19], v[66:67]
	global_load_dwordx4 v[10:13], v[80:81], off offset:176
	global_load_dwordx4 v[18:21], v[80:81], off offset:160
	global_load_dwordx4 v[22:25], v[80:81], off offset:144
	global_load_dwordx4 v[52:55], v[80:81], off offset:128
	;; [unrolled: 21-line block ×3, first 2 shown]
	s_waitcnt vmcnt(0)
	v_fmac_f64_e32 v[28:29], v[62:63], v[76:77]
	v_fmac_f64_e32 v[16:17], v[60:61], v[76:77]
	v_fmac_f64_e32 v[28:29], v[60:61], v[78:79]
	v_fma_f64 v[14:15], -v[62:63], v[78:79], v[16:17]
	v_fmac_f64_e32 v[28:29], v[24:25], v[72:73]
	v_fmac_f64_e32 v[14:15], v[22:23], v[72:73]
	v_fmac_f64_e32 v[28:29], v[22:23], v[74:75]
	v_fma_f64 v[14:15], -v[24:25], v[74:75], v[14:15]
	;; [unrolled: 4-line block ×3, first 2 shown]
	v_fmac_f64_e32 v[28:29], v[12:13], v[64:65]
	v_fmac_f64_e32 v[14:15], v[10:11], v[64:65]
	;; [unrolled: 1-line block ×3, first 2 shown]
	global_load_dwordx2 v[10:11], v[50:51], off offset:512
	v_fma_f64 v[52:53], -v[12:13], v[66:67], v[14:15]
	v_lshl_add_u64 v[60:61], v[46:47], 0, s[18:19]
	v_lshl_add_u64 v[50:51], v[50:51], 0, s[22:23]
	s_waitcnt vmcnt(0)
	v_sub_co_u32_e32 v10, vcc, v10, v30
	s_nop 1
	v_subb_co_u32_e32 v11, vcc, v11, v31, vcc
	v_add_co_u32_e32 v12, vcc, s28, v46
	v_lshlrev_b64 v[10:11], 6, v[10:11]
	s_nop 0
	v_addc_co_u32_e32 v13, vcc, 0, v47, vcc
	v_lshl_add_u64 v[78:79], s[4:5], 0, v[10:11]
	global_load_dwordx4 v[62:65], v[12:13], off
	global_load_dwordx4 v[66:69], v[60:61], off offset:48
	global_load_dwordx4 v[70:73], v[60:61], off offset:32
	;; [unrolled: 1-line block ×3, first 2 shown]
	s_nop 0
	global_load_dwordx4 v[10:13], v[78:79], off offset:48
	global_load_dwordx4 v[14:17], v[78:79], off offset:32
	;; [unrolled: 1-line block ×3, first 2 shown]
	global_load_dwordx4 v[22:25], v[78:79], off
	v_cmp_ge_i64_e32 vcc, v[48:49], v[38:39]
	v_lshl_add_u64 v[46:47], v[46:47], 0, s[24:25]
	s_or_b64 s[12:13], vcc, s[12:13]
	s_waitcnt vmcnt(0)
	v_fmac_f64_e32 v[58:59], v[62:63], v[22:23]
	v_fmac_f64_e32 v[42:43], v[64:65], v[22:23]
	v_fma_f64 v[58:59], -v[64:65], v[24:25], v[58:59]
	v_fmac_f64_e32 v[42:43], v[62:63], v[24:25]
	v_fmac_f64_e32 v[58:59], v[74:75], v[18:19]
	v_fmac_f64_e32 v[42:43], v[76:77], v[18:19]
	v_fma_f64 v[58:59], -v[76:77], v[20:21], v[58:59]
	v_fmac_f64_e32 v[42:43], v[74:75], v[20:21]
	v_fmac_f64_e32 v[58:59], v[70:71], v[14:15]
	v_fmac_f64_e32 v[42:43], v[72:73], v[14:15]
	v_fma_f64 v[58:59], -v[72:73], v[16:17], v[58:59]
	v_fmac_f64_e32 v[42:43], v[70:71], v[16:17]
	v_fmac_f64_e32 v[58:59], v[66:67], v[10:11]
	v_fmac_f64_e32 v[42:43], v[68:69], v[10:11]
	v_fma_f64 v[58:59], -v[68:69], v[12:13], v[58:59]
	v_fmac_f64_e32 v[42:43], v[66:67], v[12:13]
	global_load_dwordx4 v[62:65], v[60:61], off offset:112
	global_load_dwordx4 v[66:69], v[60:61], off offset:96
	global_load_dwordx4 v[70:73], v[60:61], off offset:80
	global_load_dwordx4 v[74:77], v[60:61], off offset:64
	s_waitcnt vmcnt(0)
	v_fmac_f64_e32 v[56:57], v[74:75], v[22:23]
	v_fmac_f64_e32 v[34:35], v[76:77], v[22:23]
	v_fma_f64 v[56:57], -v[76:77], v[24:25], v[56:57]
	v_fmac_f64_e32 v[34:35], v[74:75], v[24:25]
	v_fmac_f64_e32 v[56:57], v[70:71], v[18:19]
	v_fmac_f64_e32 v[34:35], v[72:73], v[18:19]
	v_fma_f64 v[56:57], -v[72:73], v[20:21], v[56:57]
	v_fmac_f64_e32 v[34:35], v[70:71], v[20:21]
	v_fmac_f64_e32 v[56:57], v[66:67], v[14:15]
	v_fmac_f64_e32 v[34:35], v[68:69], v[14:15]
	v_fma_f64 v[56:57], -v[68:69], v[16:17], v[56:57]
	v_fmac_f64_e32 v[34:35], v[66:67], v[16:17]
	v_fmac_f64_e32 v[56:57], v[62:63], v[10:11]
	v_fmac_f64_e32 v[34:35], v[64:65], v[10:11]
	v_fma_f64 v[56:57], -v[64:65], v[12:13], v[56:57]
	v_fmac_f64_e32 v[34:35], v[62:63], v[12:13]
	global_load_dwordx4 v[62:65], v[60:61], off offset:176
	global_load_dwordx4 v[66:69], v[60:61], off offset:160
	global_load_dwordx4 v[70:73], v[60:61], off offset:144
	global_load_dwordx4 v[74:77], v[60:61], off offset:128
	;; [unrolled: 21-line block ×3, first 2 shown]
	s_waitcnt vmcnt(0)
	v_fmac_f64_e32 v[52:53], v[74:75], v[22:23]
	v_fmac_f64_e32 v[28:29], v[76:77], v[22:23]
	v_fma_f64 v[52:53], -v[76:77], v[24:25], v[52:53]
	v_fmac_f64_e32 v[28:29], v[74:75], v[24:25]
	v_fmac_f64_e32 v[52:53], v[70:71], v[18:19]
	v_fmac_f64_e32 v[28:29], v[72:73], v[18:19]
	v_fma_f64 v[22:23], -v[72:73], v[20:21], v[52:53]
	v_fmac_f64_e32 v[28:29], v[70:71], v[20:21]
	;; [unrolled: 4-line block ×4, first 2 shown]
	s_andn2_b64 exec, exec, s[12:13]
	s_cbranch_execnz .LBB59_21
; %bb.22:
	s_or_b64 exec, exec, s[12:13]
.LBB59_23:
	s_or_b64 exec, exec, s[10:11]
.LBB59_24:
	s_or_b64 exec, exec, s[6:7]
	s_cbranch_execz .LBB59_26
	s_branch .LBB59_37
.LBB59_25:
                                        ; implicit-def: $vgpr42_vgpr43
                                        ; implicit-def: $vgpr58_vgpr59
                                        ; implicit-def: $vgpr52_vgpr53
                                        ; implicit-def: $vgpr28_vgpr29
                                        ; implicit-def: $vgpr54_vgpr55
                                        ; implicit-def: $vgpr32_vgpr33
                                        ; implicit-def: $vgpr56_vgpr57
                                        ; implicit-def: $vgpr34_vgpr35
.LBB59_26:
	v_mov_b64_e32 v[42:43], 0
	v_mov_b64_e32 v[58:59], 0
	;; [unrolled: 1-line block ×8, first 2 shown]
	s_and_saveexec_b64 s[6:7], s[2:3]
	s_cbranch_execz .LBB59_36
; %bb.27:
	v_or_b32_e32 v1, 64, v0
	v_sub_co_u32_e32 v10, vcc, v1, v30
	v_not_b32_e32 v13, v45
	s_nop 0
	v_subb_co_u32_e32 v11, vcc, 0, v31, vcc
	v_lshl_add_u64 v[10:11], v[10:11], 0, v[44:45]
	v_cmp_gt_i64_e32 vcc, v[10:11], v[38:39]
	v_not_b32_e32 v12, v44
	s_mov_b64 s[2:3], 0xc0
	v_cndmask_b32_e32 v11, v39, v11, vcc
	v_cndmask_b32_e32 v10, v38, v10, vcc
	v_sub_co_u32_e32 v14, vcc, v30, v0
	v_mov_b64_e32 v[34:35], 0
	s_nop 0
	v_subbrev_co_u32_e32 v15, vcc, 0, v31, vcc
	v_lshl_add_u64 v[12:13], v[14:15], 0, v[12:13]
	v_lshl_add_u64 v[44:45], v[12:13], 0, v[10:11]
	v_and_b32_e32 v10, 0xc0, v44
	v_mov_b32_e32 v11, 0
	v_cmp_ne_u64_e32 vcc, s[2:3], v[10:11]
	v_mov_b64_e32 v[56:57], 0
	v_mov_b64_e32 v[32:33], 0
	;; [unrolled: 1-line block ×7, first 2 shown]
	s_and_saveexec_b64 s[2:3], vcc
	s_cbranch_execz .LBB59_31
; %bb.28:
	v_lshrrev_b32_e32 v1, 6, v44
	v_add_u32_e32 v1, 1, v1
	v_and_b32_e32 v1, 3, v1
	v_sub_co_u32_e32 v48, vcc, 0, v1
	v_lshl_add_u64 v[46:47], v[36:37], 3, s[8:9]
	s_nop 0
	v_subb_co_u32_e64 v49, s[12:13], 0, 0, vcc
	s_mov_b64 s[10:11], 0
	v_mov_b64_e32 v[42:43], 0
	s_mov_b64 s[12:13], 0x4000
	s_mov_b64 s[14:15], 0x200
	v_mov_b64_e32 v[58:59], 0
	v_mov_b64_e32 v[52:53], 0
	;; [unrolled: 1-line block ×7, first 2 shown]
.LBB59_29:                              ; =>This Inner Loop Header: Depth=1
	global_load_dwordx2 v[50:51], v[46:47], off
	global_load_dwordx4 v[10:13], v[40:41], off offset:48
	global_load_dwordx4 v[14:17], v[40:41], off offset:32
	;; [unrolled: 1-line block ×3, first 2 shown]
	global_load_dwordx4 v[22:25], v[40:41], off
	global_load_dwordx4 v[60:63], v[40:41], off offset:112
	global_load_dwordx4 v[64:67], v[40:41], off offset:96
	;; [unrolled: 1-line block ×12, first 2 shown]
	v_lshl_add_u64 v[48:49], v[48:49], 0, 1
	v_lshl_add_u64 v[40:41], v[40:41], 0, s[12:13]
	;; [unrolled: 1-line block ×4, first 2 shown]
	s_waitcnt vmcnt(16)
	v_sub_co_u32_e32 v50, vcc, v50, v30
	s_nop 1
	v_subb_co_u32_e32 v51, vcc, v51, v31, vcc
	v_lshlrev_b64 v[50:51], 6, v[50:51]
	v_lshl_add_u64 v[50:51], s[4:5], 0, v[50:51]
	global_load_dwordx4 v[108:111], v[50:51], off
	global_load_dwordx4 v[112:115], v[50:51], off offset:16
	global_load_dwordx4 v[116:119], v[50:51], off offset:32
	;; [unrolled: 1-line block ×3, first 2 shown]
	v_cmp_eq_u64_e32 vcc, 0, v[48:49]
	s_or_b64 s[10:11], vcc, s[10:11]
	s_waitcnt vmcnt(3)
	v_fmac_f64_e32 v[58:59], v[22:23], v[108:109]
	v_fmac_f64_e32 v[42:43], v[24:25], v[108:109]
	v_fmac_f64_e32 v[56:57], v[18:19], v[108:109]
	v_fmac_f64_e32 v[34:35], v[20:21], v[108:109]
	v_fmac_f64_e32 v[54:55], v[14:15], v[108:109]
	v_fmac_f64_e32 v[32:33], v[16:17], v[108:109]
	v_fmac_f64_e32 v[52:53], v[10:11], v[108:109]
	v_fmac_f64_e32 v[28:29], v[12:13], v[108:109]
	v_fma_f64 v[24:25], -v[24:25], v[110:111], v[58:59]
	v_fmac_f64_e32 v[42:43], v[22:23], v[110:111]
	v_fma_f64 v[20:21], -v[20:21], v[110:111], v[56:57]
	v_fmac_f64_e32 v[34:35], v[18:19], v[110:111]
	v_fma_f64 v[16:17], -v[16:17], v[110:111], v[54:55]
	v_fmac_f64_e32 v[32:33], v[14:15], v[110:111]
	v_fma_f64 v[12:13], -v[12:13], v[110:111], v[52:53]
	v_fmac_f64_e32 v[28:29], v[10:11], v[110:111]
	s_waitcnt vmcnt(2)
	v_fmac_f64_e32 v[24:25], v[72:73], v[112:113]
	v_fmac_f64_e32 v[42:43], v[74:75], v[112:113]
	v_fmac_f64_e32 v[20:21], v[68:69], v[112:113]
	v_fmac_f64_e32 v[34:35], v[70:71], v[112:113]
	v_fmac_f64_e32 v[16:17], v[64:65], v[112:113]
	v_fmac_f64_e32 v[32:33], v[66:67], v[112:113]
	v_fmac_f64_e32 v[12:13], v[60:61], v[112:113]
	v_fmac_f64_e32 v[28:29], v[62:63], v[112:113]
	v_fma_f64 v[10:11], -v[74:75], v[114:115], v[24:25]
	v_fmac_f64_e32 v[42:43], v[72:73], v[114:115]
	v_fma_f64 v[14:15], -v[70:71], v[114:115], v[20:21]
	v_fmac_f64_e32 v[34:35], v[68:69], v[114:115]
	v_fma_f64 v[16:17], -v[66:67], v[114:115], v[16:17]
	v_fmac_f64_e32 v[32:33], v[64:65], v[114:115]
	v_fma_f64 v[12:13], -v[62:63], v[114:115], v[12:13]
	v_fmac_f64_e32 v[28:29], v[60:61], v[114:115]
	;; [unrolled: 17-line block ×4, first 2 shown]
	s_andn2_b64 exec, exec, s[10:11]
	s_cbranch_execnz .LBB59_29
; %bb.30:
	s_or_b64 exec, exec, s[10:11]
.LBB59_31:
	s_or_b64 exec, exec, s[2:3]
	s_mov_b64 s[2:3], 0xbf
	v_cmp_lt_u64_e32 vcc, s[2:3], v[44:45]
	s_and_saveexec_b64 s[2:3], vcc
	s_cbranch_execz .LBB59_35
; %bb.32:
	v_lshl_add_u64 v[10:11], v[36:37], 3, s[8:9]
	s_mov_b64 s[8:9], 0x400
	v_lshl_add_u64 v[18:19], v[10:11], 0, s[8:9]
	s_mov_b64 s[8:9], 0
	s_mov_b64 s[10:11], 0x4000
	s_movk_i32 s22, 0x4000
	s_mov_b64 s[12:13], 0x8000
	s_mov_b32 s23, 0x8000
	s_mov_b64 s[14:15], 0xc000
	s_mov_b32 s24, 0xc000
	s_mov_b64 s[16:17], 0x100
	s_mov_b64 s[18:19], 0x800
	;; [unrolled: 1-line block ×3, first 2 shown]
.LBB59_33:                              ; =>This Inner Loop Header: Depth=1
	global_load_dwordx2 v[10:11], v[18:19], off offset:-1024
	global_load_dwordx4 v[14:17], v[40:41], off offset:48
	global_load_dwordx4 v[20:23], v[40:41], off offset:32
	global_load_dwordx4 v[44:47], v[40:41], off offset:16
	global_load_dwordx4 v[48:51], v[40:41], off
	v_lshl_add_u64 v[36:37], v[36:37], 0, s[16:17]
	s_waitcnt vmcnt(4)
	v_sub_co_u32_e32 v10, vcc, v10, v30
	s_nop 1
	v_subb_co_u32_e32 v11, vcc, v11, v31, vcc
	v_lshlrev_b64 v[10:11], 6, v[10:11]
	v_lshl_add_u64 v[24:25], s[4:5], 0, v[10:11]
	global_load_dwordx4 v[10:13], v[24:25], off offset:48
	global_load_dwordx4 v[60:63], v[24:25], off offset:32
	;; [unrolled: 1-line block ×3, first 2 shown]
	global_load_dwordx4 v[68:71], v[24:25], off
	s_waitcnt vmcnt(0)
	v_fmac_f64_e32 v[58:59], v[48:49], v[68:69]
	v_fmac_f64_e32 v[42:43], v[50:51], v[68:69]
	v_fmac_f64_e32 v[56:57], v[44:45], v[68:69]
	v_fmac_f64_e32 v[34:35], v[46:47], v[68:69]
	v_fmac_f64_e32 v[54:55], v[20:21], v[68:69]
	v_fmac_f64_e32 v[32:33], v[22:23], v[68:69]
	v_fmac_f64_e32 v[52:53], v[14:15], v[68:69]
	v_fmac_f64_e32 v[28:29], v[16:17], v[68:69]
	v_fma_f64 v[24:25], -v[50:51], v[70:71], v[58:59]
	v_fmac_f64_e32 v[42:43], v[48:49], v[70:71]
	v_fma_f64 v[56:57], -v[46:47], v[70:71], v[56:57]
	v_fmac_f64_e32 v[34:35], v[44:45], v[70:71]
	;; [unrolled: 2-line block ×4, first 2 shown]
	global_load_dwordx4 v[14:17], v[40:41], off offset:112
	global_load_dwordx4 v[20:23], v[40:41], off offset:96
	global_load_dwordx4 v[44:47], v[40:41], off offset:80
	global_load_dwordx4 v[48:51], v[40:41], off offset:64
	v_lshl_add_u64 v[70:71], v[40:41], 0, s[10:11]
	s_waitcnt vmcnt(3)
	v_fmac_f64_e32 v[52:53], v[14:15], v[64:65]
	s_waitcnt vmcnt(2)
	v_fmac_f64_e32 v[54:55], v[20:21], v[64:65]
	;; [unrolled: 2-line block ×4, first 2 shown]
	v_fmac_f64_e32 v[42:43], v[50:51], v[64:65]
	v_fmac_f64_e32 v[34:35], v[46:47], v[64:65]
	;; [unrolled: 1-line block ×4, first 2 shown]
	v_fma_f64 v[24:25], -v[50:51], v[66:67], v[24:25]
	v_fmac_f64_e32 v[42:43], v[48:49], v[66:67]
	v_fma_f64 v[56:57], -v[46:47], v[66:67], v[56:57]
	v_fmac_f64_e32 v[34:35], v[44:45], v[66:67]
	;; [unrolled: 2-line block ×4, first 2 shown]
	global_load_dwordx4 v[14:17], v[40:41], off offset:176
	global_load_dwordx4 v[20:23], v[40:41], off offset:160
	;; [unrolled: 1-line block ×4, first 2 shown]
	s_waitcnt vmcnt(3)
	v_fmac_f64_e32 v[52:53], v[14:15], v[60:61]
	s_waitcnt vmcnt(2)
	v_fmac_f64_e32 v[54:55], v[20:21], v[60:61]
	;; [unrolled: 2-line block ×4, first 2 shown]
	v_fmac_f64_e32 v[42:43], v[50:51], v[60:61]
	v_fmac_f64_e32 v[34:35], v[46:47], v[60:61]
	;; [unrolled: 1-line block ×4, first 2 shown]
	v_fma_f64 v[24:25], -v[50:51], v[62:63], v[24:25]
	v_fmac_f64_e32 v[42:43], v[48:49], v[62:63]
	v_fma_f64 v[56:57], -v[46:47], v[62:63], v[56:57]
	v_fmac_f64_e32 v[34:35], v[44:45], v[62:63]
	;; [unrolled: 2-line block ×4, first 2 shown]
	global_load_dwordx4 v[14:17], v[40:41], off offset:240
	global_load_dwordx4 v[20:23], v[40:41], off offset:224
	;; [unrolled: 1-line block ×4, first 2 shown]
	s_waitcnt vmcnt(3)
	v_fmac_f64_e32 v[52:53], v[14:15], v[10:11]
	s_waitcnt vmcnt(2)
	v_fmac_f64_e32 v[54:55], v[20:21], v[10:11]
	;; [unrolled: 2-line block ×4, first 2 shown]
	v_fmac_f64_e32 v[42:43], v[50:51], v[10:11]
	v_fmac_f64_e32 v[34:35], v[46:47], v[10:11]
	;; [unrolled: 1-line block ×4, first 2 shown]
	global_load_dwordx2 v[10:11], v[18:19], off offset:-512
	v_fmac_f64_e32 v[42:43], v[48:49], v[12:13]
	v_fma_f64 v[24:25], -v[50:51], v[12:13], v[24:25]
	v_fma_f64 v[64:65], -v[46:47], v[12:13], v[56:57]
	v_fmac_f64_e32 v[34:35], v[44:45], v[12:13]
	v_fma_f64 v[66:67], -v[22:23], v[12:13], v[54:55]
	v_fmac_f64_e32 v[32:33], v[20:21], v[12:13]
	;; [unrolled: 2-line block ×3, first 2 shown]
	s_waitcnt vmcnt(0)
	v_sub_co_u32_e32 v48, vcc, v10, v30
	s_nop 1
	v_subb_co_u32_e32 v49, vcc, v11, v31, vcc
	v_add_co_u32_e32 v50, vcc, s22, v40
	v_lshlrev_b64 v[48:49], 6, v[48:49]
	s_nop 0
	v_addc_co_u32_e32 v51, vcc, 0, v41, vcc
	v_lshl_add_u64 v[72:73], s[4:5], 0, v[48:49]
	global_load_dwordx4 v[10:13], v[50:51], off
	global_load_dwordx4 v[14:17], v[70:71], off offset:48
	global_load_dwordx4 v[20:23], v[70:71], off offset:32
	;; [unrolled: 1-line block ×3, first 2 shown]
	s_nop 0
	global_load_dwordx4 v[48:51], v[72:73], off offset:48
	global_load_dwordx4 v[52:55], v[72:73], off offset:32
	;; [unrolled: 1-line block ×3, first 2 shown]
	global_load_dwordx4 v[60:63], v[72:73], off
	v_lshl_add_u64 v[72:73], v[40:41], 0, s[12:13]
	s_waitcnt vmcnt(0)
	v_fmac_f64_e32 v[24:25], v[10:11], v[60:61]
	v_fmac_f64_e32 v[42:43], v[12:13], v[60:61]
	;; [unrolled: 1-line block ×8, first 2 shown]
	v_fma_f64 v[24:25], -v[12:13], v[62:63], v[24:25]
	v_fmac_f64_e32 v[42:43], v[10:11], v[62:63]
	v_fma_f64 v[64:65], -v[46:47], v[62:63], v[64:65]
	v_fmac_f64_e32 v[34:35], v[44:45], v[62:63]
	;; [unrolled: 2-line block ×4, first 2 shown]
	global_load_dwordx4 v[10:13], v[70:71], off offset:112
	global_load_dwordx4 v[14:17], v[70:71], off offset:96
	;; [unrolled: 1-line block ×4, first 2 shown]
	s_waitcnt vmcnt(3)
	v_fmac_f64_e32 v[68:69], v[10:11], v[56:57]
	s_waitcnt vmcnt(2)
	v_fmac_f64_e32 v[66:67], v[14:15], v[56:57]
	s_waitcnt vmcnt(1)
	v_fmac_f64_e32 v[64:65], v[20:21], v[56:57]
	s_waitcnt vmcnt(0)
	v_fmac_f64_e32 v[24:25], v[44:45], v[56:57]
	v_fmac_f64_e32 v[42:43], v[46:47], v[56:57]
	v_fmac_f64_e32 v[34:35], v[22:23], v[56:57]
	v_fmac_f64_e32 v[32:33], v[16:17], v[56:57]
	v_fmac_f64_e32 v[28:29], v[12:13], v[56:57]
	v_fma_f64 v[24:25], -v[46:47], v[58:59], v[24:25]
	v_fmac_f64_e32 v[42:43], v[44:45], v[58:59]
	v_fma_f64 v[60:61], -v[22:23], v[58:59], v[64:65]
	v_fmac_f64_e32 v[34:35], v[20:21], v[58:59]
	;; [unrolled: 2-line block ×4, first 2 shown]
	global_load_dwordx4 v[10:13], v[70:71], off offset:176
	global_load_dwordx4 v[14:17], v[70:71], off offset:160
	;; [unrolled: 1-line block ×4, first 2 shown]
	s_waitcnt vmcnt(3)
	v_fmac_f64_e32 v[64:65], v[10:11], v[52:53]
	s_waitcnt vmcnt(2)
	v_fmac_f64_e32 v[62:63], v[14:15], v[52:53]
	;; [unrolled: 2-line block ×4, first 2 shown]
	v_fmac_f64_e32 v[42:43], v[46:47], v[52:53]
	v_fmac_f64_e32 v[34:35], v[22:23], v[52:53]
	;; [unrolled: 1-line block ×4, first 2 shown]
	v_fma_f64 v[24:25], -v[46:47], v[54:55], v[24:25]
	v_fmac_f64_e32 v[42:43], v[44:45], v[54:55]
	v_fma_f64 v[56:57], -v[22:23], v[54:55], v[60:61]
	v_fmac_f64_e32 v[34:35], v[20:21], v[54:55]
	;; [unrolled: 2-line block ×4, first 2 shown]
	global_load_dwordx4 v[20:23], v[70:71], off offset:240
	global_load_dwordx4 v[44:47], v[70:71], off offset:224
	global_load_dwordx4 v[14:17], v[70:71], off offset:208
	global_load_dwordx4 v[52:55], v[70:71], off offset:192
	s_waitcnt vmcnt(3)
	v_fmac_f64_e32 v[28:29], v[22:23], v[48:49]
	v_fmac_f64_e32 v[60:61], v[20:21], v[48:49]
	;; [unrolled: 1-line block ×3, first 2 shown]
	global_load_dwordx2 v[20:21], v[18:19], off
	s_waitcnt vmcnt(2)
	v_fmac_f64_e32 v[56:57], v[14:15], v[48:49]
	v_fma_f64 v[12:13], -v[16:17], v[50:51], v[56:57]
	s_waitcnt vmcnt(1)
	v_fmac_f64_e32 v[24:25], v[52:53], v[48:49]
	v_fmac_f64_e32 v[42:43], v[54:55], v[48:49]
	v_fmac_f64_e32 v[34:35], v[16:17], v[48:49]
	v_fmac_f64_e32 v[58:59], v[44:45], v[48:49]
	v_fmac_f64_e32 v[32:33], v[46:47], v[48:49]
	v_fma_f64 v[10:11], -v[54:55], v[50:51], v[24:25]
	v_fmac_f64_e32 v[42:43], v[52:53], v[50:51]
	v_fmac_f64_e32 v[34:35], v[14:15], v[50:51]
	v_fma_f64 v[14:15], -v[46:47], v[50:51], v[58:59]
	v_fmac_f64_e32 v[32:33], v[44:45], v[50:51]
	v_fma_f64 v[16:17], -v[22:23], v[50:51], v[60:61]
	s_waitcnt vmcnt(0)
	v_sub_co_u32_e32 v20, vcc, v20, v30
	s_nop 1
	v_subb_co_u32_e32 v21, vcc, v21, v31, vcc
	v_add_co_u32_e32 v56, vcc, s23, v40
	v_lshlrev_b64 v[20:21], 6, v[20:21]
	s_nop 0
	v_addc_co_u32_e32 v57, vcc, 0, v41, vcc
	v_lshl_add_u64 v[20:21], s[4:5], 0, v[20:21]
	global_load_dwordx4 v[22:25], v[56:57], off
	global_load_dwordx4 v[44:47], v[72:73], off offset:48
	global_load_dwordx4 v[48:51], v[72:73], off offset:32
	;; [unrolled: 1-line block ×3, first 2 shown]
	s_nop 0
	global_load_dwordx4 v[56:59], v[20:21], off offset:48
	global_load_dwordx4 v[60:63], v[20:21], off offset:32
	;; [unrolled: 1-line block ×3, first 2 shown]
	global_load_dwordx4 v[68:71], v[20:21], off
	s_waitcnt vmcnt(0)
	v_fmac_f64_e32 v[10:11], v[22:23], v[68:69]
	v_fmac_f64_e32 v[42:43], v[24:25], v[68:69]
	;; [unrolled: 1-line block ×8, first 2 shown]
	v_fma_f64 v[74:75], -v[24:25], v[70:71], v[10:11]
	v_fmac_f64_e32 v[42:43], v[22:23], v[70:71]
	v_fma_f64 v[24:25], -v[54:55], v[70:71], v[12:13]
	v_fmac_f64_e32 v[34:35], v[52:53], v[70:71]
	v_fma_f64 v[52:53], -v[50:51], v[70:71], v[14:15]
	v_fmac_f64_e32 v[32:33], v[48:49], v[70:71]
	v_fma_f64 v[48:49], -v[46:47], v[70:71], v[16:17]
	v_fmac_f64_e32 v[28:29], v[44:45], v[70:71]
	global_load_dwordx4 v[10:13], v[72:73], off offset:112
	global_load_dwordx4 v[14:17], v[72:73], off offset:96
	;; [unrolled: 1-line block ×4, first 2 shown]
	s_waitcnt vmcnt(3)
	v_fmac_f64_e32 v[48:49], v[10:11], v[64:65]
	s_waitcnt vmcnt(2)
	v_fmac_f64_e32 v[52:53], v[14:15], v[64:65]
	;; [unrolled: 2-line block ×4, first 2 shown]
	v_fmac_f64_e32 v[42:43], v[46:47], v[64:65]
	v_fmac_f64_e32 v[34:35], v[22:23], v[64:65]
	v_fmac_f64_e32 v[32:33], v[16:17], v[64:65]
	v_fmac_f64_e32 v[28:29], v[12:13], v[64:65]
	v_fma_f64 v[50:51], -v[46:47], v[66:67], v[74:75]
	v_fmac_f64_e32 v[42:43], v[44:45], v[66:67]
	v_fma_f64 v[24:25], -v[22:23], v[66:67], v[24:25]
	v_fmac_f64_e32 v[34:35], v[20:21], v[66:67]
	;; [unrolled: 2-line block ×4, first 2 shown]
	global_load_dwordx4 v[10:13], v[72:73], off offset:176
	global_load_dwordx4 v[14:17], v[72:73], off offset:160
	;; [unrolled: 1-line block ×4, first 2 shown]
	s_waitcnt vmcnt(3)
	v_fmac_f64_e32 v[48:49], v[10:11], v[60:61]
	s_waitcnt vmcnt(2)
	v_fmac_f64_e32 v[52:53], v[14:15], v[60:61]
	;; [unrolled: 2-line block ×4, first 2 shown]
	v_fmac_f64_e32 v[42:43], v[46:47], v[60:61]
	v_fmac_f64_e32 v[32:33], v[16:17], v[60:61]
	;; [unrolled: 1-line block ×3, first 2 shown]
	v_fma_f64 v[54:55], -v[46:47], v[62:63], v[50:51]
	v_fmac_f64_e32 v[42:43], v[44:45], v[62:63]
	v_fmac_f64_e32 v[24:25], v[20:21], v[60:61]
	v_fmac_f64_e32 v[34:35], v[20:21], v[62:63]
	v_fma_f64 v[20:21], -v[16:17], v[62:63], v[52:53]
	v_fmac_f64_e32 v[32:33], v[14:15], v[62:63]
	v_fma_f64 v[52:53], -v[12:13], v[62:63], v[48:49]
	v_fmac_f64_e32 v[28:29], v[10:11], v[62:63]
	global_load_dwordx4 v[10:13], v[72:73], off offset:240
	global_load_dwordx4 v[14:17], v[72:73], off offset:224
	;; [unrolled: 1-line block ×4, first 2 shown]
	v_fma_f64 v[24:25], -v[22:23], v[62:63], v[24:25]
	s_waitcnt vmcnt(3)
	v_fmac_f64_e32 v[28:29], v[12:13], v[56:57]
	v_fmac_f64_e32 v[52:53], v[10:11], v[56:57]
	;; [unrolled: 1-line block ×3, first 2 shown]
	global_load_dwordx2 v[10:11], v[18:19], off offset:512
	s_waitcnt vmcnt(2)
	v_fmac_f64_e32 v[24:25], v[44:45], v[56:57]
	v_fma_f64 v[24:25], -v[46:47], v[58:59], v[24:25]
	v_fmac_f64_e32 v[34:35], v[46:47], v[56:57]
	v_fma_f64 v[46:47], -v[12:13], v[58:59], v[52:53]
	s_waitcnt vmcnt(1)
	v_fmac_f64_e32 v[54:55], v[48:49], v[56:57]
	v_fmac_f64_e32 v[42:43], v[50:51], v[56:57]
	;; [unrolled: 1-line block ×4, first 2 shown]
	v_fma_f64 v[22:23], -v[50:51], v[58:59], v[54:55]
	v_fmac_f64_e32 v[42:43], v[48:49], v[58:59]
	v_fmac_f64_e32 v[34:35], v[44:45], v[58:59]
	v_fma_f64 v[44:45], -v[16:17], v[58:59], v[20:21]
	v_fmac_f64_e32 v[32:33], v[14:15], v[58:59]
	v_lshl_add_u64 v[20:21], v[40:41], 0, s[14:15]
	v_lshl_add_u64 v[18:19], v[18:19], 0, s[18:19]
	s_waitcnt vmcnt(0)
	v_sub_co_u32_e32 v10, vcc, v10, v30
	s_nop 1
	v_subb_co_u32_e32 v11, vcc, v11, v31, vcc
	v_add_co_u32_e32 v12, vcc, s24, v40
	v_lshlrev_b64 v[10:11], 6, v[10:11]
	s_nop 0
	v_addc_co_u32_e32 v13, vcc, 0, v41, vcc
	v_lshl_add_u64 v[72:73], s[4:5], 0, v[10:11]
	global_load_dwordx4 v[48:51], v[12:13], off
	global_load_dwordx4 v[52:55], v[20:21], off offset:48
	global_load_dwordx4 v[56:59], v[20:21], off offset:32
	;; [unrolled: 1-line block ×3, first 2 shown]
	s_nop 0
	global_load_dwordx4 v[10:13], v[72:73], off offset:48
	global_load_dwordx4 v[14:17], v[72:73], off offset:32
	global_load_dwordx4 v[64:67], v[72:73], off offset:16
	global_load_dwordx4 v[68:71], v[72:73], off
	v_cmp_ge_i64_e32 vcc, v[36:37], v[38:39]
	v_lshl_add_u64 v[40:41], v[40:41], 0, s[20:21]
	s_or_b64 s[8:9], vcc, s[8:9]
	s_waitcnt vmcnt(0)
	v_fmac_f64_e32 v[22:23], v[48:49], v[68:69]
	v_fmac_f64_e32 v[42:43], v[50:51], v[68:69]
	;; [unrolled: 1-line block ×8, first 2 shown]
	v_fma_f64 v[72:73], -v[50:51], v[70:71], v[22:23]
	v_fmac_f64_e32 v[42:43], v[48:49], v[70:71]
	v_fma_f64 v[74:75], -v[62:63], v[70:71], v[24:25]
	v_fmac_f64_e32 v[34:35], v[60:61], v[70:71]
	v_fma_f64 v[60:61], -v[58:59], v[70:71], v[44:45]
	v_fmac_f64_e32 v[32:33], v[56:57], v[70:71]
	v_fma_f64 v[56:57], -v[54:55], v[70:71], v[46:47]
	v_fmac_f64_e32 v[28:29], v[52:53], v[70:71]
	global_load_dwordx4 v[22:25], v[20:21], off offset:112
	global_load_dwordx4 v[44:47], v[20:21], off offset:96
	global_load_dwordx4 v[48:51], v[20:21], off offset:80
	global_load_dwordx4 v[52:55], v[20:21], off offset:64
	s_waitcnt vmcnt(3)
	v_fmac_f64_e32 v[56:57], v[22:23], v[64:65]
	s_waitcnt vmcnt(2)
	v_fmac_f64_e32 v[60:61], v[44:45], v[64:65]
	s_waitcnt vmcnt(1)
	v_fmac_f64_e32 v[74:75], v[48:49], v[64:65]
	s_waitcnt vmcnt(0)
	v_fmac_f64_e32 v[72:73], v[52:53], v[64:65]
	v_fmac_f64_e32 v[42:43], v[54:55], v[64:65]
	v_fmac_f64_e32 v[34:35], v[50:51], v[64:65]
	v_fmac_f64_e32 v[32:33], v[46:47], v[64:65]
	v_fmac_f64_e32 v[28:29], v[24:25], v[64:65]
	v_fma_f64 v[58:59], -v[54:55], v[66:67], v[72:73]
	v_fmac_f64_e32 v[42:43], v[52:53], v[66:67]
	v_fma_f64 v[62:63], -v[50:51], v[66:67], v[74:75]
	v_fmac_f64_e32 v[34:35], v[48:49], v[66:67]
	v_fma_f64 v[60:61], -v[46:47], v[66:67], v[60:61]
	v_fmac_f64_e32 v[32:33], v[44:45], v[66:67]
	v_fma_f64 v[56:57], -v[24:25], v[66:67], v[56:57]
	v_fmac_f64_e32 v[28:29], v[22:23], v[66:67]
	global_load_dwordx4 v[22:25], v[20:21], off offset:176
	global_load_dwordx4 v[44:47], v[20:21], off offset:160
	global_load_dwordx4 v[48:51], v[20:21], off offset:144
	global_load_dwordx4 v[52:55], v[20:21], off offset:128
	s_waitcnt vmcnt(3)
	v_fmac_f64_e32 v[56:57], v[22:23], v[14:15]
	s_waitcnt vmcnt(2)
	v_fmac_f64_e32 v[60:61], v[44:45], v[14:15]
	s_waitcnt vmcnt(1)
	v_fmac_f64_e32 v[62:63], v[48:49], v[14:15]
	s_waitcnt vmcnt(0)
	v_fmac_f64_e32 v[58:59], v[52:53], v[14:15]
	v_fmac_f64_e32 v[42:43], v[54:55], v[14:15]
	v_fmac_f64_e32 v[34:35], v[50:51], v[14:15]
	v_fmac_f64_e32 v[32:33], v[46:47], v[14:15]
	v_fmac_f64_e32 v[28:29], v[24:25], v[14:15]
	;; [unrolled: 24-line block ×3, first 2 shown]
	v_fma_f64 v[58:59], -v[50:51], v[12:13], v[58:59]
	v_fmac_f64_e32 v[42:43], v[48:49], v[12:13]
	v_fma_f64 v[56:57], -v[46:47], v[12:13], v[52:53]
	v_fmac_f64_e32 v[34:35], v[44:45], v[12:13]
	;; [unrolled: 2-line block ×4, first 2 shown]
	s_andn2_b64 exec, exec, s[8:9]
	s_cbranch_execnz .LBB59_33
; %bb.34:
	s_or_b64 exec, exec, s[8:9]
.LBB59_35:
	s_or_b64 exec, exec, s[2:3]
.LBB59_36:
	s_or_b64 exec, exec, s[6:7]
.LBB59_37:
	v_mov_b32_dpp v14, v42 row_shr:1 row_mask:0xf bank_mask:0xf
	v_mov_b32_dpp v15, v43 row_shr:1 row_mask:0xf bank_mask:0xf
	v_mov_b32_dpp v10, v58 row_shr:1 row_mask:0xf bank_mask:0xf
	v_mov_b32_dpp v11, v59 row_shr:1 row_mask:0xf bank_mask:0xf
	v_add_f64 v[14:15], v[42:43], v[14:15]
	v_mov_b32_dpp v18, v56 row_shr:1 row_mask:0xf bank_mask:0xf
	v_mov_b32_dpp v19, v57 row_shr:1 row_mask:0xf bank_mask:0xf
	;; [unrolled: 1-line block ×12, first 2 shown]
	v_add_f64 v[10:11], v[58:59], v[10:11]
	v_add_f64 v[18:19], v[56:57], v[18:19]
	v_add_f64 v[22:23], v[34:35], v[22:23]
	v_add_f64 v[30:31], v[54:55], v[30:31]
	v_add_f64 v[32:33], v[32:33], v[36:37]
	v_add_f64 v[38:39], v[52:53], v[38:39]
	v_add_f64 v[28:29], v[28:29], v[42:43]
	v_mov_b32_dpp v12, v10 row_shr:2 row_mask:0xf bank_mask:0xf
	v_mov_b32_dpp v13, v11 row_shr:2 row_mask:0xf bank_mask:0xf
	v_mov_b32_dpp v16, v14 row_shr:2 row_mask:0xf bank_mask:0xf
	v_mov_b32_dpp v17, v15 row_shr:2 row_mask:0xf bank_mask:0xf
	v_mov_b32_dpp v20, v18 row_shr:2 row_mask:0xf bank_mask:0xf
	v_mov_b32_dpp v21, v19 row_shr:2 row_mask:0xf bank_mask:0xf
	v_mov_b32_dpp v24, v22 row_shr:2 row_mask:0xf bank_mask:0xf
	v_mov_b32_dpp v25, v23 row_shr:2 row_mask:0xf bank_mask:0xf
	v_mov_b32_dpp v34, v30 row_shr:2 row_mask:0xf bank_mask:0xf
	v_mov_b32_dpp v35, v31 row_shr:2 row_mask:0xf bank_mask:0xf
	v_mov_b32_dpp v36, v32 row_shr:2 row_mask:0xf bank_mask:0xf
	v_mov_b32_dpp v37, v33 row_shr:2 row_mask:0xf bank_mask:0xf
	v_mov_b32_dpp v40, v38 row_shr:2 row_mask:0xf bank_mask:0xf
	v_mov_b32_dpp v41, v39 row_shr:2 row_mask:0xf bank_mask:0xf
	v_mov_b32_dpp v42, v28 row_shr:2 row_mask:0xf bank_mask:0xf
	v_mov_b32_dpp v43, v29 row_shr:2 row_mask:0xf bank_mask:0xf
	v_add_f64 v[10:11], v[10:11], v[12:13]
	v_add_f64 v[14:15], v[14:15], v[16:17]
	v_add_f64 v[18:19], v[18:19], v[20:21]
	v_add_f64 v[22:23], v[22:23], v[24:25]
	v_add_f64 v[30:31], v[30:31], v[34:35]
	v_add_f64 v[32:33], v[32:33], v[36:37]
	v_add_f64 v[38:39], v[38:39], v[40:41]
	v_add_f64 v[28:29], v[28:29], v[42:43]
	v_mov_b32_dpp v12, v10 row_shr:4 row_mask:0xf bank_mask:0xe
	v_mov_b32_dpp v13, v11 row_shr:4 row_mask:0xf bank_mask:0xe
	v_mov_b32_dpp v16, v14 row_shr:4 row_mask:0xf bank_mask:0xe
	v_mov_b32_dpp v17, v15 row_shr:4 row_mask:0xf bank_mask:0xe
	v_mov_b32_dpp v20, v18 row_shr:4 row_mask:0xf bank_mask:0xe
	v_mov_b32_dpp v21, v19 row_shr:4 row_mask:0xf bank_mask:0xe
	v_mov_b32_dpp v24, v22 row_shr:4 row_mask:0xf bank_mask:0xe
	v_mov_b32_dpp v25, v23 row_shr:4 row_mask:0xf bank_mask:0xe
	v_mov_b32_dpp v34, v30 row_shr:4 row_mask:0xf bank_mask:0xe
	v_mov_b32_dpp v35, v31 row_shr:4 row_mask:0xf bank_mask:0xe
	v_mov_b32_dpp v36, v32 row_shr:4 row_mask:0xf bank_mask:0xe
	v_mov_b32_dpp v37, v33 row_shr:4 row_mask:0xf bank_mask:0xe
	v_mov_b32_dpp v40, v38 row_shr:4 row_mask:0xf bank_mask:0xe
	v_mov_b32_dpp v41, v39 row_shr:4 row_mask:0xf bank_mask:0xe
	v_mov_b32_dpp v42, v28 row_shr:4 row_mask:0xf bank_mask:0xe
	v_mov_b32_dpp v43, v29 row_shr:4 row_mask:0xf bank_mask:0xe
	v_add_f64 v[10:11], v[10:11], v[12:13]
	;; [unrolled: 24-line block ×3, first 2 shown]
	v_add_f64 v[14:15], v[14:15], v[16:17]
	v_add_f64 v[18:19], v[18:19], v[20:21]
	v_add_f64 v[22:23], v[22:23], v[24:25]
	v_add_f64 v[30:31], v[30:31], v[34:35]
	v_add_f64 v[32:33], v[32:33], v[36:37]
	v_add_f64 v[38:39], v[38:39], v[40:41]
	v_add_f64 v[28:29], v[28:29], v[42:43]
	v_mov_b32_dpp v12, v10 row_bcast:15 row_mask:0xa bank_mask:0xf
	v_mov_b32_dpp v13, v11 row_bcast:15 row_mask:0xa bank_mask:0xf
	;; [unrolled: 1-line block ×16, first 2 shown]
	v_add_f64 v[10:11], v[10:11], v[12:13]
	v_add_f64 v[14:15], v[14:15], v[16:17]
	;; [unrolled: 1-line block ×8, first 2 shown]
	v_mov_b32_dpp v12, v10 row_bcast:31 row_mask:0xc bank_mask:0xf
	v_mov_b32_dpp v13, v11 row_bcast:31 row_mask:0xc bank_mask:0xf
	;; [unrolled: 1-line block ×16, first 2 shown]
	v_cmp_eq_u32_e32 vcc, 63, v0
	s_and_b64 exec, exec, vcc
	s_cbranch_execz .LBB59_8
; %bb.38:
	s_load_dwordx2 s[2:3], s[0:1], 0x68
	v_add_f64 v[0:1], v[10:11], v[12:13]
	v_add_f64 v[10:11], v[14:15], v[16:17]
	;; [unrolled: 1-line block ×8, first 2 shown]
	v_cmp_eq_f64_e32 vcc, 0, v[2:3]
	v_cmp_eq_f64_e64 s[0:1], 0, v[4:5]
	v_mul_f64 v[22:23], v[10:11], -v[8:9]
	v_mul_f64 v[24:25], v[6:7], v[10:11]
	v_mul_f64 v[18:19], v[12:13], -v[8:9]
	v_mul_f64 v[20:21], v[6:7], v[12:13]
	v_mul_f64 v[14:15], v[16:17], -v[8:9]
	v_mul_f64 v[16:17], v[6:7], v[16:17]
	v_mul_f64 v[10:11], v[28:29], -v[8:9]
	v_mul_f64 v[12:13], v[6:7], v[28:29]
	s_and_b64 s[0:1], vcc, s[0:1]
	v_fmac_f64_e32 v[22:23], v[6:7], v[0:1]
	v_fmac_f64_e32 v[24:25], v[8:9], v[0:1]
	v_lshlrev_b64 v[0:1], 6, v[26:27]
	v_fmac_f64_e32 v[18:19], v[6:7], v[44:45]
	v_fmac_f64_e32 v[20:21], v[8:9], v[44:45]
	;; [unrolled: 1-line block ×6, first 2 shown]
	s_and_saveexec_b64 s[4:5], s[0:1]
	s_xor_b64 s[0:1], exec, s[4:5]
	s_cbranch_execz .LBB59_40
; %bb.39:
	s_waitcnt lgkmcnt(0)
	v_lshl_add_u64 v[0:1], s[2:3], 0, v[0:1]
	global_store_dwordx4 v[0:1], v[22:25], off
	global_store_dwordx4 v[0:1], v[18:21], off offset:16
	global_store_dwordx4 v[0:1], v[14:17], off offset:32
	;; [unrolled: 1-line block ×3, first 2 shown]
                                        ; implicit-def: $vgpr4_vgpr5
                                        ; implicit-def: $vgpr22_vgpr23
                                        ; implicit-def: $vgpr0_vgpr1
                                        ; implicit-def: $vgpr18_vgpr19
                                        ; implicit-def: $vgpr14_vgpr15
                                        ; implicit-def: $vgpr10_vgpr11
.LBB59_40:
	s_andn2_saveexec_b64 s[0:1], s[0:1]
	s_cbranch_execz .LBB59_8
; %bb.41:
	s_waitcnt lgkmcnt(0)
	v_lshl_add_u64 v[0:1], s[2:3], 0, v[0:1]
	global_load_dwordx4 v[6:9], v[0:1], off
	global_load_dwordx4 v[26:29], v[0:1], off offset:16
	global_load_dwordx4 v[30:33], v[0:1], off offset:32
	;; [unrolled: 1-line block ×3, first 2 shown]
	s_waitcnt vmcnt(3)
	v_fmac_f64_e32 v[22:23], v[2:3], v[6:7]
	v_fmac_f64_e32 v[24:25], v[4:5], v[6:7]
	s_waitcnt vmcnt(2)
	v_fmac_f64_e32 v[18:19], v[2:3], v[26:27]
	v_fmac_f64_e32 v[20:21], v[4:5], v[26:27]
	;; [unrolled: 3-line block ×4, first 2 shown]
	v_fma_f64 v[22:23], -v[4:5], v[8:9], v[22:23]
	v_fmac_f64_e32 v[24:25], v[2:3], v[8:9]
	v_fma_f64 v[18:19], -v[4:5], v[28:29], v[18:19]
	v_fmac_f64_e32 v[20:21], v[2:3], v[28:29]
	;; [unrolled: 2-line block ×4, first 2 shown]
	global_store_dwordx4 v[0:1], v[22:25], off
	global_store_dwordx4 v[0:1], v[18:21], off offset:16
	global_store_dwordx4 v[0:1], v[14:17], off offset:32
	;; [unrolled: 1-line block ×3, first 2 shown]
	s_endpgm
	.section	.rodata,"a",@progbits
	.p2align	6, 0x0
	.amdhsa_kernel _ZN9rocsparseL18bsrxmvn_4x4_kernelILj128ELj64E21rocsparse_complex_numIdEllS2_S2_S2_EEvT3_20rocsparse_direction_NS_24const_host_device_scalarIT1_EES3_PKS3_PKT2_SC_S9_PKT4_PKT5_S7_PT6_21rocsparse_index_base_b
		.amdhsa_group_segment_fixed_size 0
		.amdhsa_private_segment_fixed_size 0
		.amdhsa_kernarg_size 120
		.amdhsa_user_sgpr_count 2
		.amdhsa_user_sgpr_dispatch_ptr 0
		.amdhsa_user_sgpr_queue_ptr 0
		.amdhsa_user_sgpr_kernarg_segment_ptr 1
		.amdhsa_user_sgpr_dispatch_id 0
		.amdhsa_user_sgpr_kernarg_preload_length 0
		.amdhsa_user_sgpr_kernarg_preload_offset 0
		.amdhsa_user_sgpr_private_segment_size 0
		.amdhsa_uses_dynamic_stack 0
		.amdhsa_enable_private_segment 0
		.amdhsa_system_sgpr_workgroup_id_x 1
		.amdhsa_system_sgpr_workgroup_id_y 0
		.amdhsa_system_sgpr_workgroup_id_z 0
		.amdhsa_system_sgpr_workgroup_info 0
		.amdhsa_system_vgpr_workitem_id 0
		.amdhsa_next_free_vgpr 124
		.amdhsa_next_free_sgpr 29
		.amdhsa_accum_offset 124
		.amdhsa_reserve_vcc 1
		.amdhsa_float_round_mode_32 0
		.amdhsa_float_round_mode_16_64 0
		.amdhsa_float_denorm_mode_32 3
		.amdhsa_float_denorm_mode_16_64 3
		.amdhsa_dx10_clamp 1
		.amdhsa_ieee_mode 1
		.amdhsa_fp16_overflow 0
		.amdhsa_tg_split 0
		.amdhsa_exception_fp_ieee_invalid_op 0
		.amdhsa_exception_fp_denorm_src 0
		.amdhsa_exception_fp_ieee_div_zero 0
		.amdhsa_exception_fp_ieee_overflow 0
		.amdhsa_exception_fp_ieee_underflow 0
		.amdhsa_exception_fp_ieee_inexact 0
		.amdhsa_exception_int_div_zero 0
	.end_amdhsa_kernel
	.section	.text._ZN9rocsparseL18bsrxmvn_4x4_kernelILj128ELj64E21rocsparse_complex_numIdEllS2_S2_S2_EEvT3_20rocsparse_direction_NS_24const_host_device_scalarIT1_EES3_PKS3_PKT2_SC_S9_PKT4_PKT5_S7_PT6_21rocsparse_index_base_b,"axG",@progbits,_ZN9rocsparseL18bsrxmvn_4x4_kernelILj128ELj64E21rocsparse_complex_numIdEllS2_S2_S2_EEvT3_20rocsparse_direction_NS_24const_host_device_scalarIT1_EES3_PKS3_PKT2_SC_S9_PKT4_PKT5_S7_PT6_21rocsparse_index_base_b,comdat
.Lfunc_end59:
	.size	_ZN9rocsparseL18bsrxmvn_4x4_kernelILj128ELj64E21rocsparse_complex_numIdEllS2_S2_S2_EEvT3_20rocsparse_direction_NS_24const_host_device_scalarIT1_EES3_PKS3_PKT2_SC_S9_PKT4_PKT5_S7_PT6_21rocsparse_index_base_b, .Lfunc_end59-_ZN9rocsparseL18bsrxmvn_4x4_kernelILj128ELj64E21rocsparse_complex_numIdEllS2_S2_S2_EEvT3_20rocsparse_direction_NS_24const_host_device_scalarIT1_EES3_PKS3_PKT2_SC_S9_PKT4_PKT5_S7_PT6_21rocsparse_index_base_b
                                        ; -- End function
	.set _ZN9rocsparseL18bsrxmvn_4x4_kernelILj128ELj64E21rocsparse_complex_numIdEllS2_S2_S2_EEvT3_20rocsparse_direction_NS_24const_host_device_scalarIT1_EES3_PKS3_PKT2_SC_S9_PKT4_PKT5_S7_PT6_21rocsparse_index_base_b.num_vgpr, 124
	.set _ZN9rocsparseL18bsrxmvn_4x4_kernelILj128ELj64E21rocsparse_complex_numIdEllS2_S2_S2_EEvT3_20rocsparse_direction_NS_24const_host_device_scalarIT1_EES3_PKS3_PKT2_SC_S9_PKT4_PKT5_S7_PT6_21rocsparse_index_base_b.num_agpr, 0
	.set _ZN9rocsparseL18bsrxmvn_4x4_kernelILj128ELj64E21rocsparse_complex_numIdEllS2_S2_S2_EEvT3_20rocsparse_direction_NS_24const_host_device_scalarIT1_EES3_PKS3_PKT2_SC_S9_PKT4_PKT5_S7_PT6_21rocsparse_index_base_b.numbered_sgpr, 29
	.set _ZN9rocsparseL18bsrxmvn_4x4_kernelILj128ELj64E21rocsparse_complex_numIdEllS2_S2_S2_EEvT3_20rocsparse_direction_NS_24const_host_device_scalarIT1_EES3_PKS3_PKT2_SC_S9_PKT4_PKT5_S7_PT6_21rocsparse_index_base_b.num_named_barrier, 0
	.set _ZN9rocsparseL18bsrxmvn_4x4_kernelILj128ELj64E21rocsparse_complex_numIdEllS2_S2_S2_EEvT3_20rocsparse_direction_NS_24const_host_device_scalarIT1_EES3_PKS3_PKT2_SC_S9_PKT4_PKT5_S7_PT6_21rocsparse_index_base_b.private_seg_size, 0
	.set _ZN9rocsparseL18bsrxmvn_4x4_kernelILj128ELj64E21rocsparse_complex_numIdEllS2_S2_S2_EEvT3_20rocsparse_direction_NS_24const_host_device_scalarIT1_EES3_PKS3_PKT2_SC_S9_PKT4_PKT5_S7_PT6_21rocsparse_index_base_b.uses_vcc, 1
	.set _ZN9rocsparseL18bsrxmvn_4x4_kernelILj128ELj64E21rocsparse_complex_numIdEllS2_S2_S2_EEvT3_20rocsparse_direction_NS_24const_host_device_scalarIT1_EES3_PKS3_PKT2_SC_S9_PKT4_PKT5_S7_PT6_21rocsparse_index_base_b.uses_flat_scratch, 0
	.set _ZN9rocsparseL18bsrxmvn_4x4_kernelILj128ELj64E21rocsparse_complex_numIdEllS2_S2_S2_EEvT3_20rocsparse_direction_NS_24const_host_device_scalarIT1_EES3_PKS3_PKT2_SC_S9_PKT4_PKT5_S7_PT6_21rocsparse_index_base_b.has_dyn_sized_stack, 0
	.set _ZN9rocsparseL18bsrxmvn_4x4_kernelILj128ELj64E21rocsparse_complex_numIdEllS2_S2_S2_EEvT3_20rocsparse_direction_NS_24const_host_device_scalarIT1_EES3_PKS3_PKT2_SC_S9_PKT4_PKT5_S7_PT6_21rocsparse_index_base_b.has_recursion, 0
	.set _ZN9rocsparseL18bsrxmvn_4x4_kernelILj128ELj64E21rocsparse_complex_numIdEllS2_S2_S2_EEvT3_20rocsparse_direction_NS_24const_host_device_scalarIT1_EES3_PKS3_PKT2_SC_S9_PKT4_PKT5_S7_PT6_21rocsparse_index_base_b.has_indirect_call, 0
	.section	.AMDGPU.csdata,"",@progbits
; Kernel info:
; codeLenInByte = 8684
; TotalNumSgprs: 35
; NumVgprs: 124
; NumAgprs: 0
; TotalNumVgprs: 124
; ScratchSize: 0
; MemoryBound: 1
; FloatMode: 240
; IeeeMode: 1
; LDSByteSize: 0 bytes/workgroup (compile time only)
; SGPRBlocks: 4
; VGPRBlocks: 15
; NumSGPRsForWavesPerEU: 35
; NumVGPRsForWavesPerEU: 124
; AccumOffset: 124
; Occupancy: 4
; WaveLimiterHint : 1
; COMPUTE_PGM_RSRC2:SCRATCH_EN: 0
; COMPUTE_PGM_RSRC2:USER_SGPR: 2
; COMPUTE_PGM_RSRC2:TRAP_HANDLER: 0
; COMPUTE_PGM_RSRC2:TGID_X_EN: 1
; COMPUTE_PGM_RSRC2:TGID_Y_EN: 0
; COMPUTE_PGM_RSRC2:TGID_Z_EN: 0
; COMPUTE_PGM_RSRC2:TIDIG_COMP_CNT: 0
; COMPUTE_PGM_RSRC3_GFX90A:ACCUM_OFFSET: 30
; COMPUTE_PGM_RSRC3_GFX90A:TG_SPLIT: 0
	.section	.text._ZN9rocsparseL18bsrxmvn_4x4_kernelILj128ELj4EiiiaaiEEvT3_20rocsparse_direction_NS_24const_host_device_scalarIT1_EES1_PKS1_PKT2_SA_S7_PKT4_PKT5_S5_PT6_21rocsparse_index_base_b,"axG",@progbits,_ZN9rocsparseL18bsrxmvn_4x4_kernelILj128ELj4EiiiaaiEEvT3_20rocsparse_direction_NS_24const_host_device_scalarIT1_EES1_PKS1_PKT2_SA_S7_PKT4_PKT5_S5_PT6_21rocsparse_index_base_b,comdat
	.globl	_ZN9rocsparseL18bsrxmvn_4x4_kernelILj128ELj4EiiiaaiEEvT3_20rocsparse_direction_NS_24const_host_device_scalarIT1_EES1_PKS1_PKT2_SA_S7_PKT4_PKT5_S5_PT6_21rocsparse_index_base_b ; -- Begin function _ZN9rocsparseL18bsrxmvn_4x4_kernelILj128ELj4EiiiaaiEEvT3_20rocsparse_direction_NS_24const_host_device_scalarIT1_EES1_PKS1_PKT2_SA_S7_PKT4_PKT5_S5_PT6_21rocsparse_index_base_b
	.p2align	8
	.type	_ZN9rocsparseL18bsrxmvn_4x4_kernelILj128ELj4EiiiaaiEEvT3_20rocsparse_direction_NS_24const_host_device_scalarIT1_EES1_PKS1_PKT2_SA_S7_PKT4_PKT5_S5_PT6_21rocsparse_index_base_b,@function
_ZN9rocsparseL18bsrxmvn_4x4_kernelILj128ELj4EiiiaaiEEvT3_20rocsparse_direction_NS_24const_host_device_scalarIT1_EES1_PKS1_PKT2_SA_S7_PKT4_PKT5_S5_PT6_21rocsparse_index_base_b: ; @_ZN9rocsparseL18bsrxmvn_4x4_kernelILj128ELj4EiiiaaiEEvT3_20rocsparse_direction_NS_24const_host_device_scalarIT1_EES1_PKS1_PKT2_SA_S7_PKT4_PKT5_S5_PT6_21rocsparse_index_base_b
; %bb.0:
	s_load_dwordx2 s[12:13], s[0:1], 0x58
	s_load_dwordx2 s[8:9], s[0:1], 0x8
	s_mov_b64 s[10:11], -1
	s_waitcnt lgkmcnt(0)
	s_bitcmp1_b32 s13, 0
	s_cselect_b64 s[4:5], -1, 0
	s_xor_b64 s[6:7], s[4:5], -1
	s_and_b64 vcc, exec, s[6:7]
                                        ; implicit-def: $sgpr13
	s_cbranch_vccnz .LBB60_4
; %bb.1:
	s_load_dwordx2 s[4:5], s[0:1], 0x48
	s_andn2_b64 vcc, exec, s[10:11]
	s_cbranch_vccz .LBB60_5
.LBB60_2:
	s_and_b64 vcc, exec, s[6:7]
	s_cbranch_vccz .LBB60_6
.LBB60_3:
	s_waitcnt lgkmcnt(0)
	s_load_dword s18, s[4:5], 0x0
	s_cbranch_execz .LBB60_7
	s_branch .LBB60_8
.LBB60_4:
	s_load_dword s13, s[8:9], 0x0
	s_load_dwordx2 s[4:5], s[0:1], 0x48
	s_cbranch_execnz .LBB60_2
.LBB60_5:
	s_waitcnt lgkmcnt(0)
	s_mov_b32 s13, s8
	s_and_b64 vcc, exec, s[6:7]
	s_cbranch_vccnz .LBB60_3
.LBB60_6:
                                        ; implicit-def: $sgpr18
.LBB60_7:
	s_waitcnt lgkmcnt(0)
	s_mov_b32 s18, s4
.LBB60_8:
	s_waitcnt lgkmcnt(0)
	s_cmp_lg_u32 s13, 0
	s_cselect_b64 s[4:5], -1, 0
	s_cmp_lg_u32 s18, 1
	s_cselect_b64 s[6:7], -1, 0
	s_or_b64 s[4:5], s[4:5], s[6:7]
	s_andn2_b64 vcc, exec, s[4:5]
	s_cbranch_vccnz .LBB60_14
; %bb.9:
	s_load_dwordx2 s[4:5], s[0:1], 0x18
	s_load_dwordx2 s[14:15], s[0:1], 0x0
	v_lshrrev_b32_e32 v1, 2, v0
	v_lshl_or_b32 v2, s2, 5, v1
	s_mov_b64 s[2:3], 0
	s_waitcnt lgkmcnt(0)
	s_cmp_lg_u64 s[4:5], 0
	s_cbranch_scc0 .LBB60_15
; %bb.10:
	s_load_dword s6, s[0:1], 0x10
                                        ; implicit-def: $vgpr1
	s_waitcnt lgkmcnt(0)
	v_cmp_gt_i32_e32 vcc, s6, v2
	s_and_saveexec_b64 s[6:7], vcc
	s_xor_b64 s[6:7], exec, s[6:7]
	s_cbranch_execz .LBB60_12
; %bb.11:
	v_ashrrev_i32_e32 v3, 31, v2
	v_lshl_add_u64 v[4:5], v[2:3], 2, s[4:5]
	global_load_dword v1, v[4:5], off
	s_mov_b64 s[2:3], exec
	s_waitcnt vmcnt(0)
	v_subrev_u32_e32 v1, s12, v1
.LBB60_12:
	s_or_b64 exec, exec, s[6:7]
	s_branch .LBB60_16
.LBB60_13:
	v_cmp_gt_i32_e32 vcc, s14, v2
	s_andn2_b64 s[2:3], s[2:3], exec
	s_and_b64 s[4:5], vcc, exec
	s_or_b64 s[2:3], s[2:3], s[4:5]
	s_and_saveexec_b64 s[4:5], s[2:3]
	s_cbranch_execnz .LBB60_17
.LBB60_14:
	s_endpgm
.LBB60_15:
                                        ; implicit-def: $vgpr1
	s_cbranch_execnz .LBB60_13
.LBB60_16:
	v_mov_b32_e32 v2, v1
	s_and_saveexec_b64 s[4:5], s[2:3]
	s_cbranch_execz .LBB60_14
.LBB60_17:
	s_load_dwordx8 s[4:11], s[0:1], 0x20
	v_ashrrev_i32_e32 v3, 31, v2
	v_lshlrev_b64 v[4:5], 2, v[2:3]
	v_and_b32_e32 v3, 3, v0
	s_waitcnt lgkmcnt(0)
	v_lshl_add_u64 v[6:7], s[4:5], 0, v[4:5]
	s_cmp_eq_u64 s[6:7], 0
	global_load_dword v15, v[6:7], off
	v_lshl_add_u64 v[6:7], v[6:7], 0, 4
	v_lshl_add_u64 v[4:5], s[6:7], 0, v[4:5]
	s_cselect_b64 vcc, -1, 0
	v_cndmask_b32_e32 v5, v5, v7, vcc
	v_cndmask_b32_e32 v4, v4, v6, vcc
	global_load_dword v1, v[4:5], off
	s_load_dwordx2 s[4:5], s[0:1], 0x40
	s_cmp_eq_u32 s15, 1
	s_waitcnt vmcnt(1)
	v_subrev_u32_e32 v0, s12, v15
	v_add_u32_e32 v4, v0, v3
	v_ashrrev_i32_e32 v5, 31, v4
	v_lshl_add_u64 v[6:7], v[4:5], 4, s[10:11]
	s_waitcnt vmcnt(0)
	v_subrev_u32_e32 v14, s12, v1
	v_cmp_lt_i32_e64 s[2:3], v4, v14
	s_cbranch_scc1 .LBB60_29
; %bb.18:
	v_mov_b32_e32 v9, 0
	v_mov_b32_e32 v8, 0
	;; [unrolled: 1-line block ×4, first 2 shown]
	s_and_saveexec_b64 s[6:7], s[2:3]
	s_cbranch_execz .LBB60_28
; %bb.19:
	v_add_u32_e32 v0, v15, v3
	v_subrev_u32_e32 v0, s12, v0
	v_add_u32_e32 v0, 4, v0
	v_max_i32_e32 v0, v0, v14
	v_not_b32_e32 v1, v15
	v_add3_u32 v0, s12, v0, v1
	v_sub_u32_e32 v5, v0, v3
	v_and_b32_e32 v0, 12, v5
	v_cmp_ne_u32_e32 vcc, 12, v0
	v_mov_b32_e32 v0, 0
	v_mov_b32_e32 v1, v0
	v_mov_b64_e32 v[8:9], v[0:1]
	v_mov_b32_e32 v10, v4
	v_mov_b64_e32 v[12:13], v[6:7]
	s_and_saveexec_b64 s[10:11], vcc
	s_cbranch_execz .LBB60_23
; %bb.20:
	v_lshrrev_b32_e32 v1, 2, v5
	v_add_u32_e32 v1, 1, v1
	v_and_b32_e32 v1, 3, v1
	v_sub_u32_e32 v16, 0, v1
	s_mov_b64 s[14:15], 0
	v_mov_b64_e32 v[12:13], v[6:7]
	v_mov_b32_e32 v10, v4
	v_mov_b32_e32 v1, 0
	;; [unrolled: 1-line block ×4, first 2 shown]
.LBB60_21:                              ; =>This Inner Loop Header: Depth=1
	v_ashrrev_i32_e32 v11, 31, v10
	v_lshl_add_u64 v[22:23], v[10:11], 2, s[8:9]
	global_load_dword v11, v[22:23], off
	global_load_dwordx4 v[18:21], v[12:13], off
	v_add_co_u32_e32 v16, vcc, 1, v16
	v_lshl_add_u64 v[12:13], v[12:13], 0, 64
	v_add_u32_e32 v10, 4, v10
	s_or_b64 s[14:15], vcc, s[14:15]
	s_waitcnt vmcnt(1)
	v_subrev_u32_e32 v11, s12, v11
	v_lshlrev_b32_e32 v22, 2, v11
	v_ashrrev_i32_e32 v23, 31, v22
	s_waitcnt lgkmcnt(0)
	v_lshl_add_u64 v[22:23], s[4:5], 0, v[22:23]
	global_load_dword v11, v[22:23], off
	s_waitcnt vmcnt(0)
	v_dot4c_i32_i8_e32 v1, v11, v19
	v_dot4c_i32_i8_e32 v0, v11, v18
	;; [unrolled: 1-line block ×4, first 2 shown]
	s_andn2_b64 exec, exec, s[14:15]
	s_cbranch_execnz .LBB60_21
; %bb.22:
	s_or_b64 exec, exec, s[14:15]
.LBB60_23:
	s_or_b64 exec, exec, s[10:11]
	v_cmp_lt_u32_e32 vcc, 11, v5
	s_and_saveexec_b64 s[10:11], vcc
	s_cbranch_execz .LBB60_27
; %bb.24:
	s_mov_b64 s[14:15], 0
	s_mov_b64 s[16:17], 0x100
.LBB60_25:                              ; =>This Inner Loop Header: Depth=1
	v_ashrrev_i32_e32 v11, 31, v10
	v_lshl_add_u64 v[32:33], v[10:11], 2, s[8:9]
	global_load_dword v5, v[32:33], off
	global_load_dword v11, v[32:33], off offset:16
	global_load_dword v34, v[32:33], off offset:32
	;; [unrolled: 1-line block ×3, first 2 shown]
	global_load_dwordx4 v[16:19], v[12:13], off
	global_load_dwordx4 v[20:23], v[12:13], off offset:64
	global_load_dwordx4 v[24:27], v[12:13], off offset:128
	;; [unrolled: 1-line block ×3, first 2 shown]
	v_add_u32_e32 v10, 16, v10
	v_cmp_ge_i32_e32 vcc, v10, v14
	v_lshl_add_u64 v[12:13], v[12:13], 0, s[16:17]
	s_or_b64 s[14:15], vcc, s[14:15]
	s_waitcnt vmcnt(7)
	v_subrev_u32_e32 v5, s12, v5
	s_waitcnt vmcnt(6)
	v_subrev_u32_e32 v11, s12, v11
	;; [unrolled: 2-line block ×4, first 2 shown]
	v_lshlrev_b32_e32 v32, 2, v5
	v_lshlrev_b32_e32 v34, 2, v11
	;; [unrolled: 1-line block ×4, first 2 shown]
	v_ashrrev_i32_e32 v33, 31, v32
	v_ashrrev_i32_e32 v35, 31, v34
	;; [unrolled: 1-line block ×4, first 2 shown]
	s_waitcnt lgkmcnt(0)
	v_lshl_add_u64 v[32:33], s[4:5], 0, v[32:33]
	v_lshl_add_u64 v[34:35], s[4:5], 0, v[34:35]
	;; [unrolled: 1-line block ×4, first 2 shown]
	global_load_dword v5, v[32:33], off
	global_load_dword v11, v[34:35], off
	;; [unrolled: 1-line block ×4, first 2 shown]
	s_waitcnt vmcnt(3)
	v_dot4c_i32_i8_e32 v0, v5, v16
	v_dot4c_i32_i8_e32 v1, v5, v17
	v_dot4c_i32_i8_e32 v8, v5, v18
	v_dot4c_i32_i8_e32 v9, v5, v19
	s_waitcnt vmcnt(2)
	v_dot4c_i32_i8_e32 v1, v11, v21
	v_dot4c_i32_i8_e32 v0, v11, v20
	v_dot4c_i32_i8_e32 v9, v11, v23
	v_dot4c_i32_i8_e32 v8, v11, v22
	;; [unrolled: 5-line block ×4, first 2 shown]
	s_andn2_b64 exec, exec, s[14:15]
	s_cbranch_execnz .LBB60_25
; %bb.26:
	s_or_b64 exec, exec, s[14:15]
.LBB60_27:
	s_or_b64 exec, exec, s[10:11]
.LBB60_28:
	s_or_b64 exec, exec, s[6:7]
	s_cbranch_execz .LBB60_30
	s_branch .LBB60_41
.LBB60_29:
                                        ; implicit-def: $vgpr9
                                        ; implicit-def: $vgpr1
.LBB60_30:
	v_mov_b32_e32 v9, 0
	v_mov_b32_e32 v8, 0
	;; [unrolled: 1-line block ×4, first 2 shown]
	s_and_saveexec_b64 s[6:7], s[2:3]
	s_cbranch_execz .LBB60_40
; %bb.31:
	v_add_u32_e32 v0, v15, v3
	v_subrev_u32_e32 v0, s12, v0
	v_add_u32_e32 v0, 4, v0
	v_max_i32_e32 v0, v0, v14
	v_not_b32_e32 v1, v15
	v_add3_u32 v0, s12, v0, v1
	v_sub_u32_e32 v10, v0, v3
	v_and_b32_e32 v0, 12, v10
	v_cmp_ne_u32_e32 vcc, 12, v0
	v_mov_b32_e32 v0, 0
	v_mov_b32_e32 v1, v0
	v_mov_b64_e32 v[8:9], v[0:1]
	s_and_saveexec_b64 s[2:3], vcc
	s_cbranch_execz .LBB60_35
; %bb.32:
	v_lshrrev_b32_e32 v1, 2, v10
	v_add_u32_e32 v1, 1, v1
	v_and_b32_e32 v1, 3, v1
	v_sub_u32_e32 v11, 0, v1
	s_mov_b64 s[10:11], 0
	s_mov_b32 s14, 0xc0c0501
	s_mov_b32 s15, 0x5010c0c
	;; [unrolled: 1-line block ×8, first 2 shown]
	v_mov_b32_e32 v1, 0
	v_mov_b32_e32 v8, 0
	;; [unrolled: 1-line block ×3, first 2 shown]
.LBB60_33:                              ; =>This Inner Loop Header: Depth=1
	v_ashrrev_i32_e32 v5, 31, v4
	v_lshl_add_u64 v[12:13], v[4:5], 2, s[8:9]
	global_load_dword v5, v[12:13], off
	global_load_dwordx4 v[16:19], v[6:7], off
	v_add_co_u32_e32 v11, vcc, 1, v11
	v_lshl_add_u64 v[6:7], v[6:7], 0, 64
	v_add_u32_e32 v4, 4, v4
	s_or_b64 s[10:11], vcc, s[10:11]
	s_waitcnt vmcnt(1)
	v_subrev_u32_e32 v5, s12, v5
	v_lshlrev_b32_e32 v12, 2, v5
	v_ashrrev_i32_e32 v13, 31, v12
	s_waitcnt lgkmcnt(0)
	v_lshl_add_u64 v[12:13], s[4:5], 0, v[12:13]
	global_load_dword v5, v[12:13], off
	s_waitcnt vmcnt(1)
	v_perm_b32 v12, v17, v16, s14
	v_perm_b32 v13, v19, v18, s15
	;; [unrolled: 1-line block ×8, first 2 shown]
	v_or_b32_e32 v12, v13, v12
	v_or_b32_e32 v13, v20, v15
	;; [unrolled: 1-line block ×4, first 2 shown]
	s_waitcnt vmcnt(0)
	v_dot4c_i32_i8_e32 v1, v5, v12
	v_dot4c_i32_i8_e32 v0, v5, v13
	;; [unrolled: 1-line block ×4, first 2 shown]
	s_andn2_b64 exec, exec, s[10:11]
	s_cbranch_execnz .LBB60_33
; %bb.34:
	s_or_b64 exec, exec, s[10:11]
.LBB60_35:
	s_or_b64 exec, exec, s[2:3]
	v_cmp_lt_u32_e32 vcc, 11, v10
	s_and_saveexec_b64 s[2:3], vcc
	s_cbranch_execz .LBB60_39
; %bb.36:
	s_mov_b64 s[10:11], 0
	s_mov_b32 s16, 0xc0c0400
	s_mov_b32 s17, 0x4000c0c
	;; [unrolled: 1-line block ×8, first 2 shown]
	s_mov_b64 s[14:15], 0x100
.LBB60_37:                              ; =>This Inner Loop Header: Depth=1
	v_ashrrev_i32_e32 v5, 31, v4
	v_lshl_add_u64 v[28:29], v[4:5], 2, s[8:9]
	global_load_dword v5, v[28:29], off
	global_load_dword v15, v[28:29], off offset:16
	global_load_dword v30, v[28:29], off offset:32
	;; [unrolled: 1-line block ×3, first 2 shown]
	global_load_dwordx4 v[10:13], v[6:7], off
	global_load_dwordx4 v[16:19], v[6:7], off offset:64
	global_load_dwordx4 v[20:23], v[6:7], off offset:128
	;; [unrolled: 1-line block ×3, first 2 shown]
	v_add_u32_e32 v4, 16, v4
	v_cmp_ge_i32_e32 vcc, v4, v14
	v_lshl_add_u64 v[6:7], v[6:7], 0, s[14:15]
	s_or_b64 s[10:11], vcc, s[10:11]
	s_waitcnt vmcnt(7)
	v_subrev_u32_e32 v5, s12, v5
	s_waitcnt vmcnt(6)
	v_subrev_u32_e32 v15, s12, v15
	;; [unrolled: 2-line block ×4, first 2 shown]
	v_lshlrev_b32_e32 v28, 2, v5
	v_lshlrev_b32_e32 v30, 2, v15
	;; [unrolled: 1-line block ×4, first 2 shown]
	v_ashrrev_i32_e32 v29, 31, v28
	v_ashrrev_i32_e32 v31, 31, v30
	;; [unrolled: 1-line block ×4, first 2 shown]
	s_waitcnt lgkmcnt(0)
	v_lshl_add_u64 v[28:29], s[4:5], 0, v[28:29]
	v_lshl_add_u64 v[30:31], s[4:5], 0, v[30:31]
	;; [unrolled: 1-line block ×4, first 2 shown]
	global_load_dword v5, v[28:29], off
	global_load_dword v15, v[30:31], off
	;; [unrolled: 1-line block ×4, first 2 shown]
	s_waitcnt vmcnt(7)
	v_perm_b32 v28, v11, v10, s16
	v_perm_b32 v29, v13, v12, s17
	v_perm_b32 v30, v11, v10, s19
	v_perm_b32 v31, v13, v12, s20
	v_perm_b32 v32, v11, v10, s21
	v_perm_b32 v33, v13, v12, s22
	v_perm_b32 v10, v11, v10, s23
	v_perm_b32 v11, v13, v12, s24
	s_waitcnt vmcnt(6)
	v_perm_b32 v12, v17, v16, s19
	v_perm_b32 v13, v19, v18, s20
	v_perm_b32 v34, v17, v16, s16
	v_perm_b32 v35, v19, v18, s17
	v_perm_b32 v38, v17, v16, s23
	v_perm_b32 v39, v19, v18, s24
	v_perm_b32 v16, v17, v16, s21
	v_perm_b32 v17, v19, v18, s22
	;; [unrolled: 9-line block ×4, first 2 shown]
	v_or_b32_e32 v26, v29, v28
	v_or_b32_e32 v27, v31, v30
	;; [unrolled: 1-line block ×16, first 2 shown]
	s_waitcnt vmcnt(3)
	v_dot4c_i32_i8_e32 v0, v5, v26
	v_dot4c_i32_i8_e32 v1, v5, v27
	v_dot4c_i32_i8_e32 v8, v5, v28
	v_dot4c_i32_i8_e32 v9, v5, v10
	s_waitcnt vmcnt(2)
	v_dot4c_i32_i8_e32 v1, v15, v11
	v_dot4c_i32_i8_e32 v0, v15, v12
	v_dot4c_i32_i8_e32 v9, v15, v13
	v_dot4c_i32_i8_e32 v8, v15, v16
	;; [unrolled: 5-line block ×4, first 2 shown]
	s_andn2_b64 exec, exec, s[10:11]
	s_cbranch_execnz .LBB60_37
; %bb.38:
	s_or_b64 exec, exec, s[10:11]
.LBB60_39:
	s_or_b64 exec, exec, s[2:3]
.LBB60_40:
	s_or_b64 exec, exec, s[6:7]
.LBB60_41:
	v_mov_b32_dpp v4, v0 row_shr:1 row_mask:0xf bank_mask:0xf
	v_mov_b32_dpp v5, v1 row_shr:1 row_mask:0xf bank_mask:0xf
	v_mov_b32_dpp v7, v8 row_shr:1 row_mask:0xf bank_mask:0xf
	v_mov_b32_dpp v6, v9 row_shr:1 row_mask:0xf bank_mask:0xf
	v_add_u32_e32 v1, v5, v1
	v_add_u32_e32 v0, v4, v0
	;; [unrolled: 1-line block ×4, first 2 shown]
	v_mov_b32_dpp v4, v0 row_shr:2 row_mask:0xf bank_mask:0xf
	v_mov_b32_dpp v5, v1 row_shr:2 row_mask:0xf bank_mask:0xf
	;; [unrolled: 1-line block ×4, first 2 shown]
	v_cmp_eq_u32_e32 vcc, 3, v3
	s_and_b64 exec, exec, vcc
	s_cbranch_execz .LBB60_14
; %bb.42:
	s_load_dwordx2 s[0:1], s[0:1], 0x50
	v_add_u32_e32 v1, v1, v5
	v_add_u32_e32 v0, v0, v4
	;; [unrolled: 1-line block ×4, first 2 shown]
	s_cmp_eq_u32 s18, 0
	v_lshlrev_b32_e32 v4, 2, v2
	v_mul_lo_u32 v0, v0, s13
	v_mul_lo_u32 v8, v1, s13
	;; [unrolled: 1-line block ×4, first 2 shown]
	s_cbranch_scc1 .LBB60_44
; %bb.43:
	v_ashrrev_i32_e32 v5, 31, v4
	s_waitcnt lgkmcnt(0)
	v_lshl_add_u64 v[14:15], v[4:5], 2, s[0:1]
	global_load_dwordx4 v[10:13], v[14:15], off
	s_waitcnt vmcnt(0)
	v_mad_u64_u32 v[16:17], s[2:3], v11, s18, v[8:9]
	v_mad_u64_u32 v[10:11], s[2:3], v10, s18, v[0:1]
	;; [unrolled: 1-line block ×4, first 2 shown]
	v_mov_b32_e32 v11, v16
	v_mov_b32_e32 v13, v18
	global_store_dwordx4 v[14:15], v[10:13], off
	s_cbranch_execnz .LBB60_14
	s_branch .LBB60_45
.LBB60_44:
.LBB60_45:
	v_ashrrev_i32_e32 v5, 31, v4
	s_waitcnt lgkmcnt(0)
	v_lshl_add_u64 v[4:5], v[4:5], 2, s[0:1]
	v_mov_b32_e32 v1, v8
	v_mov_b32_e32 v3, v6
	global_store_dwordx4 v[4:5], v[0:3], off
	s_endpgm
	.section	.rodata,"a",@progbits
	.p2align	6, 0x0
	.amdhsa_kernel _ZN9rocsparseL18bsrxmvn_4x4_kernelILj128ELj4EiiiaaiEEvT3_20rocsparse_direction_NS_24const_host_device_scalarIT1_EES1_PKS1_PKT2_SA_S7_PKT4_PKT5_S5_PT6_21rocsparse_index_base_b
		.amdhsa_group_segment_fixed_size 0
		.amdhsa_private_segment_fixed_size 0
		.amdhsa_kernarg_size 96
		.amdhsa_user_sgpr_count 2
		.amdhsa_user_sgpr_dispatch_ptr 0
		.amdhsa_user_sgpr_queue_ptr 0
		.amdhsa_user_sgpr_kernarg_segment_ptr 1
		.amdhsa_user_sgpr_dispatch_id 0
		.amdhsa_user_sgpr_kernarg_preload_length 0
		.amdhsa_user_sgpr_kernarg_preload_offset 0
		.amdhsa_user_sgpr_private_segment_size 0
		.amdhsa_uses_dynamic_stack 0
		.amdhsa_enable_private_segment 0
		.amdhsa_system_sgpr_workgroup_id_x 1
		.amdhsa_system_sgpr_workgroup_id_y 0
		.amdhsa_system_sgpr_workgroup_id_z 0
		.amdhsa_system_sgpr_workgroup_info 0
		.amdhsa_system_vgpr_workitem_id 0
		.amdhsa_next_free_vgpr 48
		.amdhsa_next_free_sgpr 25
		.amdhsa_accum_offset 48
		.amdhsa_reserve_vcc 1
		.amdhsa_float_round_mode_32 0
		.amdhsa_float_round_mode_16_64 0
		.amdhsa_float_denorm_mode_32 3
		.amdhsa_float_denorm_mode_16_64 3
		.amdhsa_dx10_clamp 1
		.amdhsa_ieee_mode 1
		.amdhsa_fp16_overflow 0
		.amdhsa_tg_split 0
		.amdhsa_exception_fp_ieee_invalid_op 0
		.amdhsa_exception_fp_denorm_src 0
		.amdhsa_exception_fp_ieee_div_zero 0
		.amdhsa_exception_fp_ieee_overflow 0
		.amdhsa_exception_fp_ieee_underflow 0
		.amdhsa_exception_fp_ieee_inexact 0
		.amdhsa_exception_int_div_zero 0
	.end_amdhsa_kernel
	.section	.text._ZN9rocsparseL18bsrxmvn_4x4_kernelILj128ELj4EiiiaaiEEvT3_20rocsparse_direction_NS_24const_host_device_scalarIT1_EES1_PKS1_PKT2_SA_S7_PKT4_PKT5_S5_PT6_21rocsparse_index_base_b,"axG",@progbits,_ZN9rocsparseL18bsrxmvn_4x4_kernelILj128ELj4EiiiaaiEEvT3_20rocsparse_direction_NS_24const_host_device_scalarIT1_EES1_PKS1_PKT2_SA_S7_PKT4_PKT5_S5_PT6_21rocsparse_index_base_b,comdat
.Lfunc_end60:
	.size	_ZN9rocsparseL18bsrxmvn_4x4_kernelILj128ELj4EiiiaaiEEvT3_20rocsparse_direction_NS_24const_host_device_scalarIT1_EES1_PKS1_PKT2_SA_S7_PKT4_PKT5_S5_PT6_21rocsparse_index_base_b, .Lfunc_end60-_ZN9rocsparseL18bsrxmvn_4x4_kernelILj128ELj4EiiiaaiEEvT3_20rocsparse_direction_NS_24const_host_device_scalarIT1_EES1_PKS1_PKT2_SA_S7_PKT4_PKT5_S5_PT6_21rocsparse_index_base_b
                                        ; -- End function
	.set _ZN9rocsparseL18bsrxmvn_4x4_kernelILj128ELj4EiiiaaiEEvT3_20rocsparse_direction_NS_24const_host_device_scalarIT1_EES1_PKS1_PKT2_SA_S7_PKT4_PKT5_S5_PT6_21rocsparse_index_base_b.num_vgpr, 48
	.set _ZN9rocsparseL18bsrxmvn_4x4_kernelILj128ELj4EiiiaaiEEvT3_20rocsparse_direction_NS_24const_host_device_scalarIT1_EES1_PKS1_PKT2_SA_S7_PKT4_PKT5_S5_PT6_21rocsparse_index_base_b.num_agpr, 0
	.set _ZN9rocsparseL18bsrxmvn_4x4_kernelILj128ELj4EiiiaaiEEvT3_20rocsparse_direction_NS_24const_host_device_scalarIT1_EES1_PKS1_PKT2_SA_S7_PKT4_PKT5_S5_PT6_21rocsparse_index_base_b.numbered_sgpr, 25
	.set _ZN9rocsparseL18bsrxmvn_4x4_kernelILj128ELj4EiiiaaiEEvT3_20rocsparse_direction_NS_24const_host_device_scalarIT1_EES1_PKS1_PKT2_SA_S7_PKT4_PKT5_S5_PT6_21rocsparse_index_base_b.num_named_barrier, 0
	.set _ZN9rocsparseL18bsrxmvn_4x4_kernelILj128ELj4EiiiaaiEEvT3_20rocsparse_direction_NS_24const_host_device_scalarIT1_EES1_PKS1_PKT2_SA_S7_PKT4_PKT5_S5_PT6_21rocsparse_index_base_b.private_seg_size, 0
	.set _ZN9rocsparseL18bsrxmvn_4x4_kernelILj128ELj4EiiiaaiEEvT3_20rocsparse_direction_NS_24const_host_device_scalarIT1_EES1_PKS1_PKT2_SA_S7_PKT4_PKT5_S5_PT6_21rocsparse_index_base_b.uses_vcc, 1
	.set _ZN9rocsparseL18bsrxmvn_4x4_kernelILj128ELj4EiiiaaiEEvT3_20rocsparse_direction_NS_24const_host_device_scalarIT1_EES1_PKS1_PKT2_SA_S7_PKT4_PKT5_S5_PT6_21rocsparse_index_base_b.uses_flat_scratch, 0
	.set _ZN9rocsparseL18bsrxmvn_4x4_kernelILj128ELj4EiiiaaiEEvT3_20rocsparse_direction_NS_24const_host_device_scalarIT1_EES1_PKS1_PKT2_SA_S7_PKT4_PKT5_S5_PT6_21rocsparse_index_base_b.has_dyn_sized_stack, 0
	.set _ZN9rocsparseL18bsrxmvn_4x4_kernelILj128ELj4EiiiaaiEEvT3_20rocsparse_direction_NS_24const_host_device_scalarIT1_EES1_PKS1_PKT2_SA_S7_PKT4_PKT5_S5_PT6_21rocsparse_index_base_b.has_recursion, 0
	.set _ZN9rocsparseL18bsrxmvn_4x4_kernelILj128ELj4EiiiaaiEEvT3_20rocsparse_direction_NS_24const_host_device_scalarIT1_EES1_PKS1_PKT2_SA_S7_PKT4_PKT5_S5_PT6_21rocsparse_index_base_b.has_indirect_call, 0
	.section	.AMDGPU.csdata,"",@progbits
; Kernel info:
; codeLenInByte = 2488
; TotalNumSgprs: 31
; NumVgprs: 48
; NumAgprs: 0
; TotalNumVgprs: 48
; ScratchSize: 0
; MemoryBound: 0
; FloatMode: 240
; IeeeMode: 1
; LDSByteSize: 0 bytes/workgroup (compile time only)
; SGPRBlocks: 3
; VGPRBlocks: 5
; NumSGPRsForWavesPerEU: 31
; NumVGPRsForWavesPerEU: 48
; AccumOffset: 48
; Occupancy: 8
; WaveLimiterHint : 1
; COMPUTE_PGM_RSRC2:SCRATCH_EN: 0
; COMPUTE_PGM_RSRC2:USER_SGPR: 2
; COMPUTE_PGM_RSRC2:TRAP_HANDLER: 0
; COMPUTE_PGM_RSRC2:TGID_X_EN: 1
; COMPUTE_PGM_RSRC2:TGID_Y_EN: 0
; COMPUTE_PGM_RSRC2:TGID_Z_EN: 0
; COMPUTE_PGM_RSRC2:TIDIG_COMP_CNT: 0
; COMPUTE_PGM_RSRC3_GFX90A:ACCUM_OFFSET: 11
; COMPUTE_PGM_RSRC3_GFX90A:TG_SPLIT: 0
	.section	.text._ZN9rocsparseL18bsrxmvn_4x4_kernelILj128ELj8EiiiaaiEEvT3_20rocsparse_direction_NS_24const_host_device_scalarIT1_EES1_PKS1_PKT2_SA_S7_PKT4_PKT5_S5_PT6_21rocsparse_index_base_b,"axG",@progbits,_ZN9rocsparseL18bsrxmvn_4x4_kernelILj128ELj8EiiiaaiEEvT3_20rocsparse_direction_NS_24const_host_device_scalarIT1_EES1_PKS1_PKT2_SA_S7_PKT4_PKT5_S5_PT6_21rocsparse_index_base_b,comdat
	.globl	_ZN9rocsparseL18bsrxmvn_4x4_kernelILj128ELj8EiiiaaiEEvT3_20rocsparse_direction_NS_24const_host_device_scalarIT1_EES1_PKS1_PKT2_SA_S7_PKT4_PKT5_S5_PT6_21rocsparse_index_base_b ; -- Begin function _ZN9rocsparseL18bsrxmvn_4x4_kernelILj128ELj8EiiiaaiEEvT3_20rocsparse_direction_NS_24const_host_device_scalarIT1_EES1_PKS1_PKT2_SA_S7_PKT4_PKT5_S5_PT6_21rocsparse_index_base_b
	.p2align	8
	.type	_ZN9rocsparseL18bsrxmvn_4x4_kernelILj128ELj8EiiiaaiEEvT3_20rocsparse_direction_NS_24const_host_device_scalarIT1_EES1_PKS1_PKT2_SA_S7_PKT4_PKT5_S5_PT6_21rocsparse_index_base_b,@function
_ZN9rocsparseL18bsrxmvn_4x4_kernelILj128ELj8EiiiaaiEEvT3_20rocsparse_direction_NS_24const_host_device_scalarIT1_EES1_PKS1_PKT2_SA_S7_PKT4_PKT5_S5_PT6_21rocsparse_index_base_b: ; @_ZN9rocsparseL18bsrxmvn_4x4_kernelILj128ELj8EiiiaaiEEvT3_20rocsparse_direction_NS_24const_host_device_scalarIT1_EES1_PKS1_PKT2_SA_S7_PKT4_PKT5_S5_PT6_21rocsparse_index_base_b
; %bb.0:
	s_load_dwordx2 s[12:13], s[0:1], 0x58
	s_load_dwordx2 s[8:9], s[0:1], 0x8
	s_mov_b64 s[10:11], -1
	s_waitcnt lgkmcnt(0)
	s_bitcmp1_b32 s13, 0
	s_cselect_b64 s[4:5], -1, 0
	s_xor_b64 s[6:7], s[4:5], -1
	s_and_b64 vcc, exec, s[6:7]
                                        ; implicit-def: $sgpr13
	s_cbranch_vccnz .LBB61_4
; %bb.1:
	s_load_dwordx2 s[4:5], s[0:1], 0x48
	s_andn2_b64 vcc, exec, s[10:11]
	s_cbranch_vccz .LBB61_5
.LBB61_2:
	s_and_b64 vcc, exec, s[6:7]
	s_cbranch_vccz .LBB61_6
.LBB61_3:
	s_waitcnt lgkmcnt(0)
	s_load_dword s18, s[4:5], 0x0
	s_cbranch_execz .LBB61_7
	s_branch .LBB61_8
.LBB61_4:
	s_load_dword s13, s[8:9], 0x0
	s_load_dwordx2 s[4:5], s[0:1], 0x48
	s_cbranch_execnz .LBB61_2
.LBB61_5:
	s_waitcnt lgkmcnt(0)
	s_mov_b32 s13, s8
	s_and_b64 vcc, exec, s[6:7]
	s_cbranch_vccnz .LBB61_3
.LBB61_6:
                                        ; implicit-def: $sgpr18
.LBB61_7:
	s_waitcnt lgkmcnt(0)
	s_mov_b32 s18, s4
.LBB61_8:
	s_waitcnt lgkmcnt(0)
	s_cmp_lg_u32 s13, 0
	s_cselect_b64 s[4:5], -1, 0
	s_cmp_lg_u32 s18, 1
	s_cselect_b64 s[6:7], -1, 0
	s_or_b64 s[4:5], s[4:5], s[6:7]
	s_andn2_b64 vcc, exec, s[4:5]
	s_cbranch_vccnz .LBB61_14
; %bb.9:
	s_load_dwordx2 s[4:5], s[0:1], 0x18
	s_load_dwordx2 s[14:15], s[0:1], 0x0
	v_lshrrev_b32_e32 v1, 3, v0
	v_lshl_or_b32 v2, s2, 4, v1
	s_mov_b64 s[2:3], 0
	s_waitcnt lgkmcnt(0)
	s_cmp_lg_u64 s[4:5], 0
	s_cbranch_scc0 .LBB61_15
; %bb.10:
	s_load_dword s6, s[0:1], 0x10
                                        ; implicit-def: $vgpr1
	s_waitcnt lgkmcnt(0)
	v_cmp_gt_i32_e32 vcc, s6, v2
	s_and_saveexec_b64 s[6:7], vcc
	s_xor_b64 s[6:7], exec, s[6:7]
	s_cbranch_execz .LBB61_12
; %bb.11:
	v_ashrrev_i32_e32 v3, 31, v2
	v_lshl_add_u64 v[4:5], v[2:3], 2, s[4:5]
	global_load_dword v1, v[4:5], off
	s_mov_b64 s[2:3], exec
	s_waitcnt vmcnt(0)
	v_subrev_u32_e32 v1, s12, v1
.LBB61_12:
	s_or_b64 exec, exec, s[6:7]
	s_branch .LBB61_16
.LBB61_13:
	v_cmp_gt_i32_e32 vcc, s14, v2
	s_andn2_b64 s[2:3], s[2:3], exec
	s_and_b64 s[4:5], vcc, exec
	s_or_b64 s[2:3], s[2:3], s[4:5]
	s_and_saveexec_b64 s[4:5], s[2:3]
	s_cbranch_execnz .LBB61_17
.LBB61_14:
	s_endpgm
.LBB61_15:
                                        ; implicit-def: $vgpr1
	s_cbranch_execnz .LBB61_13
.LBB61_16:
	v_mov_b32_e32 v2, v1
	s_and_saveexec_b64 s[4:5], s[2:3]
	s_cbranch_execz .LBB61_14
.LBB61_17:
	s_load_dwordx8 s[4:11], s[0:1], 0x20
	v_ashrrev_i32_e32 v3, 31, v2
	v_lshlrev_b64 v[4:5], 2, v[2:3]
	v_and_b32_e32 v3, 7, v0
	s_waitcnt lgkmcnt(0)
	v_lshl_add_u64 v[6:7], s[4:5], 0, v[4:5]
	s_cmp_eq_u64 s[6:7], 0
	global_load_dword v15, v[6:7], off
	v_lshl_add_u64 v[6:7], v[6:7], 0, 4
	v_lshl_add_u64 v[4:5], s[6:7], 0, v[4:5]
	s_cselect_b64 vcc, -1, 0
	v_cndmask_b32_e32 v5, v5, v7, vcc
	v_cndmask_b32_e32 v4, v4, v6, vcc
	global_load_dword v1, v[4:5], off
	s_load_dwordx2 s[4:5], s[0:1], 0x40
	s_cmp_eq_u32 s15, 1
	s_waitcnt vmcnt(1)
	v_subrev_u32_e32 v0, s12, v15
	v_add_u32_e32 v4, v0, v3
	v_ashrrev_i32_e32 v5, 31, v4
	v_lshl_add_u64 v[6:7], v[4:5], 4, s[10:11]
	s_waitcnt vmcnt(0)
	v_subrev_u32_e32 v14, s12, v1
	v_cmp_lt_i32_e64 s[2:3], v4, v14
	s_cbranch_scc1 .LBB61_29
; %bb.18:
	v_mov_b32_e32 v9, 0
	v_mov_b32_e32 v8, 0
	;; [unrolled: 1-line block ×4, first 2 shown]
	s_and_saveexec_b64 s[6:7], s[2:3]
	s_cbranch_execz .LBB61_28
; %bb.19:
	v_add_u32_e32 v0, v15, v3
	v_subrev_u32_e32 v0, s12, v0
	v_add_u32_e32 v0, 8, v0
	v_max_i32_e32 v0, v0, v14
	v_not_b32_e32 v1, v15
	v_add3_u32 v0, s12, v0, v1
	v_sub_u32_e32 v5, v0, v3
	v_and_b32_e32 v0, 24, v5
	v_cmp_ne_u32_e32 vcc, 24, v0
	v_mov_b32_e32 v0, 0
	v_mov_b32_e32 v1, v0
	v_mov_b64_e32 v[8:9], v[0:1]
	v_mov_b32_e32 v10, v4
	v_mov_b64_e32 v[12:13], v[6:7]
	s_and_saveexec_b64 s[10:11], vcc
	s_cbranch_execz .LBB61_23
; %bb.20:
	v_lshrrev_b32_e32 v1, 3, v5
	v_add_u32_e32 v1, 1, v1
	v_and_b32_e32 v1, 3, v1
	v_sub_u32_e32 v16, 0, v1
	s_mov_b64 s[14:15], 0
	s_mov_b64 s[16:17], 0x80
	v_mov_b64_e32 v[12:13], v[6:7]
	v_mov_b32_e32 v10, v4
	v_mov_b32_e32 v1, 0
	;; [unrolled: 1-line block ×4, first 2 shown]
.LBB61_21:                              ; =>This Inner Loop Header: Depth=1
	v_ashrrev_i32_e32 v11, 31, v10
	v_lshl_add_u64 v[22:23], v[10:11], 2, s[8:9]
	global_load_dword v11, v[22:23], off
	global_load_dwordx4 v[18:21], v[12:13], off
	v_add_co_u32_e32 v16, vcc, 1, v16
	v_lshl_add_u64 v[12:13], v[12:13], 0, s[16:17]
	v_add_u32_e32 v10, 8, v10
	s_or_b64 s[14:15], vcc, s[14:15]
	s_waitcnt vmcnt(1)
	v_subrev_u32_e32 v11, s12, v11
	v_lshlrev_b32_e32 v22, 2, v11
	v_ashrrev_i32_e32 v23, 31, v22
	s_waitcnt lgkmcnt(0)
	v_lshl_add_u64 v[22:23], s[4:5], 0, v[22:23]
	global_load_dword v11, v[22:23], off
	s_waitcnt vmcnt(0)
	v_dot4c_i32_i8_e32 v1, v11, v19
	v_dot4c_i32_i8_e32 v0, v11, v18
	;; [unrolled: 1-line block ×4, first 2 shown]
	s_andn2_b64 exec, exec, s[14:15]
	s_cbranch_execnz .LBB61_21
; %bb.22:
	s_or_b64 exec, exec, s[14:15]
.LBB61_23:
	s_or_b64 exec, exec, s[10:11]
	v_cmp_lt_u32_e32 vcc, 23, v5
	s_and_saveexec_b64 s[10:11], vcc
	s_cbranch_execz .LBB61_27
; %bb.24:
	s_mov_b64 s[14:15], 0
	s_mov_b64 s[16:17], 0x200
.LBB61_25:                              ; =>This Inner Loop Header: Depth=1
	v_ashrrev_i32_e32 v11, 31, v10
	v_lshl_add_u64 v[32:33], v[10:11], 2, s[8:9]
	global_load_dword v5, v[32:33], off
	global_load_dword v11, v[32:33], off offset:32
	global_load_dword v34, v[32:33], off offset:64
	;; [unrolled: 1-line block ×3, first 2 shown]
	global_load_dwordx4 v[16:19], v[12:13], off
	global_load_dwordx4 v[20:23], v[12:13], off offset:128
	global_load_dwordx4 v[24:27], v[12:13], off offset:256
	global_load_dwordx4 v[28:31], v[12:13], off offset:384
	v_add_u32_e32 v10, 32, v10
	v_cmp_ge_i32_e32 vcc, v10, v14
	v_lshl_add_u64 v[12:13], v[12:13], 0, s[16:17]
	s_or_b64 s[14:15], vcc, s[14:15]
	s_waitcnt vmcnt(7)
	v_subrev_u32_e32 v5, s12, v5
	s_waitcnt vmcnt(6)
	v_subrev_u32_e32 v11, s12, v11
	;; [unrolled: 2-line block ×4, first 2 shown]
	v_lshlrev_b32_e32 v32, 2, v5
	v_lshlrev_b32_e32 v34, 2, v11
	;; [unrolled: 1-line block ×4, first 2 shown]
	v_ashrrev_i32_e32 v33, 31, v32
	v_ashrrev_i32_e32 v35, 31, v34
	;; [unrolled: 1-line block ×4, first 2 shown]
	s_waitcnt lgkmcnt(0)
	v_lshl_add_u64 v[32:33], s[4:5], 0, v[32:33]
	v_lshl_add_u64 v[34:35], s[4:5], 0, v[34:35]
	;; [unrolled: 1-line block ×4, first 2 shown]
	global_load_dword v5, v[32:33], off
	global_load_dword v11, v[34:35], off
	;; [unrolled: 1-line block ×4, first 2 shown]
	s_waitcnt vmcnt(3)
	v_dot4c_i32_i8_e32 v0, v5, v16
	v_dot4c_i32_i8_e32 v1, v5, v17
	v_dot4c_i32_i8_e32 v8, v5, v18
	v_dot4c_i32_i8_e32 v9, v5, v19
	s_waitcnt vmcnt(2)
	v_dot4c_i32_i8_e32 v1, v11, v21
	v_dot4c_i32_i8_e32 v0, v11, v20
	v_dot4c_i32_i8_e32 v9, v11, v23
	v_dot4c_i32_i8_e32 v8, v11, v22
	;; [unrolled: 5-line block ×4, first 2 shown]
	s_andn2_b64 exec, exec, s[14:15]
	s_cbranch_execnz .LBB61_25
; %bb.26:
	s_or_b64 exec, exec, s[14:15]
.LBB61_27:
	s_or_b64 exec, exec, s[10:11]
.LBB61_28:
	s_or_b64 exec, exec, s[6:7]
	s_cbranch_execz .LBB61_30
	s_branch .LBB61_41
.LBB61_29:
                                        ; implicit-def: $vgpr9
                                        ; implicit-def: $vgpr1
.LBB61_30:
	v_mov_b32_e32 v9, 0
	v_mov_b32_e32 v8, 0
	;; [unrolled: 1-line block ×4, first 2 shown]
	s_and_saveexec_b64 s[6:7], s[2:3]
	s_cbranch_execz .LBB61_40
; %bb.31:
	v_add_u32_e32 v0, v15, v3
	v_subrev_u32_e32 v0, s12, v0
	v_add_u32_e32 v0, 8, v0
	v_max_i32_e32 v0, v0, v14
	v_not_b32_e32 v1, v15
	v_add3_u32 v0, s12, v0, v1
	v_sub_u32_e32 v10, v0, v3
	v_and_b32_e32 v0, 24, v10
	v_cmp_ne_u32_e32 vcc, 24, v0
	v_mov_b32_e32 v0, 0
	v_mov_b32_e32 v1, v0
	v_mov_b64_e32 v[8:9], v[0:1]
	s_and_saveexec_b64 s[2:3], vcc
	s_cbranch_execz .LBB61_35
; %bb.32:
	v_lshrrev_b32_e32 v1, 3, v10
	v_add_u32_e32 v1, 1, v1
	v_and_b32_e32 v1, 3, v1
	v_sub_u32_e32 v11, 0, v1
	s_mov_b64 s[10:11], 0
	s_mov_b32 s16, 0xc0c0501
	s_mov_b32 s17, 0x5010c0c
	s_mov_b32 s19, 0xc0c0400
	s_mov_b32 s20, 0x4000c0c
	s_mov_b32 s21, 0xc0c0703
	s_mov_b32 s22, 0x7030c0c
	s_mov_b32 s23, 0xc0c0602
	s_mov_b32 s24, 0x6020c0c
	s_mov_b64 s[14:15], 0x80
	v_mov_b32_e32 v1, 0
	v_mov_b32_e32 v8, 0
	v_mov_b32_e32 v9, 0
.LBB61_33:                              ; =>This Inner Loop Header: Depth=1
	v_ashrrev_i32_e32 v5, 31, v4
	v_lshl_add_u64 v[12:13], v[4:5], 2, s[8:9]
	global_load_dword v5, v[12:13], off
	global_load_dwordx4 v[16:19], v[6:7], off
	v_add_co_u32_e32 v11, vcc, 1, v11
	v_lshl_add_u64 v[6:7], v[6:7], 0, s[14:15]
	v_add_u32_e32 v4, 8, v4
	s_or_b64 s[10:11], vcc, s[10:11]
	s_waitcnt vmcnt(1)
	v_subrev_u32_e32 v5, s12, v5
	v_lshlrev_b32_e32 v12, 2, v5
	v_ashrrev_i32_e32 v13, 31, v12
	s_waitcnt lgkmcnt(0)
	v_lshl_add_u64 v[12:13], s[4:5], 0, v[12:13]
	global_load_dword v5, v[12:13], off
	s_waitcnt vmcnt(1)
	v_perm_b32 v12, v17, v16, s16
	v_perm_b32 v13, v19, v18, s17
	;; [unrolled: 1-line block ×8, first 2 shown]
	v_or_b32_e32 v12, v13, v12
	v_or_b32_e32 v13, v20, v15
	;; [unrolled: 1-line block ×4, first 2 shown]
	s_waitcnt vmcnt(0)
	v_dot4c_i32_i8_e32 v1, v5, v12
	v_dot4c_i32_i8_e32 v0, v5, v13
	;; [unrolled: 1-line block ×4, first 2 shown]
	s_andn2_b64 exec, exec, s[10:11]
	s_cbranch_execnz .LBB61_33
; %bb.34:
	s_or_b64 exec, exec, s[10:11]
.LBB61_35:
	s_or_b64 exec, exec, s[2:3]
	v_cmp_lt_u32_e32 vcc, 23, v10
	s_and_saveexec_b64 s[2:3], vcc
	s_cbranch_execz .LBB61_39
; %bb.36:
	s_mov_b64 s[10:11], 0
	s_mov_b32 s16, 0xc0c0400
	s_mov_b32 s17, 0x4000c0c
	;; [unrolled: 1-line block ×8, first 2 shown]
	s_mov_b64 s[14:15], 0x200
.LBB61_37:                              ; =>This Inner Loop Header: Depth=1
	v_ashrrev_i32_e32 v5, 31, v4
	v_lshl_add_u64 v[28:29], v[4:5], 2, s[8:9]
	global_load_dword v5, v[28:29], off
	global_load_dword v15, v[28:29], off offset:32
	global_load_dword v30, v[28:29], off offset:64
	;; [unrolled: 1-line block ×3, first 2 shown]
	global_load_dwordx4 v[10:13], v[6:7], off
	global_load_dwordx4 v[16:19], v[6:7], off offset:128
	global_load_dwordx4 v[20:23], v[6:7], off offset:256
	;; [unrolled: 1-line block ×3, first 2 shown]
	v_add_u32_e32 v4, 32, v4
	v_cmp_ge_i32_e32 vcc, v4, v14
	v_lshl_add_u64 v[6:7], v[6:7], 0, s[14:15]
	s_or_b64 s[10:11], vcc, s[10:11]
	s_waitcnt vmcnt(7)
	v_subrev_u32_e32 v5, s12, v5
	s_waitcnt vmcnt(6)
	v_subrev_u32_e32 v15, s12, v15
	;; [unrolled: 2-line block ×4, first 2 shown]
	v_lshlrev_b32_e32 v28, 2, v5
	v_lshlrev_b32_e32 v30, 2, v15
	;; [unrolled: 1-line block ×4, first 2 shown]
	v_ashrrev_i32_e32 v29, 31, v28
	v_ashrrev_i32_e32 v31, 31, v30
	v_ashrrev_i32_e32 v33, 31, v32
	v_ashrrev_i32_e32 v35, 31, v34
	s_waitcnt lgkmcnt(0)
	v_lshl_add_u64 v[28:29], s[4:5], 0, v[28:29]
	v_lshl_add_u64 v[30:31], s[4:5], 0, v[30:31]
	;; [unrolled: 1-line block ×4, first 2 shown]
	global_load_dword v5, v[28:29], off
	global_load_dword v15, v[30:31], off
	;; [unrolled: 1-line block ×4, first 2 shown]
	s_waitcnt vmcnt(7)
	v_perm_b32 v28, v11, v10, s16
	v_perm_b32 v29, v13, v12, s17
	v_perm_b32 v30, v11, v10, s19
	v_perm_b32 v31, v13, v12, s20
	v_perm_b32 v32, v11, v10, s21
	v_perm_b32 v33, v13, v12, s22
	v_perm_b32 v10, v11, v10, s23
	v_perm_b32 v11, v13, v12, s24
	s_waitcnt vmcnt(6)
	v_perm_b32 v12, v17, v16, s19
	v_perm_b32 v13, v19, v18, s20
	v_perm_b32 v34, v17, v16, s16
	v_perm_b32 v35, v19, v18, s17
	v_perm_b32 v38, v17, v16, s23
	v_perm_b32 v39, v19, v18, s24
	v_perm_b32 v16, v17, v16, s21
	v_perm_b32 v17, v19, v18, s22
	;; [unrolled: 9-line block ×4, first 2 shown]
	v_or_b32_e32 v26, v29, v28
	v_or_b32_e32 v27, v31, v30
	;; [unrolled: 1-line block ×16, first 2 shown]
	s_waitcnt vmcnt(3)
	v_dot4c_i32_i8_e32 v0, v5, v26
	v_dot4c_i32_i8_e32 v1, v5, v27
	v_dot4c_i32_i8_e32 v8, v5, v28
	v_dot4c_i32_i8_e32 v9, v5, v10
	s_waitcnt vmcnt(2)
	v_dot4c_i32_i8_e32 v1, v15, v11
	v_dot4c_i32_i8_e32 v0, v15, v12
	v_dot4c_i32_i8_e32 v9, v15, v13
	v_dot4c_i32_i8_e32 v8, v15, v16
	;; [unrolled: 5-line block ×4, first 2 shown]
	s_andn2_b64 exec, exec, s[10:11]
	s_cbranch_execnz .LBB61_37
; %bb.38:
	s_or_b64 exec, exec, s[10:11]
.LBB61_39:
	s_or_b64 exec, exec, s[2:3]
.LBB61_40:
	s_or_b64 exec, exec, s[6:7]
.LBB61_41:
	v_mov_b32_dpp v4, v0 row_shr:1 row_mask:0xf bank_mask:0xf
	v_mov_b32_dpp v5, v1 row_shr:1 row_mask:0xf bank_mask:0xf
	;; [unrolled: 1-line block ×4, first 2 shown]
	v_add_u32_e32 v1, v5, v1
	v_add_u32_e32 v4, v4, v0
	v_add_u32_e32 v7, v7, v9
	v_add_u32_e32 v8, v6, v8
	v_mov_b32_dpp v5, v4 row_shr:2 row_mask:0xf bank_mask:0xf
	v_mov_b32_dpp v0, v1 row_shr:2 row_mask:0xf bank_mask:0xf
	;; [unrolled: 1-line block ×4, first 2 shown]
	v_add_u32_e32 v0, v1, v0
	v_add_u32_e32 v1, v4, v5
	;; [unrolled: 1-line block ×4, first 2 shown]
	v_mov_b32_dpp v4, v1 row_shr:4 row_mask:0xf bank_mask:0xe
	v_mov_b32_dpp v5, v0 row_shr:4 row_mask:0xf bank_mask:0xe
	;; [unrolled: 1-line block ×4, first 2 shown]
	v_cmp_eq_u32_e32 vcc, 7, v3
	s_and_b64 exec, exec, vcc
	s_cbranch_execz .LBB61_14
; %bb.42:
	s_load_dwordx2 s[0:1], s[0:1], 0x50
	v_add_u32_e32 v3, v0, v5
	v_add_u32_e32 v0, v1, v4
	;; [unrolled: 1-line block ×4, first 2 shown]
	s_cmp_eq_u32 s18, 0
	v_lshlrev_b32_e32 v4, 2, v2
	v_mul_lo_u32 v0, v0, s13
	v_mul_lo_u32 v8, v3, s13
	v_mul_lo_u32 v2, v5, s13
	v_mul_lo_u32 v6, v1, s13
	s_cbranch_scc1 .LBB61_44
; %bb.43:
	v_ashrrev_i32_e32 v5, 31, v4
	s_waitcnt lgkmcnt(0)
	v_lshl_add_u64 v[14:15], v[4:5], 2, s[0:1]
	global_load_dwordx4 v[10:13], v[14:15], off
	s_waitcnt vmcnt(0)
	v_mad_u64_u32 v[16:17], s[2:3], v11, s18, v[8:9]
	v_mad_u64_u32 v[10:11], s[2:3], v10, s18, v[0:1]
	;; [unrolled: 1-line block ×4, first 2 shown]
	v_mov_b32_e32 v11, v16
	v_mov_b32_e32 v13, v18
	global_store_dwordx4 v[14:15], v[10:13], off
	s_cbranch_execnz .LBB61_14
	s_branch .LBB61_45
.LBB61_44:
.LBB61_45:
	v_ashrrev_i32_e32 v5, 31, v4
	s_waitcnt lgkmcnt(0)
	v_lshl_add_u64 v[4:5], v[4:5], 2, s[0:1]
	v_mov_b32_e32 v1, v8
	v_mov_b32_e32 v3, v6
	global_store_dwordx4 v[4:5], v[0:3], off
	s_endpgm
	.section	.rodata,"a",@progbits
	.p2align	6, 0x0
	.amdhsa_kernel _ZN9rocsparseL18bsrxmvn_4x4_kernelILj128ELj8EiiiaaiEEvT3_20rocsparse_direction_NS_24const_host_device_scalarIT1_EES1_PKS1_PKT2_SA_S7_PKT4_PKT5_S5_PT6_21rocsparse_index_base_b
		.amdhsa_group_segment_fixed_size 0
		.amdhsa_private_segment_fixed_size 0
		.amdhsa_kernarg_size 96
		.amdhsa_user_sgpr_count 2
		.amdhsa_user_sgpr_dispatch_ptr 0
		.amdhsa_user_sgpr_queue_ptr 0
		.amdhsa_user_sgpr_kernarg_segment_ptr 1
		.amdhsa_user_sgpr_dispatch_id 0
		.amdhsa_user_sgpr_kernarg_preload_length 0
		.amdhsa_user_sgpr_kernarg_preload_offset 0
		.amdhsa_user_sgpr_private_segment_size 0
		.amdhsa_uses_dynamic_stack 0
		.amdhsa_enable_private_segment 0
		.amdhsa_system_sgpr_workgroup_id_x 1
		.amdhsa_system_sgpr_workgroup_id_y 0
		.amdhsa_system_sgpr_workgroup_id_z 0
		.amdhsa_system_sgpr_workgroup_info 0
		.amdhsa_system_vgpr_workitem_id 0
		.amdhsa_next_free_vgpr 48
		.amdhsa_next_free_sgpr 25
		.amdhsa_accum_offset 48
		.amdhsa_reserve_vcc 1
		.amdhsa_float_round_mode_32 0
		.amdhsa_float_round_mode_16_64 0
		.amdhsa_float_denorm_mode_32 3
		.amdhsa_float_denorm_mode_16_64 3
		.amdhsa_dx10_clamp 1
		.amdhsa_ieee_mode 1
		.amdhsa_fp16_overflow 0
		.amdhsa_tg_split 0
		.amdhsa_exception_fp_ieee_invalid_op 0
		.amdhsa_exception_fp_denorm_src 0
		.amdhsa_exception_fp_ieee_div_zero 0
		.amdhsa_exception_fp_ieee_overflow 0
		.amdhsa_exception_fp_ieee_underflow 0
		.amdhsa_exception_fp_ieee_inexact 0
		.amdhsa_exception_int_div_zero 0
	.end_amdhsa_kernel
	.section	.text._ZN9rocsparseL18bsrxmvn_4x4_kernelILj128ELj8EiiiaaiEEvT3_20rocsparse_direction_NS_24const_host_device_scalarIT1_EES1_PKS1_PKT2_SA_S7_PKT4_PKT5_S5_PT6_21rocsparse_index_base_b,"axG",@progbits,_ZN9rocsparseL18bsrxmvn_4x4_kernelILj128ELj8EiiiaaiEEvT3_20rocsparse_direction_NS_24const_host_device_scalarIT1_EES1_PKS1_PKT2_SA_S7_PKT4_PKT5_S5_PT6_21rocsparse_index_base_b,comdat
.Lfunc_end61:
	.size	_ZN9rocsparseL18bsrxmvn_4x4_kernelILj128ELj8EiiiaaiEEvT3_20rocsparse_direction_NS_24const_host_device_scalarIT1_EES1_PKS1_PKT2_SA_S7_PKT4_PKT5_S5_PT6_21rocsparse_index_base_b, .Lfunc_end61-_ZN9rocsparseL18bsrxmvn_4x4_kernelILj128ELj8EiiiaaiEEvT3_20rocsparse_direction_NS_24const_host_device_scalarIT1_EES1_PKS1_PKT2_SA_S7_PKT4_PKT5_S5_PT6_21rocsparse_index_base_b
                                        ; -- End function
	.set _ZN9rocsparseL18bsrxmvn_4x4_kernelILj128ELj8EiiiaaiEEvT3_20rocsparse_direction_NS_24const_host_device_scalarIT1_EES1_PKS1_PKT2_SA_S7_PKT4_PKT5_S5_PT6_21rocsparse_index_base_b.num_vgpr, 48
	.set _ZN9rocsparseL18bsrxmvn_4x4_kernelILj128ELj8EiiiaaiEEvT3_20rocsparse_direction_NS_24const_host_device_scalarIT1_EES1_PKS1_PKT2_SA_S7_PKT4_PKT5_S5_PT6_21rocsparse_index_base_b.num_agpr, 0
	.set _ZN9rocsparseL18bsrxmvn_4x4_kernelILj128ELj8EiiiaaiEEvT3_20rocsparse_direction_NS_24const_host_device_scalarIT1_EES1_PKS1_PKT2_SA_S7_PKT4_PKT5_S5_PT6_21rocsparse_index_base_b.numbered_sgpr, 25
	.set _ZN9rocsparseL18bsrxmvn_4x4_kernelILj128ELj8EiiiaaiEEvT3_20rocsparse_direction_NS_24const_host_device_scalarIT1_EES1_PKS1_PKT2_SA_S7_PKT4_PKT5_S5_PT6_21rocsparse_index_base_b.num_named_barrier, 0
	.set _ZN9rocsparseL18bsrxmvn_4x4_kernelILj128ELj8EiiiaaiEEvT3_20rocsparse_direction_NS_24const_host_device_scalarIT1_EES1_PKS1_PKT2_SA_S7_PKT4_PKT5_S5_PT6_21rocsparse_index_base_b.private_seg_size, 0
	.set _ZN9rocsparseL18bsrxmvn_4x4_kernelILj128ELj8EiiiaaiEEvT3_20rocsparse_direction_NS_24const_host_device_scalarIT1_EES1_PKS1_PKT2_SA_S7_PKT4_PKT5_S5_PT6_21rocsparse_index_base_b.uses_vcc, 1
	.set _ZN9rocsparseL18bsrxmvn_4x4_kernelILj128ELj8EiiiaaiEEvT3_20rocsparse_direction_NS_24const_host_device_scalarIT1_EES1_PKS1_PKT2_SA_S7_PKT4_PKT5_S5_PT6_21rocsparse_index_base_b.uses_flat_scratch, 0
	.set _ZN9rocsparseL18bsrxmvn_4x4_kernelILj128ELj8EiiiaaiEEvT3_20rocsparse_direction_NS_24const_host_device_scalarIT1_EES1_PKS1_PKT2_SA_S7_PKT4_PKT5_S5_PT6_21rocsparse_index_base_b.has_dyn_sized_stack, 0
	.set _ZN9rocsparseL18bsrxmvn_4x4_kernelILj128ELj8EiiiaaiEEvT3_20rocsparse_direction_NS_24const_host_device_scalarIT1_EES1_PKS1_PKT2_SA_S7_PKT4_PKT5_S5_PT6_21rocsparse_index_base_b.has_recursion, 0
	.set _ZN9rocsparseL18bsrxmvn_4x4_kernelILj128ELj8EiiiaaiEEvT3_20rocsparse_direction_NS_24const_host_device_scalarIT1_EES1_PKS1_PKT2_SA_S7_PKT4_PKT5_S5_PT6_21rocsparse_index_base_b.has_indirect_call, 0
	.section	.AMDGPU.csdata,"",@progbits
; Kernel info:
; codeLenInByte = 2552
; TotalNumSgprs: 31
; NumVgprs: 48
; NumAgprs: 0
; TotalNumVgprs: 48
; ScratchSize: 0
; MemoryBound: 0
; FloatMode: 240
; IeeeMode: 1
; LDSByteSize: 0 bytes/workgroup (compile time only)
; SGPRBlocks: 3
; VGPRBlocks: 5
; NumSGPRsForWavesPerEU: 31
; NumVGPRsForWavesPerEU: 48
; AccumOffset: 48
; Occupancy: 8
; WaveLimiterHint : 1
; COMPUTE_PGM_RSRC2:SCRATCH_EN: 0
; COMPUTE_PGM_RSRC2:USER_SGPR: 2
; COMPUTE_PGM_RSRC2:TRAP_HANDLER: 0
; COMPUTE_PGM_RSRC2:TGID_X_EN: 1
; COMPUTE_PGM_RSRC2:TGID_Y_EN: 0
; COMPUTE_PGM_RSRC2:TGID_Z_EN: 0
; COMPUTE_PGM_RSRC2:TIDIG_COMP_CNT: 0
; COMPUTE_PGM_RSRC3_GFX90A:ACCUM_OFFSET: 11
; COMPUTE_PGM_RSRC3_GFX90A:TG_SPLIT: 0
	.section	.text._ZN9rocsparseL18bsrxmvn_4x4_kernelILj128ELj16EiiiaaiEEvT3_20rocsparse_direction_NS_24const_host_device_scalarIT1_EES1_PKS1_PKT2_SA_S7_PKT4_PKT5_S5_PT6_21rocsparse_index_base_b,"axG",@progbits,_ZN9rocsparseL18bsrxmvn_4x4_kernelILj128ELj16EiiiaaiEEvT3_20rocsparse_direction_NS_24const_host_device_scalarIT1_EES1_PKS1_PKT2_SA_S7_PKT4_PKT5_S5_PT6_21rocsparse_index_base_b,comdat
	.globl	_ZN9rocsparseL18bsrxmvn_4x4_kernelILj128ELj16EiiiaaiEEvT3_20rocsparse_direction_NS_24const_host_device_scalarIT1_EES1_PKS1_PKT2_SA_S7_PKT4_PKT5_S5_PT6_21rocsparse_index_base_b ; -- Begin function _ZN9rocsparseL18bsrxmvn_4x4_kernelILj128ELj16EiiiaaiEEvT3_20rocsparse_direction_NS_24const_host_device_scalarIT1_EES1_PKS1_PKT2_SA_S7_PKT4_PKT5_S5_PT6_21rocsparse_index_base_b
	.p2align	8
	.type	_ZN9rocsparseL18bsrxmvn_4x4_kernelILj128ELj16EiiiaaiEEvT3_20rocsparse_direction_NS_24const_host_device_scalarIT1_EES1_PKS1_PKT2_SA_S7_PKT4_PKT5_S5_PT6_21rocsparse_index_base_b,@function
_ZN9rocsparseL18bsrxmvn_4x4_kernelILj128ELj16EiiiaaiEEvT3_20rocsparse_direction_NS_24const_host_device_scalarIT1_EES1_PKS1_PKT2_SA_S7_PKT4_PKT5_S5_PT6_21rocsparse_index_base_b: ; @_ZN9rocsparseL18bsrxmvn_4x4_kernelILj128ELj16EiiiaaiEEvT3_20rocsparse_direction_NS_24const_host_device_scalarIT1_EES1_PKS1_PKT2_SA_S7_PKT4_PKT5_S5_PT6_21rocsparse_index_base_b
; %bb.0:
	s_load_dwordx2 s[12:13], s[0:1], 0x58
	s_load_dwordx2 s[8:9], s[0:1], 0x8
	s_mov_b64 s[10:11], -1
	s_waitcnt lgkmcnt(0)
	s_bitcmp1_b32 s13, 0
	s_cselect_b64 s[4:5], -1, 0
	s_xor_b64 s[6:7], s[4:5], -1
	s_and_b64 vcc, exec, s[6:7]
                                        ; implicit-def: $sgpr13
	s_cbranch_vccnz .LBB62_4
; %bb.1:
	s_load_dwordx2 s[4:5], s[0:1], 0x48
	s_andn2_b64 vcc, exec, s[10:11]
	s_cbranch_vccz .LBB62_5
.LBB62_2:
	s_and_b64 vcc, exec, s[6:7]
	s_cbranch_vccz .LBB62_6
.LBB62_3:
	s_waitcnt lgkmcnt(0)
	s_load_dword s18, s[4:5], 0x0
	s_cbranch_execz .LBB62_7
	s_branch .LBB62_8
.LBB62_4:
	s_load_dword s13, s[8:9], 0x0
	s_load_dwordx2 s[4:5], s[0:1], 0x48
	s_cbranch_execnz .LBB62_2
.LBB62_5:
	s_waitcnt lgkmcnt(0)
	s_mov_b32 s13, s8
	s_and_b64 vcc, exec, s[6:7]
	s_cbranch_vccnz .LBB62_3
.LBB62_6:
                                        ; implicit-def: $sgpr18
.LBB62_7:
	s_waitcnt lgkmcnt(0)
	s_mov_b32 s18, s4
.LBB62_8:
	s_waitcnt lgkmcnt(0)
	s_cmp_lg_u32 s13, 0
	s_cselect_b64 s[4:5], -1, 0
	s_cmp_lg_u32 s18, 1
	s_cselect_b64 s[6:7], -1, 0
	s_or_b64 s[4:5], s[4:5], s[6:7]
	s_andn2_b64 vcc, exec, s[4:5]
	s_cbranch_vccnz .LBB62_14
; %bb.9:
	s_load_dwordx2 s[4:5], s[0:1], 0x18
	s_load_dwordx2 s[14:15], s[0:1], 0x0
	v_lshrrev_b32_e32 v1, 4, v0
	v_lshl_or_b32 v4, s2, 3, v1
	s_mov_b64 s[2:3], 0
	s_waitcnt lgkmcnt(0)
	s_cmp_lg_u64 s[4:5], 0
	s_cbranch_scc0 .LBB62_15
; %bb.10:
	s_load_dword s6, s[0:1], 0x10
                                        ; implicit-def: $vgpr1
	s_waitcnt lgkmcnt(0)
	v_cmp_gt_i32_e32 vcc, s6, v4
	s_and_saveexec_b64 s[6:7], vcc
	s_xor_b64 s[6:7], exec, s[6:7]
	s_cbranch_execz .LBB62_12
; %bb.11:
	v_ashrrev_i32_e32 v5, 31, v4
	v_lshl_add_u64 v[2:3], v[4:5], 2, s[4:5]
	global_load_dword v1, v[2:3], off
	s_mov_b64 s[2:3], exec
	s_waitcnt vmcnt(0)
	v_subrev_u32_e32 v1, s12, v1
.LBB62_12:
	s_or_b64 exec, exec, s[6:7]
	s_branch .LBB62_16
.LBB62_13:
	v_cmp_gt_i32_e32 vcc, s14, v4
	s_andn2_b64 s[2:3], s[2:3], exec
	s_and_b64 s[4:5], vcc, exec
	s_or_b64 s[2:3], s[2:3], s[4:5]
	s_and_saveexec_b64 s[4:5], s[2:3]
	s_cbranch_execnz .LBB62_17
.LBB62_14:
	s_endpgm
.LBB62_15:
                                        ; implicit-def: $vgpr1
	s_cbranch_execnz .LBB62_13
.LBB62_16:
	v_mov_b32_e32 v4, v1
	s_and_saveexec_b64 s[4:5], s[2:3]
	s_cbranch_execz .LBB62_14
.LBB62_17:
	s_load_dwordx8 s[4:11], s[0:1], 0x20
	v_ashrrev_i32_e32 v5, 31, v4
	v_lshlrev_b64 v[2:3], 2, v[4:5]
	v_and_b32_e32 v5, 15, v0
	s_waitcnt lgkmcnt(0)
	v_lshl_add_u64 v[6:7], s[4:5], 0, v[2:3]
	s_cmp_eq_u64 s[6:7], 0
	global_load_dword v15, v[6:7], off
	v_lshl_add_u64 v[6:7], v[6:7], 0, 4
	v_lshl_add_u64 v[2:3], s[6:7], 0, v[2:3]
	s_cselect_b64 vcc, -1, 0
	v_cndmask_b32_e32 v3, v3, v7, vcc
	v_cndmask_b32_e32 v2, v2, v6, vcc
	global_load_dword v1, v[2:3], off
	s_load_dwordx2 s[4:5], s[0:1], 0x40
	s_cmp_eq_u32 s15, 1
	s_waitcnt vmcnt(1)
	v_subrev_u32_e32 v0, s12, v15
	v_add_u32_e32 v6, v0, v5
	v_ashrrev_i32_e32 v7, 31, v6
	v_lshl_add_u64 v[8:9], v[6:7], 4, s[10:11]
	s_waitcnt vmcnt(0)
	v_subrev_u32_e32 v14, s12, v1
	v_cmp_lt_i32_e64 s[2:3], v6, v14
	s_cbranch_scc1 .LBB62_29
; %bb.18:
	v_mov_b32_e32 v3, 0
	v_mov_b32_e32 v2, 0
	;; [unrolled: 1-line block ×4, first 2 shown]
	s_and_saveexec_b64 s[6:7], s[2:3]
	s_cbranch_execz .LBB62_28
; %bb.19:
	v_add_u32_e32 v0, v15, v5
	v_subrev_u32_e32 v0, s12, v0
	v_add_u32_e32 v0, 16, v0
	v_max_i32_e32 v0, v0, v14
	v_not_b32_e32 v1, v15
	v_add3_u32 v0, s12, v0, v1
	v_sub_u32_e32 v7, v0, v5
	v_and_b32_e32 v0, 48, v7
	v_cmp_ne_u32_e32 vcc, 48, v0
	v_mov_b32_e32 v0, 0
	v_mov_b32_e32 v1, v0
	;; [unrolled: 1-line block ×5, first 2 shown]
	v_mov_b64_e32 v[12:13], v[8:9]
	s_and_saveexec_b64 s[10:11], vcc
	s_cbranch_execz .LBB62_23
; %bb.20:
	v_lshrrev_b32_e32 v1, 4, v7
	v_add_u32_e32 v1, 1, v1
	v_and_b32_e32 v1, 3, v1
	v_sub_u32_e32 v16, 0, v1
	s_mov_b64 s[14:15], 0
	s_mov_b64 s[16:17], 0x100
	v_mov_b64_e32 v[12:13], v[8:9]
	v_mov_b32_e32 v10, v6
	v_mov_b32_e32 v1, 0
	;; [unrolled: 1-line block ×4, first 2 shown]
.LBB62_21:                              ; =>This Inner Loop Header: Depth=1
	v_ashrrev_i32_e32 v11, 31, v10
	v_lshl_add_u64 v[22:23], v[10:11], 2, s[8:9]
	global_load_dword v11, v[22:23], off
	global_load_dwordx4 v[18:21], v[12:13], off
	v_add_co_u32_e32 v16, vcc, 1, v16
	v_lshl_add_u64 v[12:13], v[12:13], 0, s[16:17]
	v_add_u32_e32 v10, 16, v10
	s_or_b64 s[14:15], vcc, s[14:15]
	s_waitcnt vmcnt(1)
	v_subrev_u32_e32 v11, s12, v11
	v_lshlrev_b32_e32 v22, 2, v11
	v_ashrrev_i32_e32 v23, 31, v22
	s_waitcnt lgkmcnt(0)
	v_lshl_add_u64 v[22:23], s[4:5], 0, v[22:23]
	global_load_dword v11, v[22:23], off
	s_waitcnt vmcnt(0)
	v_dot4c_i32_i8_e32 v3, v11, v21
	v_dot4c_i32_i8_e32 v2, v11, v20
	;; [unrolled: 1-line block ×4, first 2 shown]
	s_andn2_b64 exec, exec, s[14:15]
	s_cbranch_execnz .LBB62_21
; %bb.22:
	s_or_b64 exec, exec, s[14:15]
.LBB62_23:
	s_or_b64 exec, exec, s[10:11]
	v_cmp_lt_u32_e32 vcc, 47, v7
	s_and_saveexec_b64 s[10:11], vcc
	s_cbranch_execz .LBB62_27
; %bb.24:
	s_mov_b64 s[14:15], 0
	s_mov_b64 s[16:17], 0x400
.LBB62_25:                              ; =>This Inner Loop Header: Depth=1
	v_ashrrev_i32_e32 v11, 31, v10
	v_lshl_add_u64 v[32:33], v[10:11], 2, s[8:9]
	global_load_dword v7, v[32:33], off
	global_load_dword v11, v[32:33], off offset:64
	global_load_dword v34, v[32:33], off offset:128
	;; [unrolled: 1-line block ×3, first 2 shown]
	global_load_dwordx4 v[16:19], v[12:13], off
	global_load_dwordx4 v[20:23], v[12:13], off offset:256
	global_load_dwordx4 v[24:27], v[12:13], off offset:512
	;; [unrolled: 1-line block ×3, first 2 shown]
	v_add_u32_e32 v10, 64, v10
	v_cmp_ge_i32_e32 vcc, v10, v14
	v_lshl_add_u64 v[12:13], v[12:13], 0, s[16:17]
	s_or_b64 s[14:15], vcc, s[14:15]
	s_waitcnt vmcnt(7)
	v_subrev_u32_e32 v7, s12, v7
	s_waitcnt vmcnt(6)
	v_subrev_u32_e32 v11, s12, v11
	;; [unrolled: 2-line block ×4, first 2 shown]
	v_lshlrev_b32_e32 v32, 2, v7
	v_lshlrev_b32_e32 v34, 2, v11
	;; [unrolled: 1-line block ×4, first 2 shown]
	v_ashrrev_i32_e32 v33, 31, v32
	v_ashrrev_i32_e32 v35, 31, v34
	;; [unrolled: 1-line block ×4, first 2 shown]
	s_waitcnt lgkmcnt(0)
	v_lshl_add_u64 v[32:33], s[4:5], 0, v[32:33]
	v_lshl_add_u64 v[34:35], s[4:5], 0, v[34:35]
	;; [unrolled: 1-line block ×4, first 2 shown]
	global_load_dword v7, v[32:33], off
	global_load_dword v11, v[34:35], off
	;; [unrolled: 1-line block ×4, first 2 shown]
	s_waitcnt vmcnt(3)
	v_dot4c_i32_i8_e32 v0, v7, v16
	v_dot4c_i32_i8_e32 v1, v7, v17
	v_dot4c_i32_i8_e32 v2, v7, v18
	v_dot4c_i32_i8_e32 v3, v7, v19
	s_waitcnt vmcnt(2)
	v_dot4c_i32_i8_e32 v3, v11, v23
	v_dot4c_i32_i8_e32 v2, v11, v22
	v_dot4c_i32_i8_e32 v1, v11, v21
	v_dot4c_i32_i8_e32 v0, v11, v20
	;; [unrolled: 5-line block ×4, first 2 shown]
	s_andn2_b64 exec, exec, s[14:15]
	s_cbranch_execnz .LBB62_25
; %bb.26:
	s_or_b64 exec, exec, s[14:15]
.LBB62_27:
	s_or_b64 exec, exec, s[10:11]
.LBB62_28:
	s_or_b64 exec, exec, s[6:7]
	s_cbranch_execz .LBB62_30
	s_branch .LBB62_41
.LBB62_29:
                                        ; implicit-def: $vgpr3
                                        ; implicit-def: $vgpr0
                                        ; implicit-def: $vgpr1
                                        ; implicit-def: $vgpr2
.LBB62_30:
	v_mov_b32_e32 v3, 0
	v_mov_b32_e32 v2, 0
	;; [unrolled: 1-line block ×4, first 2 shown]
	s_and_saveexec_b64 s[6:7], s[2:3]
	s_cbranch_execz .LBB62_40
; %bb.31:
	v_add_u32_e32 v0, v15, v5
	v_subrev_u32_e32 v0, s12, v0
	v_add_u32_e32 v0, 16, v0
	v_max_i32_e32 v0, v0, v14
	v_not_b32_e32 v1, v15
	v_add3_u32 v0, s12, v0, v1
	v_sub_u32_e32 v10, v0, v5
	v_and_b32_e32 v0, 48, v10
	v_cmp_ne_u32_e32 vcc, 48, v0
	v_mov_b32_e32 v0, 0
	v_mov_b32_e32 v1, v0
	;; [unrolled: 1-line block ×4, first 2 shown]
	s_and_saveexec_b64 s[2:3], vcc
	s_cbranch_execz .LBB62_35
; %bb.32:
	v_lshrrev_b32_e32 v1, 4, v10
	v_add_u32_e32 v1, 1, v1
	v_and_b32_e32 v1, 3, v1
	v_sub_u32_e32 v11, 0, v1
	s_mov_b64 s[10:11], 0
	s_mov_b32 s16, 0xc0c0703
	s_mov_b32 s17, 0x7030c0c
	;; [unrolled: 1-line block ×8, first 2 shown]
	s_mov_b64 s[14:15], 0x100
	v_mov_b32_e32 v1, 0
	v_mov_b32_e32 v2, 0
	;; [unrolled: 1-line block ×3, first 2 shown]
.LBB62_33:                              ; =>This Inner Loop Header: Depth=1
	v_ashrrev_i32_e32 v7, 31, v6
	v_lshl_add_u64 v[12:13], v[6:7], 2, s[8:9]
	global_load_dword v7, v[12:13], off
	global_load_dwordx4 v[16:19], v[8:9], off
	v_add_co_u32_e32 v11, vcc, 1, v11
	v_lshl_add_u64 v[8:9], v[8:9], 0, s[14:15]
	v_add_u32_e32 v6, 16, v6
	s_or_b64 s[10:11], vcc, s[10:11]
	s_waitcnt vmcnt(1)
	v_subrev_u32_e32 v7, s12, v7
	v_lshlrev_b32_e32 v12, 2, v7
	v_ashrrev_i32_e32 v13, 31, v12
	s_waitcnt lgkmcnt(0)
	v_lshl_add_u64 v[12:13], s[4:5], 0, v[12:13]
	global_load_dword v7, v[12:13], off
	s_waitcnt vmcnt(1)
	v_perm_b32 v12, v17, v16, s16
	v_perm_b32 v13, v19, v18, s17
	;; [unrolled: 1-line block ×8, first 2 shown]
	v_or_b32_e32 v12, v13, v12
	v_or_b32_e32 v13, v20, v15
	;; [unrolled: 1-line block ×4, first 2 shown]
	s_waitcnt vmcnt(0)
	v_dot4c_i32_i8_e32 v3, v7, v12
	v_dot4c_i32_i8_e32 v2, v7, v13
	;; [unrolled: 1-line block ×4, first 2 shown]
	s_andn2_b64 exec, exec, s[10:11]
	s_cbranch_execnz .LBB62_33
; %bb.34:
	s_or_b64 exec, exec, s[10:11]
.LBB62_35:
	s_or_b64 exec, exec, s[2:3]
	v_cmp_lt_u32_e32 vcc, 47, v10
	s_and_saveexec_b64 s[2:3], vcc
	s_cbranch_execz .LBB62_39
; %bb.36:
	s_mov_b64 s[10:11], 0
	s_mov_b32 s16, 0xc0c0400
	s_mov_b32 s17, 0x4000c0c
	;; [unrolled: 1-line block ×8, first 2 shown]
	s_mov_b64 s[14:15], 0x400
.LBB62_37:                              ; =>This Inner Loop Header: Depth=1
	v_ashrrev_i32_e32 v7, 31, v6
	v_lshl_add_u64 v[28:29], v[6:7], 2, s[8:9]
	global_load_dword v7, v[28:29], off
	global_load_dword v15, v[28:29], off offset:64
	global_load_dword v30, v[28:29], off offset:128
	;; [unrolled: 1-line block ×3, first 2 shown]
	global_load_dwordx4 v[10:13], v[8:9], off
	global_load_dwordx4 v[16:19], v[8:9], off offset:256
	global_load_dwordx4 v[20:23], v[8:9], off offset:512
	;; [unrolled: 1-line block ×3, first 2 shown]
	v_add_u32_e32 v6, 64, v6
	v_cmp_ge_i32_e32 vcc, v6, v14
	v_lshl_add_u64 v[8:9], v[8:9], 0, s[14:15]
	s_or_b64 s[10:11], vcc, s[10:11]
	s_waitcnt vmcnt(7)
	v_subrev_u32_e32 v7, s12, v7
	s_waitcnt vmcnt(6)
	v_subrev_u32_e32 v15, s12, v15
	;; [unrolled: 2-line block ×4, first 2 shown]
	v_lshlrev_b32_e32 v28, 2, v7
	v_lshlrev_b32_e32 v30, 2, v15
	;; [unrolled: 1-line block ×4, first 2 shown]
	v_ashrrev_i32_e32 v29, 31, v28
	v_ashrrev_i32_e32 v31, 31, v30
	;; [unrolled: 1-line block ×4, first 2 shown]
	s_waitcnt lgkmcnt(0)
	v_lshl_add_u64 v[28:29], s[4:5], 0, v[28:29]
	v_lshl_add_u64 v[30:31], s[4:5], 0, v[30:31]
	;; [unrolled: 1-line block ×4, first 2 shown]
	global_load_dword v7, v[28:29], off
	global_load_dword v15, v[30:31], off
	;; [unrolled: 1-line block ×4, first 2 shown]
	s_waitcnt vmcnt(7)
	v_perm_b32 v28, v11, v10, s16
	v_perm_b32 v29, v13, v12, s17
	v_perm_b32 v30, v11, v10, s19
	v_perm_b32 v31, v13, v12, s20
	v_perm_b32 v32, v11, v10, s21
	v_perm_b32 v33, v13, v12, s22
	v_perm_b32 v10, v11, v10, s23
	v_perm_b32 v11, v13, v12, s24
	s_waitcnt vmcnt(6)
	v_perm_b32 v12, v17, v16, s23
	v_perm_b32 v13, v19, v18, s24
	v_perm_b32 v34, v17, v16, s21
	v_perm_b32 v35, v19, v18, s22
	v_perm_b32 v38, v17, v16, s19
	v_perm_b32 v39, v19, v18, s20
	v_perm_b32 v16, v17, v16, s16
	v_perm_b32 v17, v19, v18, s17
	;; [unrolled: 9-line block ×4, first 2 shown]
	v_or_b32_e32 v26, v29, v28
	v_or_b32_e32 v27, v31, v30
	;; [unrolled: 1-line block ×16, first 2 shown]
	s_waitcnt vmcnt(3)
	v_dot4c_i32_i8_e32 v0, v7, v26
	v_dot4c_i32_i8_e32 v1, v7, v27
	v_dot4c_i32_i8_e32 v2, v7, v28
	v_dot4c_i32_i8_e32 v3, v7, v10
	s_waitcnt vmcnt(2)
	v_dot4c_i32_i8_e32 v3, v15, v11
	v_dot4c_i32_i8_e32 v2, v15, v12
	v_dot4c_i32_i8_e32 v1, v15, v13
	v_dot4c_i32_i8_e32 v0, v15, v16
	;; [unrolled: 5-line block ×4, first 2 shown]
	s_andn2_b64 exec, exec, s[10:11]
	s_cbranch_execnz .LBB62_37
; %bb.38:
	s_or_b64 exec, exec, s[10:11]
.LBB62_39:
	s_or_b64 exec, exec, s[2:3]
.LBB62_40:
	s_or_b64 exec, exec, s[6:7]
.LBB62_41:
	v_mov_b32_dpp v6, v0 row_shr:1 row_mask:0xf bank_mask:0xf
	v_mov_b32_dpp v7, v1 row_shr:1 row_mask:0xf bank_mask:0xf
	v_mov_b32_dpp v8, v2 row_shr:1 row_mask:0xf bank_mask:0xf
	v_mov_b32_dpp v9, v3 row_shr:1 row_mask:0xf bank_mask:0xf
	v_add_u32_e32 v3, v9, v3
	v_add_u32_e32 v2, v8, v2
	v_add_u32_e32 v1, v7, v1
	v_add_u32_e32 v0, v6, v0
	v_mov_b32_dpp v8, v2 row_shr:2 row_mask:0xf bank_mask:0xf
	v_mov_b32_dpp v7, v1 row_shr:2 row_mask:0xf bank_mask:0xf
	v_mov_b32_dpp v6, v0 row_shr:2 row_mask:0xf bank_mask:0xf
	v_mov_b32_dpp v9, v3 row_shr:2 row_mask:0xf bank_mask:0xf
	v_add_u32_e32 v3, v3, v9
	v_add_u32_e32 v2, v2, v8
	v_add_u32_e32 v7, v1, v7
	v_add_u32_e32 v6, v0, v6
	;; [unrolled: 8-line block ×3, first 2 shown]
	v_mov_b32_dpp v8, v1 row_shr:8 row_mask:0xf bank_mask:0xc
	v_mov_b32_dpp v7, v2 row_shr:8 row_mask:0xf bank_mask:0xc
	;; [unrolled: 1-line block ×4, first 2 shown]
	v_cmp_eq_u32_e32 vcc, 15, v5
	s_and_b64 exec, exec, vcc
	s_cbranch_execz .LBB62_14
; %bb.42:
	s_load_dwordx2 s[0:1], s[0:1], 0x50
	v_add_u32_e32 v5, v0, v9
	v_add_u32_e32 v1, v1, v8
	v_add_u32_e32 v2, v2, v7
	v_add_u32_e32 v0, v3, v6
	s_cmp_eq_u32 s18, 0
	v_lshlrev_b32_e32 v4, 2, v4
	v_mul_lo_u32 v0, v0, s13
	v_mul_lo_u32 v8, v2, s13
	;; [unrolled: 1-line block ×4, first 2 shown]
	s_cbranch_scc1 .LBB62_44
; %bb.43:
	v_ashrrev_i32_e32 v5, 31, v4
	s_waitcnt lgkmcnt(0)
	v_lshl_add_u64 v[14:15], v[4:5], 2, s[0:1]
	global_load_dwordx4 v[10:13], v[14:15], off
	s_waitcnt vmcnt(0)
	v_mad_u64_u32 v[16:17], s[2:3], v11, s18, v[8:9]
	v_mad_u64_u32 v[10:11], s[2:3], v10, s18, v[0:1]
	v_mad_u64_u32 v[18:19], s[2:3], v13, s18, v[6:7]
	v_mad_u64_u32 v[12:13], s[2:3], v12, s18, v[2:3]
	v_mov_b32_e32 v11, v16
	v_mov_b32_e32 v13, v18
	global_store_dwordx4 v[14:15], v[10:13], off
	s_cbranch_execnz .LBB62_14
	s_branch .LBB62_45
.LBB62_44:
.LBB62_45:
	v_ashrrev_i32_e32 v5, 31, v4
	v_mov_b32_e32 v1, v8
	v_mov_b32_e32 v3, v6
	s_waitcnt lgkmcnt(0)
	v_lshl_add_u64 v[4:5], v[4:5], 2, s[0:1]
	global_store_dwordx4 v[4:5], v[0:3], off
	s_endpgm
	.section	.rodata,"a",@progbits
	.p2align	6, 0x0
	.amdhsa_kernel _ZN9rocsparseL18bsrxmvn_4x4_kernelILj128ELj16EiiiaaiEEvT3_20rocsparse_direction_NS_24const_host_device_scalarIT1_EES1_PKS1_PKT2_SA_S7_PKT4_PKT5_S5_PT6_21rocsparse_index_base_b
		.amdhsa_group_segment_fixed_size 0
		.amdhsa_private_segment_fixed_size 0
		.amdhsa_kernarg_size 96
		.amdhsa_user_sgpr_count 2
		.amdhsa_user_sgpr_dispatch_ptr 0
		.amdhsa_user_sgpr_queue_ptr 0
		.amdhsa_user_sgpr_kernarg_segment_ptr 1
		.amdhsa_user_sgpr_dispatch_id 0
		.amdhsa_user_sgpr_kernarg_preload_length 0
		.amdhsa_user_sgpr_kernarg_preload_offset 0
		.amdhsa_user_sgpr_private_segment_size 0
		.amdhsa_uses_dynamic_stack 0
		.amdhsa_enable_private_segment 0
		.amdhsa_system_sgpr_workgroup_id_x 1
		.amdhsa_system_sgpr_workgroup_id_y 0
		.amdhsa_system_sgpr_workgroup_id_z 0
		.amdhsa_system_sgpr_workgroup_info 0
		.amdhsa_system_vgpr_workitem_id 0
		.amdhsa_next_free_vgpr 48
		.amdhsa_next_free_sgpr 25
		.amdhsa_accum_offset 48
		.amdhsa_reserve_vcc 1
		.amdhsa_float_round_mode_32 0
		.amdhsa_float_round_mode_16_64 0
		.amdhsa_float_denorm_mode_32 3
		.amdhsa_float_denorm_mode_16_64 3
		.amdhsa_dx10_clamp 1
		.amdhsa_ieee_mode 1
		.amdhsa_fp16_overflow 0
		.amdhsa_tg_split 0
		.amdhsa_exception_fp_ieee_invalid_op 0
		.amdhsa_exception_fp_denorm_src 0
		.amdhsa_exception_fp_ieee_div_zero 0
		.amdhsa_exception_fp_ieee_overflow 0
		.amdhsa_exception_fp_ieee_underflow 0
		.amdhsa_exception_fp_ieee_inexact 0
		.amdhsa_exception_int_div_zero 0
	.end_amdhsa_kernel
	.section	.text._ZN9rocsparseL18bsrxmvn_4x4_kernelILj128ELj16EiiiaaiEEvT3_20rocsparse_direction_NS_24const_host_device_scalarIT1_EES1_PKS1_PKT2_SA_S7_PKT4_PKT5_S5_PT6_21rocsparse_index_base_b,"axG",@progbits,_ZN9rocsparseL18bsrxmvn_4x4_kernelILj128ELj16EiiiaaiEEvT3_20rocsparse_direction_NS_24const_host_device_scalarIT1_EES1_PKS1_PKT2_SA_S7_PKT4_PKT5_S5_PT6_21rocsparse_index_base_b,comdat
.Lfunc_end62:
	.size	_ZN9rocsparseL18bsrxmvn_4x4_kernelILj128ELj16EiiiaaiEEvT3_20rocsparse_direction_NS_24const_host_device_scalarIT1_EES1_PKS1_PKT2_SA_S7_PKT4_PKT5_S5_PT6_21rocsparse_index_base_b, .Lfunc_end62-_ZN9rocsparseL18bsrxmvn_4x4_kernelILj128ELj16EiiiaaiEEvT3_20rocsparse_direction_NS_24const_host_device_scalarIT1_EES1_PKS1_PKT2_SA_S7_PKT4_PKT5_S5_PT6_21rocsparse_index_base_b
                                        ; -- End function
	.set _ZN9rocsparseL18bsrxmvn_4x4_kernelILj128ELj16EiiiaaiEEvT3_20rocsparse_direction_NS_24const_host_device_scalarIT1_EES1_PKS1_PKT2_SA_S7_PKT4_PKT5_S5_PT6_21rocsparse_index_base_b.num_vgpr, 48
	.set _ZN9rocsparseL18bsrxmvn_4x4_kernelILj128ELj16EiiiaaiEEvT3_20rocsparse_direction_NS_24const_host_device_scalarIT1_EES1_PKS1_PKT2_SA_S7_PKT4_PKT5_S5_PT6_21rocsparse_index_base_b.num_agpr, 0
	.set _ZN9rocsparseL18bsrxmvn_4x4_kernelILj128ELj16EiiiaaiEEvT3_20rocsparse_direction_NS_24const_host_device_scalarIT1_EES1_PKS1_PKT2_SA_S7_PKT4_PKT5_S5_PT6_21rocsparse_index_base_b.numbered_sgpr, 25
	.set _ZN9rocsparseL18bsrxmvn_4x4_kernelILj128ELj16EiiiaaiEEvT3_20rocsparse_direction_NS_24const_host_device_scalarIT1_EES1_PKS1_PKT2_SA_S7_PKT4_PKT5_S5_PT6_21rocsparse_index_base_b.num_named_barrier, 0
	.set _ZN9rocsparseL18bsrxmvn_4x4_kernelILj128ELj16EiiiaaiEEvT3_20rocsparse_direction_NS_24const_host_device_scalarIT1_EES1_PKS1_PKT2_SA_S7_PKT4_PKT5_S5_PT6_21rocsparse_index_base_b.private_seg_size, 0
	.set _ZN9rocsparseL18bsrxmvn_4x4_kernelILj128ELj16EiiiaaiEEvT3_20rocsparse_direction_NS_24const_host_device_scalarIT1_EES1_PKS1_PKT2_SA_S7_PKT4_PKT5_S5_PT6_21rocsparse_index_base_b.uses_vcc, 1
	.set _ZN9rocsparseL18bsrxmvn_4x4_kernelILj128ELj16EiiiaaiEEvT3_20rocsparse_direction_NS_24const_host_device_scalarIT1_EES1_PKS1_PKT2_SA_S7_PKT4_PKT5_S5_PT6_21rocsparse_index_base_b.uses_flat_scratch, 0
	.set _ZN9rocsparseL18bsrxmvn_4x4_kernelILj128ELj16EiiiaaiEEvT3_20rocsparse_direction_NS_24const_host_device_scalarIT1_EES1_PKS1_PKT2_SA_S7_PKT4_PKT5_S5_PT6_21rocsparse_index_base_b.has_dyn_sized_stack, 0
	.set _ZN9rocsparseL18bsrxmvn_4x4_kernelILj128ELj16EiiiaaiEEvT3_20rocsparse_direction_NS_24const_host_device_scalarIT1_EES1_PKS1_PKT2_SA_S7_PKT4_PKT5_S5_PT6_21rocsparse_index_base_b.has_recursion, 0
	.set _ZN9rocsparseL18bsrxmvn_4x4_kernelILj128ELj16EiiiaaiEEvT3_20rocsparse_direction_NS_24const_host_device_scalarIT1_EES1_PKS1_PKT2_SA_S7_PKT4_PKT5_S5_PT6_21rocsparse_index_base_b.has_indirect_call, 0
	.section	.AMDGPU.csdata,"",@progbits
; Kernel info:
; codeLenInByte = 2608
; TotalNumSgprs: 31
; NumVgprs: 48
; NumAgprs: 0
; TotalNumVgprs: 48
; ScratchSize: 0
; MemoryBound: 0
; FloatMode: 240
; IeeeMode: 1
; LDSByteSize: 0 bytes/workgroup (compile time only)
; SGPRBlocks: 3
; VGPRBlocks: 5
; NumSGPRsForWavesPerEU: 31
; NumVGPRsForWavesPerEU: 48
; AccumOffset: 48
; Occupancy: 8
; WaveLimiterHint : 1
; COMPUTE_PGM_RSRC2:SCRATCH_EN: 0
; COMPUTE_PGM_RSRC2:USER_SGPR: 2
; COMPUTE_PGM_RSRC2:TRAP_HANDLER: 0
; COMPUTE_PGM_RSRC2:TGID_X_EN: 1
; COMPUTE_PGM_RSRC2:TGID_Y_EN: 0
; COMPUTE_PGM_RSRC2:TGID_Z_EN: 0
; COMPUTE_PGM_RSRC2:TIDIG_COMP_CNT: 0
; COMPUTE_PGM_RSRC3_GFX90A:ACCUM_OFFSET: 11
; COMPUTE_PGM_RSRC3_GFX90A:TG_SPLIT: 0
	.section	.text._ZN9rocsparseL18bsrxmvn_4x4_kernelILj128ELj32EiiiaaiEEvT3_20rocsparse_direction_NS_24const_host_device_scalarIT1_EES1_PKS1_PKT2_SA_S7_PKT4_PKT5_S5_PT6_21rocsparse_index_base_b,"axG",@progbits,_ZN9rocsparseL18bsrxmvn_4x4_kernelILj128ELj32EiiiaaiEEvT3_20rocsparse_direction_NS_24const_host_device_scalarIT1_EES1_PKS1_PKT2_SA_S7_PKT4_PKT5_S5_PT6_21rocsparse_index_base_b,comdat
	.globl	_ZN9rocsparseL18bsrxmvn_4x4_kernelILj128ELj32EiiiaaiEEvT3_20rocsparse_direction_NS_24const_host_device_scalarIT1_EES1_PKS1_PKT2_SA_S7_PKT4_PKT5_S5_PT6_21rocsparse_index_base_b ; -- Begin function _ZN9rocsparseL18bsrxmvn_4x4_kernelILj128ELj32EiiiaaiEEvT3_20rocsparse_direction_NS_24const_host_device_scalarIT1_EES1_PKS1_PKT2_SA_S7_PKT4_PKT5_S5_PT6_21rocsparse_index_base_b
	.p2align	8
	.type	_ZN9rocsparseL18bsrxmvn_4x4_kernelILj128ELj32EiiiaaiEEvT3_20rocsparse_direction_NS_24const_host_device_scalarIT1_EES1_PKS1_PKT2_SA_S7_PKT4_PKT5_S5_PT6_21rocsparse_index_base_b,@function
_ZN9rocsparseL18bsrxmvn_4x4_kernelILj128ELj32EiiiaaiEEvT3_20rocsparse_direction_NS_24const_host_device_scalarIT1_EES1_PKS1_PKT2_SA_S7_PKT4_PKT5_S5_PT6_21rocsparse_index_base_b: ; @_ZN9rocsparseL18bsrxmvn_4x4_kernelILj128ELj32EiiiaaiEEvT3_20rocsparse_direction_NS_24const_host_device_scalarIT1_EES1_PKS1_PKT2_SA_S7_PKT4_PKT5_S5_PT6_21rocsparse_index_base_b
; %bb.0:
	s_load_dwordx2 s[12:13], s[0:1], 0x58
	s_load_dwordx2 s[8:9], s[0:1], 0x8
	s_mov_b64 s[10:11], -1
	s_waitcnt lgkmcnt(0)
	s_bitcmp1_b32 s13, 0
	s_cselect_b64 s[4:5], -1, 0
	s_xor_b64 s[6:7], s[4:5], -1
	s_and_b64 vcc, exec, s[6:7]
                                        ; implicit-def: $sgpr13
	s_cbranch_vccnz .LBB63_4
; %bb.1:
	s_load_dwordx2 s[4:5], s[0:1], 0x48
	s_andn2_b64 vcc, exec, s[10:11]
	s_cbranch_vccz .LBB63_5
.LBB63_2:
	s_and_b64 vcc, exec, s[6:7]
	s_cbranch_vccz .LBB63_6
.LBB63_3:
	s_waitcnt lgkmcnt(0)
	s_load_dword s18, s[4:5], 0x0
	s_cbranch_execz .LBB63_7
	s_branch .LBB63_8
.LBB63_4:
	s_load_dword s13, s[8:9], 0x0
	s_load_dwordx2 s[4:5], s[0:1], 0x48
	s_cbranch_execnz .LBB63_2
.LBB63_5:
	s_waitcnt lgkmcnt(0)
	s_mov_b32 s13, s8
	s_and_b64 vcc, exec, s[6:7]
	s_cbranch_vccnz .LBB63_3
.LBB63_6:
                                        ; implicit-def: $sgpr18
.LBB63_7:
	s_waitcnt lgkmcnt(0)
	s_mov_b32 s18, s4
.LBB63_8:
	s_waitcnt lgkmcnt(0)
	s_cmp_lg_u32 s13, 0
	s_cselect_b64 s[4:5], -1, 0
	s_cmp_lg_u32 s18, 1
	s_cselect_b64 s[6:7], -1, 0
	s_or_b64 s[4:5], s[4:5], s[6:7]
	s_andn2_b64 vcc, exec, s[4:5]
	s_cbranch_vccnz .LBB63_14
; %bb.9:
	s_load_dwordx2 s[4:5], s[0:1], 0x18
	s_load_dwordx2 s[14:15], s[0:1], 0x0
	v_lshrrev_b32_e32 v1, 5, v0
	v_lshl_or_b32 v8, s2, 2, v1
	s_mov_b64 s[2:3], 0
	s_waitcnt lgkmcnt(0)
	s_cmp_lg_u64 s[4:5], 0
	s_cbranch_scc0 .LBB63_15
; %bb.10:
	s_load_dword s6, s[0:1], 0x10
                                        ; implicit-def: $vgpr1
	s_waitcnt lgkmcnt(0)
	v_cmp_gt_i32_e32 vcc, s6, v8
	s_and_saveexec_b64 s[6:7], vcc
	s_xor_b64 s[6:7], exec, s[6:7]
	s_cbranch_execz .LBB63_12
; %bb.11:
	v_ashrrev_i32_e32 v9, 31, v8
	v_lshl_add_u64 v[2:3], v[8:9], 2, s[4:5]
	global_load_dword v1, v[2:3], off
	s_mov_b64 s[2:3], exec
	s_waitcnt vmcnt(0)
	v_subrev_u32_e32 v1, s12, v1
.LBB63_12:
	s_or_b64 exec, exec, s[6:7]
	s_branch .LBB63_16
.LBB63_13:
	v_cmp_gt_i32_e32 vcc, s14, v8
	s_andn2_b64 s[2:3], s[2:3], exec
	s_and_b64 s[4:5], vcc, exec
	s_or_b64 s[2:3], s[2:3], s[4:5]
	s_and_saveexec_b64 s[4:5], s[2:3]
	s_cbranch_execnz .LBB63_17
.LBB63_14:
	s_endpgm
.LBB63_15:
                                        ; implicit-def: $vgpr1
	s_cbranch_execnz .LBB63_13
.LBB63_16:
	v_mov_b32_e32 v8, v1
	s_and_saveexec_b64 s[4:5], s[2:3]
	s_cbranch_execz .LBB63_14
.LBB63_17:
	s_load_dwordx8 s[4:11], s[0:1], 0x20
	v_ashrrev_i32_e32 v9, 31, v8
	v_lshlrev_b64 v[2:3], 2, v[8:9]
	v_and_b32_e32 v9, 31, v0
	s_waitcnt lgkmcnt(0)
	v_lshl_add_u64 v[6:7], s[4:5], 0, v[2:3]
	s_cmp_eq_u64 s[6:7], 0
	global_load_dword v4, v[6:7], off
	v_lshl_add_u64 v[6:7], v[6:7], 0, 4
	v_lshl_add_u64 v[2:3], s[6:7], 0, v[2:3]
	s_cselect_b64 vcc, -1, 0
	v_cndmask_b32_e32 v3, v3, v7, vcc
	v_cndmask_b32_e32 v2, v2, v6, vcc
	global_load_dword v1, v[2:3], off
	s_load_dwordx2 s[4:5], s[0:1], 0x40
	s_cmp_eq_u32 s15, 1
	s_waitcnt vmcnt(1)
	v_subrev_u32_e32 v0, s12, v4
	v_add_u32_e32 v10, v0, v9
	v_ashrrev_i32_e32 v11, 31, v10
	v_lshl_add_u64 v[12:13], v[10:11], 4, s[10:11]
	s_waitcnt vmcnt(0)
	v_subrev_u32_e32 v5, s12, v1
	v_cmp_lt_i32_e64 s[2:3], v10, v5
	s_cbranch_scc1 .LBB63_29
; %bb.18:
	v_mov_b32_e32 v14, 0
	v_mov_b32_e32 v15, 0
	;; [unrolled: 1-line block ×4, first 2 shown]
	s_and_saveexec_b64 s[6:7], s[2:3]
	s_cbranch_execz .LBB63_28
; %bb.19:
	v_add_u32_e32 v0, v4, v9
	v_subrev_u32_e32 v0, s12, v0
	v_add_u32_e32 v0, 32, v0
	v_max_i32_e32 v0, v0, v5
	v_not_b32_e32 v1, v4
	v_add3_u32 v0, s12, v0, v1
	v_sub_u32_e32 v0, v0, v9
	v_lshrrev_b32_e32 v1, 5, v0
	s_movk_i32 s10, 0x5f
	v_add_u32_e32 v6, 1, v1
	v_cmp_lt_u32_e32 vcc, s10, v0
	v_mov_b32_e32 v16, 0
	v_mov_b32_e32 v17, 0
	;; [unrolled: 1-line block ×5, first 2 shown]
	v_mov_b64_e32 v[2:3], v[12:13]
	s_and_saveexec_b64 s[10:11], vcc
	s_cbranch_execz .LBB63_23
; %bb.20:
	v_and_b32_e32 v7, 0xffffffc, v6
	v_mov_b32_e32 v14, 0
	s_mov_b64 s[14:15], 0
	s_mov_b32 s19, 0xc070601
	s_mov_b32 s20, 0xc030201
	s_mov_b64 s[16:17], 0x800
	v_mov_b64_e32 v[2:3], v[12:13]
	v_mov_b32_e32 v0, v10
	v_mov_b32_e32 v15, 0
	;; [unrolled: 1-line block ×4, first 2 shown]
.LBB63_21:                              ; =>This Inner Loop Header: Depth=1
	v_ashrrev_i32_e32 v1, 31, v0
	v_lshl_add_u64 v[34:35], v[0:1], 2, s[8:9]
	global_load_dword v1, v[34:35], off
	global_load_dword v11, v[34:35], off offset:128
	global_load_dword v36, v[34:35], off offset:256
	;; [unrolled: 1-line block ×3, first 2 shown]
	global_load_dwordx4 v[18:21], v[2:3], off
	global_load_dwordx4 v[22:25], v[2:3], off offset:512
	global_load_dwordx4 v[26:29], v[2:3], off offset:1024
	;; [unrolled: 1-line block ×3, first 2 shown]
	v_add_u32_e32 v7, -4, v7
	v_cmp_eq_u32_e32 vcc, 0, v7
	v_lshl_add_u64 v[2:3], v[2:3], 0, s[16:17]
	v_add_u32_e32 v0, 0x80, v0
	s_or_b64 s[14:15], vcc, s[14:15]
	s_waitcnt vmcnt(7)
	v_subrev_u32_e32 v1, s12, v1
	s_waitcnt vmcnt(6)
	v_subrev_u32_e32 v11, s12, v11
	;; [unrolled: 2-line block ×4, first 2 shown]
	v_lshlrev_b32_e32 v34, 2, v1
	v_lshlrev_b32_e32 v36, 2, v11
	;; [unrolled: 1-line block ×4, first 2 shown]
	v_ashrrev_i32_e32 v35, 31, v34
	v_ashrrev_i32_e32 v37, 31, v36
	;; [unrolled: 1-line block ×4, first 2 shown]
	s_waitcnt lgkmcnt(0)
	v_lshl_add_u64 v[34:35], s[4:5], 0, v[34:35]
	v_lshl_add_u64 v[36:37], s[4:5], 0, v[36:37]
	;; [unrolled: 1-line block ×4, first 2 shown]
	global_load_dword v1, v[34:35], off
	global_load_dword v11, v[36:37], off
	;; [unrolled: 1-line block ×4, first 2 shown]
	s_waitcnt vmcnt(7)
	v_bfe_i32 v34, v18, 0, 8
	v_bfe_i32 v35, v19, 0, 8
	v_bfe_i32 v36, v20, 0, 8
	v_bfe_i32 v37, v21, 0, 8
	v_perm_b32 v18, v18, v18, s19
	v_perm_b32 v19, v19, v19, s19
	v_perm_b32 v20, v20, v20, s19
	v_perm_b32 v21, v21, v21, s19
	s_waitcnt vmcnt(6)
	v_bfe_i32 v38, v22, 0, 8
	v_bfe_i32 v39, v23, 0, 8
	v_bfe_i32 v40, v24, 0, 8
	v_bfe_i32 v41, v25, 0, 8
	v_perm_b32 v22, v22, v22, s19
	v_perm_b32 v23, v23, v23, s19
	v_perm_b32 v24, v24, v24, s19
	v_perm_b32 v25, v25, v25, s19
	;; [unrolled: 9-line block ×4, first 2 shown]
	s_waitcnt vmcnt(3)
	v_bfe_i32 v52, v1, 0, 8
	v_perm_b32 v1, v1, v1, s20
	v_mad_i32_i24 v17, v35, v52, v17
	v_mad_i32_i24 v16, v52, v34, v16
	v_mad_i32_i24 v14, v37, v52, v14
	v_mad_i32_i24 v15, v36, v52, v15
	s_waitcnt vmcnt(2)
	v_bfe_i32 v53, v11, 0, 8
	v_dot4c_i32_i8_e32 v16, v1, v18
	v_dot4c_i32_i8_e32 v17, v1, v19
	v_dot4c_i32_i8_e32 v15, v1, v20
	v_dot4c_i32_i8_e32 v14, v1, v21
	v_perm_b32 v11, v11, v11, s20
	v_mad_i32_i24 v1, v39, v53, v17
	v_mad_i32_i24 v16, v53, v38, v16
	v_mad_i32_i24 v14, v41, v53, v14
	v_mad_i32_i24 v15, v40, v53, v15
	s_waitcnt vmcnt(1)
	v_bfe_i32 v54, v42, 0, 8
	v_dot4c_i32_i8_e32 v16, v11, v22
	v_dot4c_i32_i8_e32 v1, v11, v23
	v_dot4c_i32_i8_e32 v15, v11, v24
	v_dot4c_i32_i8_e32 v14, v11, v25
	;; [unrolled: 11-line block ×3, first 2 shown]
	v_perm_b32 v43, v43, v43, s20
	v_mad_i32_i24 v17, v49, v55, v1
	v_mad_i32_i24 v16, v55, v48, v11
	;; [unrolled: 1-line block ×4, first 2 shown]
	v_dot4c_i32_i8_e32 v16, v43, v30
	v_dot4c_i32_i8_e32 v17, v43, v31
	;; [unrolled: 1-line block ×4, first 2 shown]
	s_andn2_b64 exec, exec, s[14:15]
	s_cbranch_execnz .LBB63_21
; %bb.22:
	s_or_b64 exec, exec, s[14:15]
.LBB63_23:
	s_or_b64 exec, exec, s[10:11]
	v_and_b32_e32 v1, 3, v6
	v_cmp_ne_u32_e32 vcc, 0, v1
	s_and_saveexec_b64 s[10:11], vcc
	s_cbranch_execz .LBB63_27
; %bb.24:
	v_lshlrev_b32_e32 v6, 4, v1
	s_mov_b64 s[14:15], 0
	s_mov_b32 s19, 0xc070601
	s_mov_b32 s20, 0xc030201
	s_mov_b64 s[16:17], 0x200
.LBB63_25:                              ; =>This Inner Loop Header: Depth=1
	v_ashrrev_i32_e32 v1, 31, v0
	v_lshl_add_u64 v[22:23], v[0:1], 2, s[8:9]
	global_load_dword v1, v[22:23], off
	global_load_dwordx4 v[18:21], v[2:3], off
	v_add_u32_e32 v6, -16, v6
	v_cmp_eq_u32_e32 vcc, 0, v6
	v_lshl_add_u64 v[2:3], v[2:3], 0, s[16:17]
	v_add_u32_e32 v0, 32, v0
	s_or_b64 s[14:15], vcc, s[14:15]
	s_waitcnt vmcnt(1)
	v_subrev_u32_e32 v1, s12, v1
	v_lshlrev_b32_e32 v22, 2, v1
	v_ashrrev_i32_e32 v23, 31, v22
	s_waitcnt lgkmcnt(0)
	v_lshl_add_u64 v[22:23], s[4:5], 0, v[22:23]
	global_load_dword v1, v[22:23], off
	s_waitcnt vmcnt(1)
	v_bfe_i32 v7, v18, 0, 8
	v_bfe_i32 v11, v19, 0, 8
	;; [unrolled: 1-line block ×4, first 2 shown]
	v_perm_b32 v18, v18, v18, s19
	v_perm_b32 v19, v19, v19, s19
	;; [unrolled: 1-line block ×4, first 2 shown]
	s_waitcnt vmcnt(0)
	v_bfe_i32 v24, v1, 0, 8
	v_perm_b32 v1, v1, v1, s20
	v_mad_i32_i24 v17, v11, v24, v17
	v_mad_i32_i24 v16, v24, v7, v16
	v_mad_i32_i24 v14, v23, v24, v14
	v_mad_i32_i24 v15, v22, v24, v15
	v_dot4c_i32_i8_e32 v16, v1, v18
	v_dot4c_i32_i8_e32 v17, v1, v19
	;; [unrolled: 1-line block ×4, first 2 shown]
	s_andn2_b64 exec, exec, s[14:15]
	s_cbranch_execnz .LBB63_25
; %bb.26:
	s_or_b64 exec, exec, s[14:15]
.LBB63_27:
	s_or_b64 exec, exec, s[10:11]
.LBB63_28:
	s_or_b64 exec, exec, s[6:7]
	s_cbranch_execz .LBB63_30
	s_branch .LBB63_41
.LBB63_29:
                                        ; implicit-def: $vgpr14
                                        ; implicit-def: $vgpr15
                                        ; implicit-def: $vgpr17
                                        ; implicit-def: $vgpr16
.LBB63_30:
	v_mov_b32_e32 v14, 0
	v_mov_b32_e32 v15, 0
	v_mov_b32_e32 v17, 0
	v_mov_b32_e32 v16, 0
	s_and_saveexec_b64 s[6:7], s[2:3]
	s_cbranch_execz .LBB63_40
; %bb.31:
	v_add_u32_e32 v0, v4, v9
	v_subrev_u32_e32 v0, s12, v0
	v_add_u32_e32 v0, 32, v0
	v_max_i32_e32 v0, v0, v5
	v_not_b32_e32 v1, v4
	v_add3_u32 v0, s12, v0, v1
	v_sub_u32_e32 v0, v0, v9
	v_lshrrev_b32_e32 v1, 5, v0
	s_movk_i32 s2, 0x5f
	v_add_u32_e32 v18, 1, v1
	v_cmp_lt_u32_e32 vcc, s2, v0
	v_mov_b32_e32 v16, 0
	v_mov_b32_e32 v17, 0
	;; [unrolled: 1-line block ×4, first 2 shown]
	s_and_saveexec_b64 s[2:3], vcc
	s_cbranch_execz .LBB63_35
; %bb.32:
	v_and_b32_e32 v19, 0xffffffc, v18
	v_mov_b32_e32 v14, 0
	s_mov_b64 s[10:11], 0
	s_mov_b32 s16, 0x5040100
	s_mov_b32 s17, 0xc04000c
	;; [unrolled: 1-line block ×10, first 2 shown]
	s_mov_b64 s[14:15], 0x800
	v_mov_b32_e32 v15, 0
	v_mov_b32_e32 v17, 0
	;; [unrolled: 1-line block ×3, first 2 shown]
.LBB63_33:                              ; =>This Inner Loop Header: Depth=1
	v_ashrrev_i32_e32 v11, 31, v10
	global_load_dwordx4 v[0:3], v[12:13], off
	global_load_dwordx4 v[4:7], v[12:13], off offset:512
	global_load_dwordx4 v[20:23], v[12:13], off offset:1024
	;; [unrolled: 1-line block ×3, first 2 shown]
	v_lshl_add_u64 v[28:29], v[10:11], 2, s[8:9]
	global_load_dword v11, v[28:29], off
	global_load_dword v30, v[28:29], off offset:128
	global_load_dword v31, v[28:29], off offset:256
	global_load_dword v32, v[28:29], off offset:384
	v_add_u32_e32 v19, -4, v19
	v_cmp_eq_u32_e32 vcc, 0, v19
	v_lshl_add_u64 v[12:13], v[12:13], 0, s[14:15]
	v_add_u32_e32 v10, 0x80, v10
	s_or_b64 s[10:11], vcc, s[10:11]
	s_waitcnt vmcnt(7)
	v_lshrrev_b32_e32 v28, 8, v0
	v_lshrrev_b32_e32 v29, 24, v0
	;; [unrolled: 1-line block ×3, first 2 shown]
	v_bfe_i32 v34, v0, 0, 8
	v_perm_b32 v0, v3, v2, s17
	v_perm_b32 v35, v1, v1, s19
	s_waitcnt vmcnt(4)
	v_perm_b32 v65, v27, v26, s17
	v_perm_b32 v67, v27, v26, s21
	;; [unrolled: 1-line block ×4, first 2 shown]
	v_or_b32_e32 v27, v0, v35
	s_waitcnt vmcnt(3)
	v_subrev_u32_e32 v0, s12, v11
	v_perm_b32 v36, v3, v2, s21
	v_perm_b32 v37, v1, v1, s22
	;; [unrolled: 1-line block ×10, first 2 shown]
	s_waitcnt vmcnt(2)
	v_subrev_u32_e32 v1, s12, v30
	s_waitcnt vmcnt(1)
	v_subrev_u32_e32 v3, s12, v31
	s_waitcnt vmcnt(0)
	v_subrev_u32_e32 v5, s12, v32
	v_lshlrev_b32_e32 v0, 2, v0
	v_lshrrev_b32_e32 v42, 8, v4
	v_lshrrev_b32_e32 v43, 24, v4
	;; [unrolled: 1-line block ×3, first 2 shown]
	v_bfe_i32 v45, v4, 0, 8
	v_perm_b32 v46, v7, v6, s17
	v_perm_b32 v48, v7, v6, s21
	;; [unrolled: 1-line block ×4, first 2 shown]
	v_lshlrev_b32_e32 v2, 2, v1
	v_lshlrev_b32_e32 v4, 2, v3
	;; [unrolled: 1-line block ×3, first 2 shown]
	v_ashrrev_i32_e32 v1, 31, v0
	v_ashrrev_i32_e32 v3, 31, v2
	;; [unrolled: 1-line block ×4, first 2 shown]
	s_waitcnt lgkmcnt(0)
	v_lshl_add_u64 v[0:1], s[4:5], 0, v[0:1]
	v_lshl_add_u64 v[2:3], s[4:5], 0, v[2:3]
	;; [unrolled: 1-line block ×4, first 2 shown]
	global_load_dword v11, v[0:1], off
	global_load_dword v30, v[2:3], off
	;; [unrolled: 1-line block ×4, first 2 shown]
	v_perm_b32 v57, v23, v22, s17
	v_perm_b32 v58, v21, v21, s19
	;; [unrolled: 1-line block ×8, first 2 shown]
	v_lshrrev_b32_e32 v23, 8, v24
	v_lshrrev_b32_e32 v63, 24, v24
	;; [unrolled: 1-line block ×3, first 2 shown]
	v_bfe_i32 v24, v24, 0, 8
	v_perm_b32 v66, v25, v25, s19
	v_perm_b32 v68, v25, v25, s22
	;; [unrolled: 1-line block ×4, first 2 shown]
	v_bfe_i32 v7, v28, 0, 8
	v_bfe_i32 v28, v33, 0, 8
	;; [unrolled: 1-line block ×3, first 2 shown]
	v_or_b32_e32 v21, v22, v21
	v_bfe_i32 v22, v23, 0, 8
	v_or_b32_e32 v25, v26, v25
	v_perm_b32 v7, v7, v34, s16
	v_perm_b32 v26, v29, v28, s16
	;; [unrolled: 1-line block ×3, first 2 shown]
	v_or_b32_e32 v0, v36, v37
	v_bfe_i32 v33, v42, 0, 8
	v_bfe_i32 v35, v44, 0, 8
	;; [unrolled: 1-line block ×3, first 2 shown]
	v_lshrrev_b32_e32 v54, 8, v20
	v_lshrrev_b32_e32 v55, 24, v20
	;; [unrolled: 1-line block ×3, first 2 shown]
	v_or_b32_e32 v1, v38, v39
	v_or_b32_e32 v2, v40, v41
	v_perm_b32 v28, v33, v45, s16
	v_perm_b32 v29, v36, v35, s16
	v_bfe_i32 v20, v20, 0, 8
	v_bfe_i32 v37, v54, 0, 8
	;; [unrolled: 1-line block ×4, first 2 shown]
	v_or_b32_e32 v3, v46, v47
	v_or_b32_e32 v4, v48, v49
	;; [unrolled: 1-line block ×4, first 2 shown]
	v_perm_b32 v20, v37, v20, s16
	v_perm_b32 v33, v39, v38, s16
	v_bfe_i32 v23, v64, 0, 8
	v_bfe_i32 v43, v63, 0, 8
	v_or_b32_e32 v40, v57, v58
	v_or_b32_e32 v41, v59, v60
	;; [unrolled: 1-line block ×3, first 2 shown]
	v_perm_b32 v23, v43, v23, s16
	v_or_b32_e32 v44, v65, v66
	v_or_b32_e32 v46, v67, v68
	;; [unrolled: 1-line block ×3, first 2 shown]
	s_waitcnt vmcnt(3)
	v_bfe_i32 v24, v11, 0, 8
	v_pk_mul_lo_u16 v7, v24, v7 op_sel_hi:[0,1]
	v_pk_mul_lo_u16 v24, v24, v26 op_sel_hi:[0,1]
	v_perm_b32 v11, v11, v11, s20
	s_waitcnt vmcnt(2)
	v_bfe_i32 v34, v30, 0, 8
	v_add_u32_sdwa v17, v17, sext(v7) dst_sel:DWORD dst_unused:UNUSED_PAD src0_sel:DWORD src1_sel:WORD_1
	v_add_u32_sdwa v7, v16, sext(v7) dst_sel:DWORD dst_unused:UNUSED_PAD src0_sel:DWORD src1_sel:WORD_0
	v_add_u32_sdwa v14, v14, sext(v24) dst_sel:DWORD dst_unused:UNUSED_PAD src0_sel:DWORD src1_sel:WORD_1
	v_add_u32_sdwa v15, v15, sext(v24) dst_sel:DWORD dst_unused:UNUSED_PAD src0_sel:DWORD src1_sel:WORD_0
	v_pk_mul_lo_u16 v26, v34, v28 op_sel_hi:[0,1]
	v_pk_mul_lo_u16 v28, v34, v29 op_sel_hi:[0,1]
	v_dot4c_i32_i8_e32 v7, v11, v27
	v_dot4c_i32_i8_e32 v17, v11, v0
	v_dot4c_i32_i8_e32 v15, v11, v1
	v_dot4c_i32_i8_e32 v14, v11, v2
	v_perm_b32 v30, v30, v30, s20
	s_waitcnt vmcnt(1)
	v_bfe_i32 v35, v31, 0, 8
	v_add_u32_sdwa v0, v17, sext(v26) dst_sel:DWORD dst_unused:UNUSED_PAD src0_sel:DWORD src1_sel:WORD_1
	v_add_u32_sdwa v1, v7, sext(v26) dst_sel:DWORD dst_unused:UNUSED_PAD src0_sel:DWORD src1_sel:WORD_0
	v_add_u32_sdwa v2, v14, sext(v28) dst_sel:DWORD dst_unused:UNUSED_PAD src0_sel:DWORD src1_sel:WORD_1
	v_add_u32_sdwa v7, v15, sext(v28) dst_sel:DWORD dst_unused:UNUSED_PAD src0_sel:DWORD src1_sel:WORD_0
	v_pk_mul_lo_u16 v20, v35, v20 op_sel_hi:[0,1]
	v_pk_mul_lo_u16 v29, v35, v33 op_sel_hi:[0,1]
	v_dot4c_i32_i8_e32 v1, v30, v3
	v_dot4c_i32_i8_e32 v0, v30, v4
	v_dot4c_i32_i8_e32 v7, v30, v5
	v_dot4c_i32_i8_e32 v2, v30, v6
	;; [unrolled: 13-line block ×3, first 2 shown]
	v_perm_b32 v32, v32, v32, s20
	v_add_u32_sdwa v17, v0, sext(v22) dst_sel:DWORD dst_unused:UNUSED_PAD src0_sel:DWORD src1_sel:WORD_1
	v_add_u32_sdwa v16, v1, sext(v22) dst_sel:DWORD dst_unused:UNUSED_PAD src0_sel:DWORD src1_sel:WORD_0
	v_add_u32_sdwa v14, v2, sext(v23) dst_sel:DWORD dst_unused:UNUSED_PAD src0_sel:DWORD src1_sel:WORD_1
	v_add_u32_sdwa v15, v3, sext(v23) dst_sel:DWORD dst_unused:UNUSED_PAD src0_sel:DWORD src1_sel:WORD_0
	v_dot4c_i32_i8_e32 v16, v32, v44
	v_dot4c_i32_i8_e32 v17, v32, v46
	;; [unrolled: 1-line block ×4, first 2 shown]
	s_andn2_b64 exec, exec, s[10:11]
	s_cbranch_execnz .LBB63_33
; %bb.34:
	s_or_b64 exec, exec, s[10:11]
.LBB63_35:
	s_or_b64 exec, exec, s[2:3]
	v_and_b32_e32 v0, 3, v18
	v_cmp_ne_u32_e32 vcc, 0, v0
	s_and_saveexec_b64 s[2:3], vcc
	s_cbranch_execz .LBB63_39
; %bb.36:
	v_lshlrev_b32_e32 v0, 4, v0
	s_mov_b64 s[10:11], 0
	s_mov_b32 s16, 0x5040100
	s_mov_b32 s17, 0xc04000c
	;; [unrolled: 1-line block ×10, first 2 shown]
	s_mov_b64 s[14:15], 0x200
.LBB63_37:                              ; =>This Inner Loop Header: Depth=1
	v_ashrrev_i32_e32 v11, 31, v10
	v_lshl_add_u64 v[6:7], v[10:11], 2, s[8:9]
	global_load_dword v1, v[6:7], off
	global_load_dwordx4 v[2:5], v[12:13], off
	v_add_u32_e32 v0, -16, v0
	v_cmp_eq_u32_e32 vcc, 0, v0
	v_lshl_add_u64 v[12:13], v[12:13], 0, s[14:15]
	v_add_u32_e32 v10, 32, v10
	s_or_b64 s[10:11], vcc, s[10:11]
	s_waitcnt vmcnt(1)
	v_subrev_u32_e32 v1, s12, v1
	v_lshlrev_b32_e32 v6, 2, v1
	v_ashrrev_i32_e32 v7, 31, v6
	s_waitcnt lgkmcnt(0)
	v_lshl_add_u64 v[6:7], s[4:5], 0, v[6:7]
	global_load_dword v1, v[6:7], off
	s_waitcnt vmcnt(1)
	v_lshrrev_b32_e32 v6, 8, v2
	v_lshrrev_b32_e32 v7, 24, v2
	;; [unrolled: 1-line block ×3, first 2 shown]
	v_bfe_i32 v2, v2, 0, 8
	v_perm_b32 v18, v5, v4, s17
	v_perm_b32 v19, v3, v3, s19
	;; [unrolled: 1-line block ×8, first 2 shown]
	v_bfe_i32 v5, v6, 0, 8
	v_bfe_i32 v6, v11, 0, 8
	;; [unrolled: 1-line block ×3, first 2 shown]
	v_or_b32_e32 v3, v4, v3
	v_perm_b32 v2, v5, v2, s16
	v_perm_b32 v4, v7, v6, s16
	v_or_b32_e32 v11, v18, v19
	v_or_b32_e32 v18, v20, v21
	;; [unrolled: 1-line block ×3, first 2 shown]
	s_waitcnt vmcnt(0)
	v_bfe_i32 v5, v1, 0, 8
	v_pk_mul_lo_u16 v2, v5, v2 op_sel_hi:[0,1]
	v_pk_mul_lo_u16 v4, v5, v4 op_sel_hi:[0,1]
	v_perm_b32 v1, v1, v1, s20
	v_add_u32_sdwa v17, v17, sext(v2) dst_sel:DWORD dst_unused:UNUSED_PAD src0_sel:DWORD src1_sel:WORD_1
	v_add_u32_sdwa v16, v16, sext(v2) dst_sel:DWORD dst_unused:UNUSED_PAD src0_sel:DWORD src1_sel:WORD_0
	v_add_u32_sdwa v14, v14, sext(v4) dst_sel:DWORD dst_unused:UNUSED_PAD src0_sel:DWORD src1_sel:WORD_1
	v_add_u32_sdwa v15, v15, sext(v4) dst_sel:DWORD dst_unused:UNUSED_PAD src0_sel:DWORD src1_sel:WORD_0
	v_dot4c_i32_i8_e32 v16, v1, v11
	v_dot4c_i32_i8_e32 v17, v1, v18
	;; [unrolled: 1-line block ×4, first 2 shown]
	s_andn2_b64 exec, exec, s[10:11]
	s_cbranch_execnz .LBB63_37
; %bb.38:
	s_or_b64 exec, exec, s[10:11]
.LBB63_39:
	s_or_b64 exec, exec, s[2:3]
.LBB63_40:
	s_or_b64 exec, exec, s[6:7]
.LBB63_41:
	v_mov_b32_dpp v0, v16 row_shr:1 row_mask:0xf bank_mask:0xf
	v_mov_b32_dpp v1, v17 row_shr:1 row_mask:0xf bank_mask:0xf
	v_mov_b32_dpp v4, v15 row_shr:1 row_mask:0xf bank_mask:0xf
	v_mov_b32_dpp v5, v14 row_shr:1 row_mask:0xf bank_mask:0xf
	v_add_u32_e32 v1, v1, v17
	v_add_u32_e32 v0, v0, v16
	v_add_u32_e32 v5, v5, v14
	v_add_u32_e32 v4, v4, v15
	v_mov_b32_dpp v2, v0 row_shr:2 row_mask:0xf bank_mask:0xf
	v_mov_b32_dpp v3, v1 row_shr:2 row_mask:0xf bank_mask:0xf
	v_mov_b32_dpp v6, v4 row_shr:2 row_mask:0xf bank_mask:0xf
	v_mov_b32_dpp v7, v5 row_shr:2 row_mask:0xf bank_mask:0xf
	v_add_u32_e32 v1, v1, v3
	v_add_u32_e32 v0, v0, v2
	v_add_u32_e32 v5, v5, v7
	v_add_u32_e32 v4, v4, v6
	;; [unrolled: 8-line block ×4, first 2 shown]
	v_mov_b32_dpp v2, v1 row_bcast:15 row_mask:0xa bank_mask:0xf
	v_mov_b32_dpp v3, v0 row_bcast:15 row_mask:0xa bank_mask:0xf
	v_mov_b32_dpp v6, v5 row_bcast:15 row_mask:0xa bank_mask:0xf
	v_mov_b32_dpp v7, v4 row_bcast:15 row_mask:0xa bank_mask:0xf
	v_cmp_eq_u32_e32 vcc, 31, v9
	s_and_b64 exec, exec, vcc
	s_cbranch_execz .LBB63_14
; %bb.42:
	s_load_dwordx2 s[0:1], s[0:1], 0x50
	v_add_u32_e32 v3, v0, v3
	v_add_u32_e32 v0, v1, v2
	;; [unrolled: 1-line block ×4, first 2 shown]
	s_cmp_eq_u32 s18, 0
	v_lshlrev_b32_e32 v4, 2, v8
	v_mul_lo_u32 v0, v0, s13
	v_mul_lo_u32 v8, v3, s13
	;; [unrolled: 1-line block ×4, first 2 shown]
	s_cbranch_scc1 .LBB63_44
; %bb.43:
	v_ashrrev_i32_e32 v5, 31, v4
	s_waitcnt lgkmcnt(0)
	v_lshl_add_u64 v[14:15], v[4:5], 2, s[0:1]
	global_load_dwordx4 v[10:13], v[14:15], off
	s_waitcnt vmcnt(0)
	v_mad_u64_u32 v[16:17], s[2:3], v11, s18, v[8:9]
	v_mad_u64_u32 v[10:11], s[2:3], v10, s18, v[0:1]
	v_mad_u64_u32 v[18:19], s[2:3], v13, s18, v[6:7]
	v_mad_u64_u32 v[12:13], s[2:3], v12, s18, v[2:3]
	v_mov_b32_e32 v11, v16
	v_mov_b32_e32 v13, v18
	global_store_dwordx4 v[14:15], v[10:13], off
	s_cbranch_execnz .LBB63_14
	s_branch .LBB63_45
.LBB63_44:
.LBB63_45:
	v_ashrrev_i32_e32 v5, 31, v4
	s_waitcnt lgkmcnt(0)
	v_lshl_add_u64 v[4:5], v[4:5], 2, s[0:1]
	v_mov_b32_e32 v1, v8
	v_mov_b32_e32 v3, v6
	global_store_dwordx4 v[4:5], v[0:3], off
	s_endpgm
	.section	.rodata,"a",@progbits
	.p2align	6, 0x0
	.amdhsa_kernel _ZN9rocsparseL18bsrxmvn_4x4_kernelILj128ELj32EiiiaaiEEvT3_20rocsparse_direction_NS_24const_host_device_scalarIT1_EES1_PKS1_PKT2_SA_S7_PKT4_PKT5_S5_PT6_21rocsparse_index_base_b
		.amdhsa_group_segment_fixed_size 0
		.amdhsa_private_segment_fixed_size 0
		.amdhsa_kernarg_size 96
		.amdhsa_user_sgpr_count 2
		.amdhsa_user_sgpr_dispatch_ptr 0
		.amdhsa_user_sgpr_queue_ptr 0
		.amdhsa_user_sgpr_kernarg_segment_ptr 1
		.amdhsa_user_sgpr_dispatch_id 0
		.amdhsa_user_sgpr_kernarg_preload_length 0
		.amdhsa_user_sgpr_kernarg_preload_offset 0
		.amdhsa_user_sgpr_private_segment_size 0
		.amdhsa_uses_dynamic_stack 0
		.amdhsa_enable_private_segment 0
		.amdhsa_system_sgpr_workgroup_id_x 1
		.amdhsa_system_sgpr_workgroup_id_y 0
		.amdhsa_system_sgpr_workgroup_id_z 0
		.amdhsa_system_sgpr_workgroup_info 0
		.amdhsa_system_vgpr_workitem_id 0
		.amdhsa_next_free_vgpr 71
		.amdhsa_next_free_sgpr 27
		.amdhsa_accum_offset 72
		.amdhsa_reserve_vcc 1
		.amdhsa_float_round_mode_32 0
		.amdhsa_float_round_mode_16_64 0
		.amdhsa_float_denorm_mode_32 3
		.amdhsa_float_denorm_mode_16_64 3
		.amdhsa_dx10_clamp 1
		.amdhsa_ieee_mode 1
		.amdhsa_fp16_overflow 0
		.amdhsa_tg_split 0
		.amdhsa_exception_fp_ieee_invalid_op 0
		.amdhsa_exception_fp_denorm_src 0
		.amdhsa_exception_fp_ieee_div_zero 0
		.amdhsa_exception_fp_ieee_overflow 0
		.amdhsa_exception_fp_ieee_underflow 0
		.amdhsa_exception_fp_ieee_inexact 0
		.amdhsa_exception_int_div_zero 0
	.end_amdhsa_kernel
	.section	.text._ZN9rocsparseL18bsrxmvn_4x4_kernelILj128ELj32EiiiaaiEEvT3_20rocsparse_direction_NS_24const_host_device_scalarIT1_EES1_PKS1_PKT2_SA_S7_PKT4_PKT5_S5_PT6_21rocsparse_index_base_b,"axG",@progbits,_ZN9rocsparseL18bsrxmvn_4x4_kernelILj128ELj32EiiiaaiEEvT3_20rocsparse_direction_NS_24const_host_device_scalarIT1_EES1_PKS1_PKT2_SA_S7_PKT4_PKT5_S5_PT6_21rocsparse_index_base_b,comdat
.Lfunc_end63:
	.size	_ZN9rocsparseL18bsrxmvn_4x4_kernelILj128ELj32EiiiaaiEEvT3_20rocsparse_direction_NS_24const_host_device_scalarIT1_EES1_PKS1_PKT2_SA_S7_PKT4_PKT5_S5_PT6_21rocsparse_index_base_b, .Lfunc_end63-_ZN9rocsparseL18bsrxmvn_4x4_kernelILj128ELj32EiiiaaiEEvT3_20rocsparse_direction_NS_24const_host_device_scalarIT1_EES1_PKS1_PKT2_SA_S7_PKT4_PKT5_S5_PT6_21rocsparse_index_base_b
                                        ; -- End function
	.set _ZN9rocsparseL18bsrxmvn_4x4_kernelILj128ELj32EiiiaaiEEvT3_20rocsparse_direction_NS_24const_host_device_scalarIT1_EES1_PKS1_PKT2_SA_S7_PKT4_PKT5_S5_PT6_21rocsparse_index_base_b.num_vgpr, 71
	.set _ZN9rocsparseL18bsrxmvn_4x4_kernelILj128ELj32EiiiaaiEEvT3_20rocsparse_direction_NS_24const_host_device_scalarIT1_EES1_PKS1_PKT2_SA_S7_PKT4_PKT5_S5_PT6_21rocsparse_index_base_b.num_agpr, 0
	.set _ZN9rocsparseL18bsrxmvn_4x4_kernelILj128ELj32EiiiaaiEEvT3_20rocsparse_direction_NS_24const_host_device_scalarIT1_EES1_PKS1_PKT2_SA_S7_PKT4_PKT5_S5_PT6_21rocsparse_index_base_b.numbered_sgpr, 27
	.set _ZN9rocsparseL18bsrxmvn_4x4_kernelILj128ELj32EiiiaaiEEvT3_20rocsparse_direction_NS_24const_host_device_scalarIT1_EES1_PKS1_PKT2_SA_S7_PKT4_PKT5_S5_PT6_21rocsparse_index_base_b.num_named_barrier, 0
	.set _ZN9rocsparseL18bsrxmvn_4x4_kernelILj128ELj32EiiiaaiEEvT3_20rocsparse_direction_NS_24const_host_device_scalarIT1_EES1_PKS1_PKT2_SA_S7_PKT4_PKT5_S5_PT6_21rocsparse_index_base_b.private_seg_size, 0
	.set _ZN9rocsparseL18bsrxmvn_4x4_kernelILj128ELj32EiiiaaiEEvT3_20rocsparse_direction_NS_24const_host_device_scalarIT1_EES1_PKS1_PKT2_SA_S7_PKT4_PKT5_S5_PT6_21rocsparse_index_base_b.uses_vcc, 1
	.set _ZN9rocsparseL18bsrxmvn_4x4_kernelILj128ELj32EiiiaaiEEvT3_20rocsparse_direction_NS_24const_host_device_scalarIT1_EES1_PKS1_PKT2_SA_S7_PKT4_PKT5_S5_PT6_21rocsparse_index_base_b.uses_flat_scratch, 0
	.set _ZN9rocsparseL18bsrxmvn_4x4_kernelILj128ELj32EiiiaaiEEvT3_20rocsparse_direction_NS_24const_host_device_scalarIT1_EES1_PKS1_PKT2_SA_S7_PKT4_PKT5_S5_PT6_21rocsparse_index_base_b.has_dyn_sized_stack, 0
	.set _ZN9rocsparseL18bsrxmvn_4x4_kernelILj128ELj32EiiiaaiEEvT3_20rocsparse_direction_NS_24const_host_device_scalarIT1_EES1_PKS1_PKT2_SA_S7_PKT4_PKT5_S5_PT6_21rocsparse_index_base_b.has_recursion, 0
	.set _ZN9rocsparseL18bsrxmvn_4x4_kernelILj128ELj32EiiiaaiEEvT3_20rocsparse_direction_NS_24const_host_device_scalarIT1_EES1_PKS1_PKT2_SA_S7_PKT4_PKT5_S5_PT6_21rocsparse_index_base_b.has_indirect_call, 0
	.section	.AMDGPU.csdata,"",@progbits
; Kernel info:
; codeLenInByte = 3960
; TotalNumSgprs: 33
; NumVgprs: 71
; NumAgprs: 0
; TotalNumVgprs: 71
; ScratchSize: 0
; MemoryBound: 0
; FloatMode: 240
; IeeeMode: 1
; LDSByteSize: 0 bytes/workgroup (compile time only)
; SGPRBlocks: 4
; VGPRBlocks: 8
; NumSGPRsForWavesPerEU: 33
; NumVGPRsForWavesPerEU: 71
; AccumOffset: 72
; Occupancy: 7
; WaveLimiterHint : 1
; COMPUTE_PGM_RSRC2:SCRATCH_EN: 0
; COMPUTE_PGM_RSRC2:USER_SGPR: 2
; COMPUTE_PGM_RSRC2:TRAP_HANDLER: 0
; COMPUTE_PGM_RSRC2:TGID_X_EN: 1
; COMPUTE_PGM_RSRC2:TGID_Y_EN: 0
; COMPUTE_PGM_RSRC2:TGID_Z_EN: 0
; COMPUTE_PGM_RSRC2:TIDIG_COMP_CNT: 0
; COMPUTE_PGM_RSRC3_GFX90A:ACCUM_OFFSET: 17
; COMPUTE_PGM_RSRC3_GFX90A:TG_SPLIT: 0
	.section	.text._ZN9rocsparseL18bsrxmvn_4x4_kernelILj128ELj64EiiiaaiEEvT3_20rocsparse_direction_NS_24const_host_device_scalarIT1_EES1_PKS1_PKT2_SA_S7_PKT4_PKT5_S5_PT6_21rocsparse_index_base_b,"axG",@progbits,_ZN9rocsparseL18bsrxmvn_4x4_kernelILj128ELj64EiiiaaiEEvT3_20rocsparse_direction_NS_24const_host_device_scalarIT1_EES1_PKS1_PKT2_SA_S7_PKT4_PKT5_S5_PT6_21rocsparse_index_base_b,comdat
	.globl	_ZN9rocsparseL18bsrxmvn_4x4_kernelILj128ELj64EiiiaaiEEvT3_20rocsparse_direction_NS_24const_host_device_scalarIT1_EES1_PKS1_PKT2_SA_S7_PKT4_PKT5_S5_PT6_21rocsparse_index_base_b ; -- Begin function _ZN9rocsparseL18bsrxmvn_4x4_kernelILj128ELj64EiiiaaiEEvT3_20rocsparse_direction_NS_24const_host_device_scalarIT1_EES1_PKS1_PKT2_SA_S7_PKT4_PKT5_S5_PT6_21rocsparse_index_base_b
	.p2align	8
	.type	_ZN9rocsparseL18bsrxmvn_4x4_kernelILj128ELj64EiiiaaiEEvT3_20rocsparse_direction_NS_24const_host_device_scalarIT1_EES1_PKS1_PKT2_SA_S7_PKT4_PKT5_S5_PT6_21rocsparse_index_base_b,@function
_ZN9rocsparseL18bsrxmvn_4x4_kernelILj128ELj64EiiiaaiEEvT3_20rocsparse_direction_NS_24const_host_device_scalarIT1_EES1_PKS1_PKT2_SA_S7_PKT4_PKT5_S5_PT6_21rocsparse_index_base_b: ; @_ZN9rocsparseL18bsrxmvn_4x4_kernelILj128ELj64EiiiaaiEEvT3_20rocsparse_direction_NS_24const_host_device_scalarIT1_EES1_PKS1_PKT2_SA_S7_PKT4_PKT5_S5_PT6_21rocsparse_index_base_b
; %bb.0:
	s_load_dwordx2 s[12:13], s[0:1], 0x58
	s_load_dwordx2 s[8:9], s[0:1], 0x8
	s_mov_b64 s[10:11], -1
	s_waitcnt lgkmcnt(0)
	s_bitcmp1_b32 s13, 0
	s_cselect_b64 s[4:5], -1, 0
	s_xor_b64 s[6:7], s[4:5], -1
	s_and_b64 vcc, exec, s[6:7]
                                        ; implicit-def: $sgpr13
	s_cbranch_vccnz .LBB64_4
; %bb.1:
	s_load_dwordx2 s[4:5], s[0:1], 0x48
	s_andn2_b64 vcc, exec, s[10:11]
	s_cbranch_vccz .LBB64_5
.LBB64_2:
	s_and_b64 vcc, exec, s[6:7]
	s_cbranch_vccz .LBB64_6
.LBB64_3:
	s_waitcnt lgkmcnt(0)
	s_load_dword s18, s[4:5], 0x0
	s_cbranch_execz .LBB64_7
	s_branch .LBB64_8
.LBB64_4:
	s_load_dword s13, s[8:9], 0x0
	s_load_dwordx2 s[4:5], s[0:1], 0x48
	s_cbranch_execnz .LBB64_2
.LBB64_5:
	s_waitcnt lgkmcnt(0)
	s_mov_b32 s13, s8
	s_and_b64 vcc, exec, s[6:7]
	s_cbranch_vccnz .LBB64_3
.LBB64_6:
                                        ; implicit-def: $sgpr18
.LBB64_7:
	s_waitcnt lgkmcnt(0)
	s_mov_b32 s18, s4
.LBB64_8:
	s_waitcnt lgkmcnt(0)
	s_cmp_lg_u32 s13, 0
	s_cselect_b64 s[4:5], -1, 0
	s_cmp_lg_u32 s18, 1
	s_cselect_b64 s[6:7], -1, 0
	s_or_b64 s[4:5], s[4:5], s[6:7]
	s_andn2_b64 vcc, exec, s[4:5]
	s_cbranch_vccnz .LBB64_14
; %bb.9:
	s_load_dwordx2 s[4:5], s[0:1], 0x18
	s_load_dwordx2 s[14:15], s[0:1], 0x0
	v_lshrrev_b32_e32 v1, 6, v0
	v_lshl_or_b32 v4, s2, 1, v1
	s_mov_b64 s[2:3], 0
	s_waitcnt lgkmcnt(0)
	s_cmp_lg_u64 s[4:5], 0
	s_cbranch_scc0 .LBB64_15
; %bb.10:
	s_load_dword s6, s[0:1], 0x10
                                        ; implicit-def: $vgpr1
	s_waitcnt lgkmcnt(0)
	v_cmp_gt_i32_e32 vcc, s6, v4
	s_and_saveexec_b64 s[6:7], vcc
	s_xor_b64 s[6:7], exec, s[6:7]
	s_cbranch_execz .LBB64_12
; %bb.11:
	v_ashrrev_i32_e32 v5, 31, v4
	v_lshl_add_u64 v[2:3], v[4:5], 2, s[4:5]
	global_load_dword v1, v[2:3], off
	s_mov_b64 s[2:3], exec
	s_waitcnt vmcnt(0)
	v_subrev_u32_e32 v1, s12, v1
.LBB64_12:
	s_or_b64 exec, exec, s[6:7]
	s_branch .LBB64_16
.LBB64_13:
	v_cmp_gt_i32_e32 vcc, s14, v4
	s_andn2_b64 s[2:3], s[2:3], exec
	s_and_b64 s[4:5], vcc, exec
	s_or_b64 s[2:3], s[2:3], s[4:5]
	s_and_saveexec_b64 s[4:5], s[2:3]
	s_cbranch_execnz .LBB64_17
.LBB64_14:
	s_endpgm
.LBB64_15:
                                        ; implicit-def: $vgpr1
	s_cbranch_execnz .LBB64_13
.LBB64_16:
	v_mov_b32_e32 v4, v1
	s_and_saveexec_b64 s[4:5], s[2:3]
	s_cbranch_execz .LBB64_14
.LBB64_17:
	s_load_dwordx8 s[4:11], s[0:1], 0x20
	v_ashrrev_i32_e32 v5, 31, v4
	v_lshlrev_b64 v[2:3], 2, v[4:5]
	v_and_b32_e32 v5, 63, v0
	s_waitcnt lgkmcnt(0)
	v_lshl_add_u64 v[6:7], s[4:5], 0, v[2:3]
	s_cmp_eq_u64 s[6:7], 0
	global_load_dword v15, v[6:7], off
	v_lshl_add_u64 v[6:7], v[6:7], 0, 4
	v_lshl_add_u64 v[2:3], s[6:7], 0, v[2:3]
	s_cselect_b64 vcc, -1, 0
	v_cndmask_b32_e32 v3, v3, v7, vcc
	v_cndmask_b32_e32 v2, v2, v6, vcc
	global_load_dword v1, v[2:3], off
	s_load_dwordx2 s[4:5], s[0:1], 0x40
	s_cmp_eq_u32 s15, 1
	s_waitcnt vmcnt(1)
	v_subrev_u32_e32 v0, s12, v15
	v_add_u32_e32 v6, v0, v5
	v_ashrrev_i32_e32 v7, 31, v6
	v_lshl_add_u64 v[8:9], v[6:7], 4, s[10:11]
	s_waitcnt vmcnt(0)
	v_subrev_u32_e32 v10, s12, v1
	v_cmp_lt_i32_e64 s[2:3], v6, v10
	s_cbranch_scc1 .LBB64_29
; %bb.18:
	v_mov_b32_e32 v11, 0
	v_mov_b32_e32 v13, 0
	;; [unrolled: 1-line block ×4, first 2 shown]
	s_and_saveexec_b64 s[6:7], s[2:3]
	s_cbranch_execz .LBB64_28
; %bb.19:
	v_add_u32_e32 v0, v15, v5
	v_subrev_u32_e32 v0, s12, v0
	v_add_u32_e32 v0, 64, v0
	v_max_i32_e32 v0, v0, v10
	v_not_b32_e32 v1, v15
	v_add3_u32 v0, s12, v0, v1
	v_sub_u32_e32 v0, v0, v5
	v_lshrrev_b32_e32 v1, 6, v0
	s_movk_i32 s10, 0xbf
	v_add_u32_e32 v7, 1, v1
	v_cmp_lt_u32_e32 vcc, s10, v0
	v_mov_b32_e32 v12, 0
	v_mov_b32_e32 v14, 0
	;; [unrolled: 1-line block ×5, first 2 shown]
	v_mov_b64_e32 v[2:3], v[8:9]
	s_and_saveexec_b64 s[10:11], vcc
	s_cbranch_execz .LBB64_23
; %bb.20:
	v_and_b32_e32 v16, 0x7fffffc, v7
	v_mov_b32_e32 v11, 0
	s_mov_b64 s[14:15], 0
	s_mov_b32 s19, 0xc0c0100
	s_mov_b32 s20, 0xc0c0302
	s_mov_b64 s[16:17], 0x1000
	v_mov_b64_e32 v[2:3], v[8:9]
	v_mov_b32_e32 v0, v6
	v_mov_b32_e32 v13, 0
	;; [unrolled: 1-line block ×4, first 2 shown]
.LBB64_21:                              ; =>This Inner Loop Header: Depth=1
	v_ashrrev_i32_e32 v1, 31, v0
	v_lshl_add_u64 v[34:35], v[0:1], 2, s[8:9]
	global_load_dword v1, v[34:35], off
	global_load_dword v17, v[34:35], off offset:256
	global_load_dword v36, v[34:35], off offset:512
	;; [unrolled: 1-line block ×3, first 2 shown]
	global_load_dwordx4 v[18:21], v[2:3], off
	global_load_dwordx4 v[22:25], v[2:3], off offset:1024
	global_load_dwordx4 v[26:29], v[2:3], off offset:2048
	;; [unrolled: 1-line block ×3, first 2 shown]
	v_add_u32_e32 v16, -4, v16
	v_cmp_eq_u32_e32 vcc, 0, v16
	v_lshl_add_u64 v[2:3], v[2:3], 0, s[16:17]
	v_add_u32_e32 v0, 0x100, v0
	s_or_b64 s[14:15], vcc, s[14:15]
	s_waitcnt vmcnt(7)
	v_subrev_u32_e32 v1, s12, v1
	s_waitcnt vmcnt(6)
	v_subrev_u32_e32 v17, s12, v17
	;; [unrolled: 2-line block ×4, first 2 shown]
	v_lshlrev_b32_e32 v34, 2, v1
	v_lshlrev_b32_e32 v36, 2, v17
	;; [unrolled: 1-line block ×4, first 2 shown]
	v_ashrrev_i32_e32 v35, 31, v34
	v_ashrrev_i32_e32 v37, 31, v36
	;; [unrolled: 1-line block ×4, first 2 shown]
	s_waitcnt lgkmcnt(0)
	v_lshl_add_u64 v[34:35], s[4:5], 0, v[34:35]
	v_lshl_add_u64 v[36:37], s[4:5], 0, v[36:37]
	;; [unrolled: 1-line block ×4, first 2 shown]
	global_load_dword v1, v[34:35], off
	global_load_dword v17, v[36:37], off
	global_load_dword v42, v[38:39], off
	global_load_dword v43, v[40:41], off
	s_waitcnt vmcnt(7)
	v_perm_b32 v34, v21, v21, s19
	v_perm_b32 v35, v20, v20, s19
	v_perm_b32 v36, v19, v19, s19
	v_perm_b32 v37, v18, v18, s19
	v_perm_b32 v18, v18, v18, s20
	v_perm_b32 v19, v19, v19, s20
	v_perm_b32 v20, v20, v20, s20
	v_perm_b32 v21, v21, v21, s20
	s_waitcnt vmcnt(6)
	v_perm_b32 v38, v25, v25, s19
	v_perm_b32 v39, v24, v24, s19
	v_perm_b32 v40, v23, v23, s19
	v_perm_b32 v41, v22, v22, s19
	v_perm_b32 v22, v22, v22, s20
	v_perm_b32 v23, v23, v23, s20
	v_perm_b32 v24, v24, v24, s20
	v_perm_b32 v25, v25, v25, s20
	;; [unrolled: 9-line block ×4, first 2 shown]
	s_waitcnt vmcnt(3)
	v_perm_b32 v52, v1, v1, s19
	v_perm_b32 v1, v1, v1, s20
	v_dot4c_i32_i8_e32 v11, v34, v52
	v_dot4c_i32_i8_e32 v13, v35, v52
	v_dot4c_i32_i8_e32 v14, v36, v52
	v_dot4c_i32_i8_e32 v12, v52, v37
	s_waitcnt vmcnt(2)
	v_perm_b32 v53, v17, v17, s19
	v_dot4c_i32_i8_e32 v12, v1, v18
	v_dot4c_i32_i8_e32 v14, v1, v19
	v_dot4c_i32_i8_e32 v13, v1, v20
	v_dot4c_i32_i8_e32 v11, v1, v21
	v_perm_b32 v17, v17, v17, s20
	v_dot4c_i32_i8_e32 v11, v38, v53
	v_dot4c_i32_i8_e32 v13, v39, v53
	v_dot4c_i32_i8_e32 v14, v40, v53
	v_dot4c_i32_i8_e32 v12, v53, v41
	s_waitcnt vmcnt(1)
	v_perm_b32 v54, v42, v42, s19
	v_dot4c_i32_i8_e32 v12, v17, v22
	v_dot4c_i32_i8_e32 v14, v17, v23
	v_dot4c_i32_i8_e32 v13, v17, v24
	v_dot4c_i32_i8_e32 v11, v17, v25
	;; [unrolled: 11-line block ×3, first 2 shown]
	v_perm_b32 v43, v43, v43, s20
	v_dot4c_i32_i8_e32 v11, v48, v55
	v_dot4c_i32_i8_e32 v13, v49, v55
	;; [unrolled: 1-line block ×8, first 2 shown]
	s_andn2_b64 exec, exec, s[14:15]
	s_cbranch_execnz .LBB64_21
; %bb.22:
	s_or_b64 exec, exec, s[14:15]
.LBB64_23:
	s_or_b64 exec, exec, s[10:11]
	v_and_b32_e32 v1, 3, v7
	v_cmp_ne_u32_e32 vcc, 0, v1
	s_and_saveexec_b64 s[10:11], vcc
	s_cbranch_execz .LBB64_27
; %bb.24:
	v_lshlrev_b32_e32 v7, 4, v1
	s_mov_b64 s[14:15], 0
	s_mov_b32 s19, 0xc0c0100
	s_mov_b32 s20, 0xc0c0302
	s_mov_b64 s[16:17], 0x400
.LBB64_25:                              ; =>This Inner Loop Header: Depth=1
	v_ashrrev_i32_e32 v1, 31, v0
	v_lshl_add_u64 v[20:21], v[0:1], 2, s[8:9]
	global_load_dword v1, v[20:21], off
	global_load_dwordx4 v[16:19], v[2:3], off
	v_add_u32_e32 v7, -16, v7
	v_cmp_eq_u32_e32 vcc, 0, v7
	v_lshl_add_u64 v[2:3], v[2:3], 0, s[16:17]
	v_add_u32_e32 v0, 64, v0
	s_or_b64 s[14:15], vcc, s[14:15]
	s_waitcnt vmcnt(1)
	v_subrev_u32_e32 v1, s12, v1
	v_lshlrev_b32_e32 v20, 2, v1
	v_ashrrev_i32_e32 v21, 31, v20
	s_waitcnt lgkmcnt(0)
	v_lshl_add_u64 v[20:21], s[4:5], 0, v[20:21]
	global_load_dword v1, v[20:21], off
	s_waitcnt vmcnt(1)
	v_perm_b32 v20, v19, v19, s19
	v_perm_b32 v21, v18, v18, s19
	;; [unrolled: 1-line block ×8, first 2 shown]
	s_waitcnt vmcnt(0)
	v_perm_b32 v24, v1, v1, s19
	v_perm_b32 v1, v1, v1, s20
	v_dot4c_i32_i8_e32 v11, v20, v24
	v_dot4c_i32_i8_e32 v13, v21, v24
	;; [unrolled: 1-line block ×8, first 2 shown]
	s_andn2_b64 exec, exec, s[14:15]
	s_cbranch_execnz .LBB64_25
; %bb.26:
	s_or_b64 exec, exec, s[14:15]
.LBB64_27:
	s_or_b64 exec, exec, s[10:11]
.LBB64_28:
	s_or_b64 exec, exec, s[6:7]
	s_cbranch_execz .LBB64_30
	s_branch .LBB64_41
.LBB64_29:
                                        ; implicit-def: $vgpr11
                                        ; implicit-def: $vgpr13
                                        ; implicit-def: $vgpr14
                                        ; implicit-def: $vgpr12
.LBB64_30:
	v_mov_b32_e32 v11, 0
	v_mov_b32_e32 v13, 0
	;; [unrolled: 1-line block ×4, first 2 shown]
	s_and_saveexec_b64 s[6:7], s[2:3]
	s_cbranch_execz .LBB64_40
; %bb.31:
	v_add_u32_e32 v0, v15, v5
	v_subrev_u32_e32 v0, s12, v0
	v_add_u32_e32 v0, 64, v0
	v_max_i32_e32 v0, v0, v10
	v_not_b32_e32 v1, v15
	v_add3_u32 v0, s12, v0, v1
	v_sub_u32_e32 v0, v0, v5
	s_movk_i32 s2, 0xc0
	v_and_b32_e32 v1, 0xc0, v0
	v_cmp_ne_u32_e32 vcc, s2, v1
	v_mov_b32_e32 v11, 0
	v_mov_b32_e32 v13, 0
	;; [unrolled: 1-line block ×4, first 2 shown]
	s_and_saveexec_b64 s[2:3], vcc
	s_cbranch_execz .LBB64_35
; %bb.32:
	v_lshrrev_b32_e32 v1, 6, v0
	v_add_u32_e32 v1, 1, v1
	v_and_b32_e32 v1, 3, v1
	v_mov_b32_e32 v12, 0
	v_sub_u32_e32 v1, 0, v1
	s_mov_b64 s[10:11], 0
	s_mov_b32 s16, 0x5040100
	s_mov_b32 s17, 0xc0c0703
	;; [unrolled: 1-line block ×6, first 2 shown]
	s_mov_b64 s[14:15], 0x400
	v_mov_b32_e32 v14, 0
	v_mov_b32_e32 v13, 0
	;; [unrolled: 1-line block ×3, first 2 shown]
.LBB64_33:                              ; =>This Inner Loop Header: Depth=1
	v_ashrrev_i32_e32 v7, 31, v6
	v_lshl_add_u64 v[2:3], v[6:7], 2, s[8:9]
	global_load_dword v7, v[2:3], off
	global_load_dwordx4 v[16:19], v[8:9], off
	v_add_co_u32_e32 v1, vcc, 1, v1
	v_lshl_add_u64 v[8:9], v[8:9], 0, s[14:15]
	v_add_u32_e32 v6, 64, v6
	s_or_b64 s[10:11], vcc, s[10:11]
	s_waitcnt vmcnt(1)
	v_subrev_u32_e32 v2, s12, v7
	v_lshlrev_b32_e32 v2, 2, v2
	v_ashrrev_i32_e32 v3, 31, v2
	s_waitcnt lgkmcnt(0)
	v_lshl_add_u64 v[2:3], s[4:5], 0, v[2:3]
	global_load_dword v2, v[2:3], off
	s_waitcnt vmcnt(1)
	v_lshrrev_b32_e32 v3, 16, v17
	v_ashrrev_i16_e32 v7, 8, v17
	v_bfe_i32 v15, v17, 0, 8
	v_perm_b32 v17, v19, v18, s17
	v_perm_b32 v20, v19, v18, s20
	;; [unrolled: 1-line block ×4, first 2 shown]
	v_ashrrev_i16_e32 v19, 8, v3
	v_bfe_i32 v3, v3, 0, 8
	v_perm_b32 v7, v7, v15, s16
	v_perm_b32 v3, v19, v3, s16
	s_waitcnt vmcnt(0)
	v_lshrrev_b32_e32 v15, 8, v2
	v_bfe_i32 v15, v15, 0, 8
	v_pk_mul_lo_u16 v3, v15, v3 op_sel_hi:[0,1]
	v_pk_mul_lo_u16 v7, v15, v7 op_sel_hi:[0,1]
	v_mul_i32_i24_sdwa v19, sext(v2), sext(v16) dst_sel:DWORD dst_unused:UNUSED_PAD src0_sel:BYTE_0 src1_sel:BYTE_1
	v_mul_i32_i24_sdwa v22, sext(v2), sext(v16) dst_sel:DWORD dst_unused:UNUSED_PAD src0_sel:BYTE_0 src1_sel:BYTE_0
	v_mul_i32_i24_sdwa v23, sext(v2), sext(v16) dst_sel:DWORD dst_unused:UNUSED_PAD src0_sel:BYTE_0 src1_sel:BYTE_3
	v_mul_i32_i24_sdwa v16, sext(v2), sext(v16) dst_sel:DWORD dst_unused:UNUSED_PAD src0_sel:BYTE_0 src1_sel:BYTE_2
	v_ashrrev_i32_e32 v15, 16, v3
	v_bfe_i32 v3, v3, 0, 16
	v_ashrrev_i32_e32 v24, 16, v7
	v_bfe_i32 v7, v7, 0, 16
	v_perm_b32 v2, v2, v2, s19
	v_add3_u32 v12, v22, v12, v7
	v_add3_u32 v14, v19, v14, v24
	;; [unrolled: 1-line block ×4, first 2 shown]
	v_dot4c_i32_i8_e32 v11, v2, v17
	v_dot4c_i32_i8_e32 v13, v2, v20
	;; [unrolled: 1-line block ×4, first 2 shown]
	s_andn2_b64 exec, exec, s[10:11]
	s_cbranch_execnz .LBB64_33
; %bb.34:
	s_or_b64 exec, exec, s[10:11]
.LBB64_35:
	s_or_b64 exec, exec, s[2:3]
	s_movk_i32 s2, 0xbf
	v_cmp_lt_u32_e32 vcc, s2, v0
	s_and_saveexec_b64 s[2:3], vcc
	s_cbranch_execz .LBB64_39
; %bb.36:
	s_mov_b64 s[10:11], 0
	s_mov_b32 s16, 0x5040100
	s_mov_b32 s17, 0xc0c0501
	;; [unrolled: 1-line block ×6, first 2 shown]
	s_mov_b64 s[14:15], 0x1000
.LBB64_37:                              ; =>This Inner Loop Header: Depth=1
	v_ashrrev_i32_e32 v7, 31, v6
	global_load_dwordx4 v[0:3], v[8:9], off
	global_load_dwordx4 v[16:19], v[8:9], off offset:1024
	global_load_dwordx4 v[20:23], v[8:9], off offset:2048
	;; [unrolled: 1-line block ×3, first 2 shown]
	v_lshl_add_u64 v[28:29], v[6:7], 2, s[8:9]
	global_load_dword v7, v[28:29], off
	global_load_dword v15, v[28:29], off offset:256
	global_load_dword v30, v[28:29], off offset:512
	;; [unrolled: 1-line block ×3, first 2 shown]
	v_add_u32_e32 v6, 0x100, v6
	v_cmp_ge_i32_e32 vcc, v6, v10
	v_lshl_add_u64 v[8:9], v[8:9], 0, s[14:15]
	s_or_b64 s[10:11], vcc, s[10:11]
	s_waitcnt vmcnt(7)
	v_lshrrev_b32_e32 v28, 16, v1
	v_perm_b32 v32, v3, v2, s17
	v_perm_b32 v33, v3, v2, s20
	;; [unrolled: 1-line block ×4, first 2 shown]
	s_waitcnt vmcnt(6)
	v_lshrrev_b32_e32 v2, 16, v17
	v_ashrrev_i16_e32 v3, 8, v17
	v_bfe_i32 v17, v17, 0, 8
	v_perm_b32 v36, v19, v18, s21
	v_perm_b32 v37, v19, v18, s22
	;; [unrolled: 1-line block ×4, first 2 shown]
	s_waitcnt vmcnt(5)
	v_lshrrev_b32_e32 v18, 16, v21
	v_ashrrev_i16_e32 v19, 8, v21
	v_bfe_i32 v21, v21, 0, 8
	s_waitcnt vmcnt(4)
	v_perm_b32 v44, v27, v26, s21
	v_perm_b32 v45, v27, v26, s22
	;; [unrolled: 1-line block ×4, first 2 shown]
	v_ashrrev_i16_e32 v26, 8, v28
	v_bfe_i32 v27, v28, 0, 8
	v_ashrrev_i16_e32 v28, 8, v2
	v_bfe_i32 v2, v2, 0, 8
	v_perm_b32 v17, v3, v17, s16
	v_ashrrev_i16_e32 v3, 8, v18
	v_bfe_i32 v18, v18, 0, 8
	s_waitcnt vmcnt(3)
	v_subrev_u32_e32 v7, s12, v7
	v_ashrrev_i16_e32 v29, 8, v1
	v_bfe_i32 v1, v1, 0, 8
	v_perm_b32 v40, v23, v22, s21
	v_perm_b32 v41, v23, v22, s22
	;; [unrolled: 1-line block ×4, first 2 shown]
	v_lshrrev_b32_e32 v22, 16, v25
	v_perm_b32 v21, v19, v21, s16
	s_waitcnt vmcnt(2)
	v_subrev_u32_e32 v15, s12, v15
	v_perm_b32 v28, v28, v2, s16
	s_waitcnt vmcnt(1)
	v_subrev_u32_e32 v19, s12, v30
	;; [unrolled: 3-line block ×3, first 2 shown]
	v_lshlrev_b32_e32 v2, 2, v7
	v_ashrrev_i16_e32 v23, 8, v25
	v_bfe_i32 v25, v25, 0, 8
	v_perm_b32 v1, v29, v1, s16
	v_ashrrev_i16_e32 v29, 8, v22
	v_bfe_i32 v48, v22, 0, 8
	v_perm_b32 v49, v26, v27, s16
	v_lshlrev_b32_e32 v18, 2, v15
	v_lshlrev_b32_e32 v22, 2, v19
	;; [unrolled: 1-line block ×3, first 2 shown]
	v_ashrrev_i32_e32 v3, 31, v2
	v_perm_b32 v25, v23, v25, s16
	v_ashrrev_i32_e32 v19, 31, v18
	v_ashrrev_i32_e32 v23, 31, v22
	;; [unrolled: 1-line block ×3, first 2 shown]
	s_waitcnt lgkmcnt(0)
	v_lshl_add_u64 v[2:3], s[4:5], 0, v[2:3]
	v_lshl_add_u64 v[18:19], s[4:5], 0, v[18:19]
	;; [unrolled: 1-line block ×4, first 2 shown]
	global_load_dword v7, v[2:3], off
	global_load_dword v15, v[18:19], off
	;; [unrolled: 1-line block ×4, first 2 shown]
	v_perm_b32 v2, v29, v48, s16
	s_waitcnt vmcnt(3)
	v_lshrrev_b32_e32 v3, 8, v7
	s_waitcnt vmcnt(2)
	v_lshrrev_b32_e32 v23, 8, v15
	;; [unrolled: 2-line block ×3, first 2 shown]
	v_bfe_i32 v3, v3, 0, 8
	v_bfe_i32 v23, v23, 0, 8
	;; [unrolled: 1-line block ×3, first 2 shown]
	v_pk_mul_lo_u16 v49, v3, v49 op_sel_hi:[0,1]
	v_pk_mul_lo_u16 v1, v3, v1 op_sel_hi:[0,1]
	v_mul_i32_i24_sdwa v18, sext(v7), sext(v0) dst_sel:DWORD dst_unused:UNUSED_PAD src0_sel:BYTE_0 src1_sel:BYTE_1
	v_mul_i32_i24_sdwa v19, sext(v7), sext(v0) dst_sel:DWORD dst_unused:UNUSED_PAD src0_sel:BYTE_0 src1_sel:BYTE_0
	v_mul_i32_i24_sdwa v22, sext(v7), sext(v0) dst_sel:DWORD dst_unused:UNUSED_PAD src0_sel:BYTE_0 src1_sel:BYTE_3
	v_mul_i32_i24_sdwa v0, sext(v7), sext(v0) dst_sel:DWORD dst_unused:UNUSED_PAD src0_sel:BYTE_0 src1_sel:BYTE_2
	s_waitcnt vmcnt(0)
	v_lshrrev_b32_e32 v54, 8, v50
	v_pk_mul_lo_u16 v3, v23, v28 op_sel_hi:[0,1]
	v_pk_mul_lo_u16 v17, v23, v17 op_sel_hi:[0,1]
	;; [unrolled: 1-line block ×4, first 2 shown]
	v_ashrrev_i32_e32 v28, 16, v49
	v_bfe_i32 v30, v49, 0, 16
	v_ashrrev_i32_e32 v48, 16, v1
	v_bfe_i32 v1, v1, 0, 16
	v_perm_b32 v7, v7, v7, s19
	v_bfe_i32 v54, v54, 0, 8
	v_add3_u32 v0, v0, v13, v30
	v_add3_u32 v11, v22, v11, v28
	;; [unrolled: 1-line block ×4, first 2 shown]
	v_mul_i32_i24_sdwa v26, sext(v15), sext(v16) dst_sel:DWORD dst_unused:UNUSED_PAD src0_sel:BYTE_0 src1_sel:BYTE_1
	v_mul_i32_i24_sdwa v27, sext(v15), sext(v16) dst_sel:DWORD dst_unused:UNUSED_PAD src0_sel:BYTE_0 src1_sel:BYTE_0
	v_mul_i32_i24_sdwa v29, sext(v15), sext(v16) dst_sel:DWORD dst_unused:UNUSED_PAD src0_sel:BYTE_0 src1_sel:BYTE_3
	v_mul_i32_i24_sdwa v16, sext(v15), sext(v16) dst_sel:DWORD dst_unused:UNUSED_PAD src0_sel:BYTE_0 src1_sel:BYTE_2
	v_pk_mul_lo_u16 v2, v54, v2 op_sel_hi:[0,1]
	v_pk_mul_lo_u16 v25, v54, v25 op_sel_hi:[0,1]
	v_ashrrev_i32_e32 v49, 16, v3
	v_bfe_i32 v3, v3, 0, 16
	v_ashrrev_i32_e32 v54, 16, v17
	v_bfe_i32 v17, v17, 0, 16
	v_dot4c_i32_i8_e32 v12, v7, v32
	v_dot4c_i32_i8_e32 v1, v7, v33
	;; [unrolled: 1-line block ×4, first 2 shown]
	v_perm_b32 v15, v15, v15, s19
	v_add3_u32 v1, v27, v1, v17
	v_add3_u32 v7, v26, v12, v54
	;; [unrolled: 1-line block ×4, first 2 shown]
	v_mul_i32_i24_sdwa v51, sext(v31), sext(v20) dst_sel:DWORD dst_unused:UNUSED_PAD src0_sel:BYTE_0 src1_sel:BYTE_1
	v_mul_i32_i24_sdwa v52, sext(v31), sext(v20) dst_sel:DWORD dst_unused:UNUSED_PAD src0_sel:BYTE_0 src1_sel:BYTE_0
	v_mul_i32_i24_sdwa v53, sext(v31), sext(v20) dst_sel:DWORD dst_unused:UNUSED_PAD src0_sel:BYTE_0 src1_sel:BYTE_3
	v_mul_i32_i24_sdwa v20, sext(v31), sext(v20) dst_sel:DWORD dst_unused:UNUSED_PAD src0_sel:BYTE_0 src1_sel:BYTE_2
	v_ashrrev_i32_e32 v58, 16, v23
	v_bfe_i32 v23, v23, 0, 16
	v_ashrrev_i32_e32 v59, 16, v21
	v_bfe_i32 v21, v21, 0, 16
	v_dot4c_i32_i8_e32 v3, v15, v36
	v_dot4c_i32_i8_e32 v0, v15, v37
	;; [unrolled: 1-line block ×4, first 2 shown]
	v_perm_b32 v31, v31, v31, s19
	v_add3_u32 v0, v20, v0, v23
	v_add3_u32 v3, v53, v3, v58
	;; [unrolled: 1-line block ×4, first 2 shown]
	v_mul_i32_i24_sdwa v55, sext(v50), sext(v24) dst_sel:DWORD dst_unused:UNUSED_PAD src0_sel:BYTE_0 src1_sel:BYTE_1
	v_mul_i32_i24_sdwa v56, sext(v50), sext(v24) dst_sel:DWORD dst_unused:UNUSED_PAD src0_sel:BYTE_0 src1_sel:BYTE_0
	v_mul_i32_i24_sdwa v57, sext(v50), sext(v24) dst_sel:DWORD dst_unused:UNUSED_PAD src0_sel:BYTE_0 src1_sel:BYTE_3
	v_mul_i32_i24_sdwa v24, sext(v50), sext(v24) dst_sel:DWORD dst_unused:UNUSED_PAD src0_sel:BYTE_0 src1_sel:BYTE_2
	v_ashrrev_i32_e32 v60, 16, v2
	v_bfe_i32 v2, v2, 0, 16
	v_ashrrev_i32_e32 v30, 16, v25
	v_bfe_i32 v25, v25, 0, 16
	v_dot4c_i32_i8_e32 v3, v31, v40
	v_dot4c_i32_i8_e32 v0, v31, v41
	;; [unrolled: 1-line block ×4, first 2 shown]
	v_perm_b32 v50, v50, v50, s19
	v_add3_u32 v13, v24, v0, v2
	v_add3_u32 v11, v57, v3, v60
	;; [unrolled: 1-line block ×4, first 2 shown]
	v_dot4c_i32_i8_e32 v11, v50, v44
	v_dot4c_i32_i8_e32 v13, v50, v45
	;; [unrolled: 1-line block ×4, first 2 shown]
	s_andn2_b64 exec, exec, s[10:11]
	s_cbranch_execnz .LBB64_37
; %bb.38:
	s_or_b64 exec, exec, s[10:11]
.LBB64_39:
	s_or_b64 exec, exec, s[2:3]
.LBB64_40:
	s_or_b64 exec, exec, s[6:7]
.LBB64_41:
	v_mov_b32_dpp v0, v12 row_shr:1 row_mask:0xf bank_mask:0xf
	v_mov_b32_dpp v1, v14 row_shr:1 row_mask:0xf bank_mask:0xf
	v_mov_b32_dpp v2, v13 row_shr:1 row_mask:0xf bank_mask:0xf
	v_mov_b32_dpp v3, v11 row_shr:1 row_mask:0xf bank_mask:0xf
	v_add_u32_e32 v3, v3, v11
	v_add_u32_e32 v2, v2, v13
	v_add_u32_e32 v1, v1, v14
	v_add_u32_e32 v0, v0, v12
	v_mov_b32_dpp v8, v2 row_shr:2 row_mask:0xf bank_mask:0xf
	v_mov_b32_dpp v7, v1 row_shr:2 row_mask:0xf bank_mask:0xf
	v_mov_b32_dpp v6, v0 row_shr:2 row_mask:0xf bank_mask:0xf
	v_mov_b32_dpp v9, v3 row_shr:2 row_mask:0xf bank_mask:0xf
	v_add_u32_e32 v3, v3, v9
	v_add_u32_e32 v2, v2, v8
	v_add_u32_e32 v1, v1, v7
	v_add_u32_e32 v0, v0, v6
	;; [unrolled: 8-line block ×4, first 2 shown]
	v_mov_b32_dpp v1, v2 row_bcast:15 row_mask:0xa bank_mask:0xf
	v_mov_b32_dpp v9, v7 row_bcast:15 row_mask:0xa bank_mask:0xf
	;; [unrolled: 1-line block ×4, first 2 shown]
	v_add_u32_e32 v0, v3, v0
	v_add_u32_e32 v1, v2, v1
	;; [unrolled: 1-line block ×4, first 2 shown]
	v_mov_b32_dpp v8, v1 row_bcast:31 row_mask:0xc bank_mask:0xf
	v_mov_b32_dpp v7, v2 row_bcast:31 row_mask:0xc bank_mask:0xf
	;; [unrolled: 1-line block ×4, first 2 shown]
	v_cmp_eq_u32_e32 vcc, 63, v5
	s_and_b64 exec, exec, vcc
	s_cbranch_execz .LBB64_14
; %bb.42:
	s_load_dwordx2 s[0:1], s[0:1], 0x50
	v_add_u32_e32 v5, v0, v9
	v_add_u32_e32 v1, v1, v8
	;; [unrolled: 1-line block ×4, first 2 shown]
	s_cmp_eq_u32 s18, 0
	v_lshlrev_b32_e32 v4, 2, v4
	v_mul_lo_u32 v0, v0, s13
	v_mul_lo_u32 v8, v2, s13
	;; [unrolled: 1-line block ×4, first 2 shown]
	s_cbranch_scc1 .LBB64_44
; %bb.43:
	v_ashrrev_i32_e32 v5, 31, v4
	s_waitcnt lgkmcnt(0)
	v_lshl_add_u64 v[14:15], v[4:5], 2, s[0:1]
	global_load_dwordx4 v[10:13], v[14:15], off
	s_waitcnt vmcnt(0)
	v_mad_u64_u32 v[16:17], s[2:3], v11, s18, v[8:9]
	v_mad_u64_u32 v[10:11], s[2:3], v10, s18, v[0:1]
	;; [unrolled: 1-line block ×4, first 2 shown]
	v_mov_b32_e32 v11, v16
	v_mov_b32_e32 v13, v18
	global_store_dwordx4 v[14:15], v[10:13], off
	s_cbranch_execnz .LBB64_14
	s_branch .LBB64_45
.LBB64_44:
.LBB64_45:
	v_ashrrev_i32_e32 v5, 31, v4
	v_mov_b32_e32 v1, v8
	v_mov_b32_e32 v3, v6
	s_waitcnt lgkmcnt(0)
	v_lshl_add_u64 v[4:5], v[4:5], 2, s[0:1]
	global_store_dwordx4 v[4:5], v[0:3], off
	s_endpgm
	.section	.rodata,"a",@progbits
	.p2align	6, 0x0
	.amdhsa_kernel _ZN9rocsparseL18bsrxmvn_4x4_kernelILj128ELj64EiiiaaiEEvT3_20rocsparse_direction_NS_24const_host_device_scalarIT1_EES1_PKS1_PKT2_SA_S7_PKT4_PKT5_S5_PT6_21rocsparse_index_base_b
		.amdhsa_group_segment_fixed_size 0
		.amdhsa_private_segment_fixed_size 0
		.amdhsa_kernarg_size 96
		.amdhsa_user_sgpr_count 2
		.amdhsa_user_sgpr_dispatch_ptr 0
		.amdhsa_user_sgpr_queue_ptr 0
		.amdhsa_user_sgpr_kernarg_segment_ptr 1
		.amdhsa_user_sgpr_dispatch_id 0
		.amdhsa_user_sgpr_kernarg_preload_length 0
		.amdhsa_user_sgpr_kernarg_preload_offset 0
		.amdhsa_user_sgpr_private_segment_size 0
		.amdhsa_uses_dynamic_stack 0
		.amdhsa_enable_private_segment 0
		.amdhsa_system_sgpr_workgroup_id_x 1
		.amdhsa_system_sgpr_workgroup_id_y 0
		.amdhsa_system_sgpr_workgroup_id_z 0
		.amdhsa_system_sgpr_workgroup_info 0
		.amdhsa_system_vgpr_workitem_id 0
		.amdhsa_next_free_vgpr 61
		.amdhsa_next_free_sgpr 23
		.amdhsa_accum_offset 64
		.amdhsa_reserve_vcc 1
		.amdhsa_float_round_mode_32 0
		.amdhsa_float_round_mode_16_64 0
		.amdhsa_float_denorm_mode_32 3
		.amdhsa_float_denorm_mode_16_64 3
		.amdhsa_dx10_clamp 1
		.amdhsa_ieee_mode 1
		.amdhsa_fp16_overflow 0
		.amdhsa_tg_split 0
		.amdhsa_exception_fp_ieee_invalid_op 0
		.amdhsa_exception_fp_denorm_src 0
		.amdhsa_exception_fp_ieee_div_zero 0
		.amdhsa_exception_fp_ieee_overflow 0
		.amdhsa_exception_fp_ieee_underflow 0
		.amdhsa_exception_fp_ieee_inexact 0
		.amdhsa_exception_int_div_zero 0
	.end_amdhsa_kernel
	.section	.text._ZN9rocsparseL18bsrxmvn_4x4_kernelILj128ELj64EiiiaaiEEvT3_20rocsparse_direction_NS_24const_host_device_scalarIT1_EES1_PKS1_PKT2_SA_S7_PKT4_PKT5_S5_PT6_21rocsparse_index_base_b,"axG",@progbits,_ZN9rocsparseL18bsrxmvn_4x4_kernelILj128ELj64EiiiaaiEEvT3_20rocsparse_direction_NS_24const_host_device_scalarIT1_EES1_PKS1_PKT2_SA_S7_PKT4_PKT5_S5_PT6_21rocsparse_index_base_b,comdat
.Lfunc_end64:
	.size	_ZN9rocsparseL18bsrxmvn_4x4_kernelILj128ELj64EiiiaaiEEvT3_20rocsparse_direction_NS_24const_host_device_scalarIT1_EES1_PKS1_PKT2_SA_S7_PKT4_PKT5_S5_PT6_21rocsparse_index_base_b, .Lfunc_end64-_ZN9rocsparseL18bsrxmvn_4x4_kernelILj128ELj64EiiiaaiEEvT3_20rocsparse_direction_NS_24const_host_device_scalarIT1_EES1_PKS1_PKT2_SA_S7_PKT4_PKT5_S5_PT6_21rocsparse_index_base_b
                                        ; -- End function
	.set _ZN9rocsparseL18bsrxmvn_4x4_kernelILj128ELj64EiiiaaiEEvT3_20rocsparse_direction_NS_24const_host_device_scalarIT1_EES1_PKS1_PKT2_SA_S7_PKT4_PKT5_S5_PT6_21rocsparse_index_base_b.num_vgpr, 61
	.set _ZN9rocsparseL18bsrxmvn_4x4_kernelILj128ELj64EiiiaaiEEvT3_20rocsparse_direction_NS_24const_host_device_scalarIT1_EES1_PKS1_PKT2_SA_S7_PKT4_PKT5_S5_PT6_21rocsparse_index_base_b.num_agpr, 0
	.set _ZN9rocsparseL18bsrxmvn_4x4_kernelILj128ELj64EiiiaaiEEvT3_20rocsparse_direction_NS_24const_host_device_scalarIT1_EES1_PKS1_PKT2_SA_S7_PKT4_PKT5_S5_PT6_21rocsparse_index_base_b.numbered_sgpr, 23
	.set _ZN9rocsparseL18bsrxmvn_4x4_kernelILj128ELj64EiiiaaiEEvT3_20rocsparse_direction_NS_24const_host_device_scalarIT1_EES1_PKS1_PKT2_SA_S7_PKT4_PKT5_S5_PT6_21rocsparse_index_base_b.num_named_barrier, 0
	.set _ZN9rocsparseL18bsrxmvn_4x4_kernelILj128ELj64EiiiaaiEEvT3_20rocsparse_direction_NS_24const_host_device_scalarIT1_EES1_PKS1_PKT2_SA_S7_PKT4_PKT5_S5_PT6_21rocsparse_index_base_b.private_seg_size, 0
	.set _ZN9rocsparseL18bsrxmvn_4x4_kernelILj128ELj64EiiiaaiEEvT3_20rocsparse_direction_NS_24const_host_device_scalarIT1_EES1_PKS1_PKT2_SA_S7_PKT4_PKT5_S5_PT6_21rocsparse_index_base_b.uses_vcc, 1
	.set _ZN9rocsparseL18bsrxmvn_4x4_kernelILj128ELj64EiiiaaiEEvT3_20rocsparse_direction_NS_24const_host_device_scalarIT1_EES1_PKS1_PKT2_SA_S7_PKT4_PKT5_S5_PT6_21rocsparse_index_base_b.uses_flat_scratch, 0
	.set _ZN9rocsparseL18bsrxmvn_4x4_kernelILj128ELj64EiiiaaiEEvT3_20rocsparse_direction_NS_24const_host_device_scalarIT1_EES1_PKS1_PKT2_SA_S7_PKT4_PKT5_S5_PT6_21rocsparse_index_base_b.has_dyn_sized_stack, 0
	.set _ZN9rocsparseL18bsrxmvn_4x4_kernelILj128ELj64EiiiaaiEEvT3_20rocsparse_direction_NS_24const_host_device_scalarIT1_EES1_PKS1_PKT2_SA_S7_PKT4_PKT5_S5_PT6_21rocsparse_index_base_b.has_recursion, 0
	.set _ZN9rocsparseL18bsrxmvn_4x4_kernelILj128ELj64EiiiaaiEEvT3_20rocsparse_direction_NS_24const_host_device_scalarIT1_EES1_PKS1_PKT2_SA_S7_PKT4_PKT5_S5_PT6_21rocsparse_index_base_b.has_indirect_call, 0
	.section	.AMDGPU.csdata,"",@progbits
; Kernel info:
; codeLenInByte = 3848
; TotalNumSgprs: 29
; NumVgprs: 61
; NumAgprs: 0
; TotalNumVgprs: 61
; ScratchSize: 0
; MemoryBound: 0
; FloatMode: 240
; IeeeMode: 1
; LDSByteSize: 0 bytes/workgroup (compile time only)
; SGPRBlocks: 3
; VGPRBlocks: 7
; NumSGPRsForWavesPerEU: 29
; NumVGPRsForWavesPerEU: 61
; AccumOffset: 64
; Occupancy: 8
; WaveLimiterHint : 1
; COMPUTE_PGM_RSRC2:SCRATCH_EN: 0
; COMPUTE_PGM_RSRC2:USER_SGPR: 2
; COMPUTE_PGM_RSRC2:TRAP_HANDLER: 0
; COMPUTE_PGM_RSRC2:TGID_X_EN: 1
; COMPUTE_PGM_RSRC2:TGID_Y_EN: 0
; COMPUTE_PGM_RSRC2:TGID_Z_EN: 0
; COMPUTE_PGM_RSRC2:TIDIG_COMP_CNT: 0
; COMPUTE_PGM_RSRC3_GFX90A:ACCUM_OFFSET: 15
; COMPUTE_PGM_RSRC3_GFX90A:TG_SPLIT: 0
	.section	.text._ZN9rocsparseL18bsrxmvn_4x4_kernelILj128ELj4EiliaaiEEvT3_20rocsparse_direction_NS_24const_host_device_scalarIT1_EES1_PKS1_PKT2_SA_S7_PKT4_PKT5_S5_PT6_21rocsparse_index_base_b,"axG",@progbits,_ZN9rocsparseL18bsrxmvn_4x4_kernelILj128ELj4EiliaaiEEvT3_20rocsparse_direction_NS_24const_host_device_scalarIT1_EES1_PKS1_PKT2_SA_S7_PKT4_PKT5_S5_PT6_21rocsparse_index_base_b,comdat
	.globl	_ZN9rocsparseL18bsrxmvn_4x4_kernelILj128ELj4EiliaaiEEvT3_20rocsparse_direction_NS_24const_host_device_scalarIT1_EES1_PKS1_PKT2_SA_S7_PKT4_PKT5_S5_PT6_21rocsparse_index_base_b ; -- Begin function _ZN9rocsparseL18bsrxmvn_4x4_kernelILj128ELj4EiliaaiEEvT3_20rocsparse_direction_NS_24const_host_device_scalarIT1_EES1_PKS1_PKT2_SA_S7_PKT4_PKT5_S5_PT6_21rocsparse_index_base_b
	.p2align	8
	.type	_ZN9rocsparseL18bsrxmvn_4x4_kernelILj128ELj4EiliaaiEEvT3_20rocsparse_direction_NS_24const_host_device_scalarIT1_EES1_PKS1_PKT2_SA_S7_PKT4_PKT5_S5_PT6_21rocsparse_index_base_b,@function
_ZN9rocsparseL18bsrxmvn_4x4_kernelILj128ELj4EiliaaiEEvT3_20rocsparse_direction_NS_24const_host_device_scalarIT1_EES1_PKS1_PKT2_SA_S7_PKT4_PKT5_S5_PT6_21rocsparse_index_base_b: ; @_ZN9rocsparseL18bsrxmvn_4x4_kernelILj128ELj4EiliaaiEEvT3_20rocsparse_direction_NS_24const_host_device_scalarIT1_EES1_PKS1_PKT2_SA_S7_PKT4_PKT5_S5_PT6_21rocsparse_index_base_b
; %bb.0:
	s_load_dwordx2 s[12:13], s[0:1], 0x58
	s_load_dwordx2 s[8:9], s[0:1], 0x8
	s_mov_b64 s[10:11], -1
	s_waitcnt lgkmcnt(0)
	s_bitcmp1_b32 s13, 0
	s_cselect_b64 s[4:5], -1, 0
	s_xor_b64 s[6:7], s[4:5], -1
	s_and_b64 vcc, exec, s[6:7]
                                        ; implicit-def: $sgpr13
	s_cbranch_vccnz .LBB65_4
; %bb.1:
	s_load_dwordx2 s[4:5], s[0:1], 0x48
	s_andn2_b64 vcc, exec, s[10:11]
	s_cbranch_vccz .LBB65_5
.LBB65_2:
	s_and_b64 vcc, exec, s[6:7]
	s_cbranch_vccz .LBB65_6
.LBB65_3:
	s_waitcnt lgkmcnt(0)
	s_load_dword s18, s[4:5], 0x0
	s_cbranch_execz .LBB65_7
	s_branch .LBB65_8
.LBB65_4:
	s_load_dword s13, s[8:9], 0x0
	s_load_dwordx2 s[4:5], s[0:1], 0x48
	s_cbranch_execnz .LBB65_2
.LBB65_5:
	s_waitcnt lgkmcnt(0)
	s_mov_b32 s13, s8
	s_and_b64 vcc, exec, s[6:7]
	s_cbranch_vccnz .LBB65_3
.LBB65_6:
                                        ; implicit-def: $sgpr18
.LBB65_7:
	s_waitcnt lgkmcnt(0)
	s_mov_b32 s18, s4
.LBB65_8:
	s_waitcnt lgkmcnt(0)
	s_cmp_lg_u32 s13, 0
	s_cselect_b64 s[4:5], -1, 0
	s_cmp_lg_u32 s18, 1
	s_cselect_b64 s[6:7], -1, 0
	s_or_b64 s[4:5], s[4:5], s[6:7]
	s_andn2_b64 vcc, exec, s[4:5]
	s_cbranch_vccnz .LBB65_14
; %bb.9:
	s_load_dwordx2 s[4:5], s[0:1], 0x18
	s_load_dwordx2 s[14:15], s[0:1], 0x0
	v_lshrrev_b32_e32 v1, 2, v0
	v_lshl_or_b32 v2, s2, 5, v1
	s_mov_b64 s[2:3], 0
	s_waitcnt lgkmcnt(0)
	s_cmp_lg_u64 s[4:5], 0
	s_cbranch_scc0 .LBB65_15
; %bb.10:
	s_load_dword s6, s[0:1], 0x10
                                        ; implicit-def: $vgpr1
	s_waitcnt lgkmcnt(0)
	v_cmp_gt_i32_e32 vcc, s6, v2
	s_and_saveexec_b64 s[6:7], vcc
	s_xor_b64 s[6:7], exec, s[6:7]
	s_cbranch_execz .LBB65_12
; %bb.11:
	v_ashrrev_i32_e32 v3, 31, v2
	v_lshl_add_u64 v[4:5], v[2:3], 2, s[4:5]
	global_load_dword v1, v[4:5], off
	s_mov_b64 s[2:3], exec
	s_waitcnt vmcnt(0)
	v_subrev_u32_e32 v1, s12, v1
.LBB65_12:
	s_or_b64 exec, exec, s[6:7]
	s_branch .LBB65_16
.LBB65_13:
	v_cmp_gt_i32_e32 vcc, s14, v2
	s_andn2_b64 s[2:3], s[2:3], exec
	s_and_b64 s[4:5], vcc, exec
	s_or_b64 s[2:3], s[2:3], s[4:5]
	s_and_saveexec_b64 s[4:5], s[2:3]
	s_cbranch_execnz .LBB65_17
.LBB65_14:
	s_endpgm
.LBB65_15:
                                        ; implicit-def: $vgpr1
	s_cbranch_execnz .LBB65_13
.LBB65_16:
	v_mov_b32_e32 v2, v1
	s_and_saveexec_b64 s[4:5], s[2:3]
	s_cbranch_execz .LBB65_14
.LBB65_17:
	s_load_dwordx8 s[4:11], s[0:1], 0x20
	v_ashrrev_i32_e32 v3, 31, v2
	v_lshlrev_b64 v[4:5], 3, v[2:3]
	v_and_b32_e32 v0, 3, v0
	v_mov_b32_e32 v1, 0
	s_waitcnt lgkmcnt(0)
	v_lshl_add_u64 v[6:7], s[4:5], 0, v[4:5]
	s_cmp_eq_u64 s[6:7], 0
	v_lshl_add_u64 v[4:5], s[6:7], 0, v[4:5]
	global_load_dwordx2 v[12:13], v[6:7], off
	v_lshl_add_u64 v[6:7], v[6:7], 0, 8
	s_cselect_b64 vcc, -1, 0
	v_cndmask_b32_e32 v5, v5, v7, vcc
	v_cndmask_b32_e32 v4, v4, v6, vcc
	global_load_dwordx2 v[4:5], v[4:5], off
	s_load_dwordx2 s[4:5], s[0:1], 0x40
	s_cmp_eq_u32 s15, 1
	s_waitcnt vmcnt(1)
	v_subrev_co_u32_e32 v6, vcc, s12, v12
	s_nop 1
	v_subbrev_co_u32_e32 v7, vcc, 0, v13, vcc
	v_lshl_add_u64 v[8:9], v[6:7], 0, v[0:1]
	s_waitcnt vmcnt(0)
	v_subrev_co_u32_e32 v14, vcc, s12, v4
	s_nop 1
	v_subbrev_co_u32_e32 v15, vcc, 0, v5, vcc
	v_lshl_add_u64 v[4:5], v[8:9], 4, s[10:11]
	v_cmp_lt_i64_e64 s[2:3], v[8:9], v[14:15]
	s_cbranch_scc1 .LBB65_29
; %bb.18:
	v_mov_b32_e32 v6, v1
	v_mov_b32_e32 v11, v1
	;; [unrolled: 1-line block ×3, first 2 shown]
	s_and_saveexec_b64 s[6:7], s[2:3]
	s_cbranch_execz .LBB65_28
; %bb.19:
	v_or_b32_e32 v1, 4, v0
	v_subrev_co_u32_e32 v6, vcc, s12, v1
	v_not_b32_e32 v11, v13
	s_nop 0
	v_subb_co_u32_e64 v7, s[10:11], 0, 0, vcc
	v_lshl_add_u64 v[6:7], v[6:7], 0, v[12:13]
	v_cmp_gt_i64_e32 vcc, v[6:7], v[14:15]
	v_not_b32_e32 v10, v12
	v_mov_b32_e32 v18, 0
	v_cndmask_b32_e32 v7, v15, v7, vcc
	v_cndmask_b32_e32 v6, v14, v6, vcc
	v_sub_co_u32_e32 v16, vcc, s12, v0
	v_mov_b32_e32 v19, v18
	s_nop 0
	v_subb_co_u32_e64 v17, s[10:11], 0, 0, vcc
	v_lshl_add_u64 v[10:11], v[16:17], 0, v[10:11]
	v_lshl_add_u64 v[6:7], v[10:11], 0, v[6:7]
	v_lshrrev_b64 v[10:11], 2, v[6:7]
	v_lshl_add_u64 v[20:21], v[10:11], 0, 1
	v_cmp_lt_u64_e32 vcc, 11, v[6:7]
	v_mov_b64_e32 v[6:7], v[18:19]
	v_mov_b64_e32 v[10:11], v[18:19]
	;; [unrolled: 1-line block ×4, first 2 shown]
	s_and_saveexec_b64 s[10:11], vcc
	s_cbranch_execz .LBB65_23
; %bb.20:
	v_lshl_add_u64 v[6:7], v[8:9], 2, s[8:9]
	v_and_b32_e32 v24, -4, v20
	v_mov_b32_e32 v25, v21
	v_lshl_add_u64 v[26:27], v[6:7], 0, 32
	s_mov_b64 s[14:15], 0
	s_mov_b32 s19, 0xc030201
	s_mov_b32 s20, 0x4030201
	;; [unrolled: 1-line block ×8, first 2 shown]
	s_mov_b64 s[16:17], 0x100
	v_mov_b64_e32 v[16:17], v[4:5]
	v_mov_b64_e32 v[22:23], v[8:9]
	v_mov_b32_e32 v6, 0
	v_mov_b32_e32 v11, 0
	;; [unrolled: 1-line block ×3, first 2 shown]
.LBB65_21:                              ; =>This Inner Loop Header: Depth=1
	global_load_dword v1, v[26:27], off offset:-32
	global_load_dword v3, v[26:27], off offset:-16
	global_load_dword v7, v[26:27], off
	global_load_dword v19, v[26:27], off offset:16
	global_load_dwordx4 v[28:31], v[16:17], off
	global_load_dwordx4 v[32:35], v[16:17], off offset:64
	global_load_dwordx4 v[36:39], v[16:17], off offset:128
	;; [unrolled: 1-line block ×3, first 2 shown]
	v_lshl_add_u64 v[24:25], v[24:25], 0, -4
	v_cmp_eq_u64_e32 vcc, 0, v[24:25]
	v_lshl_add_u64 v[16:17], v[16:17], 0, s[16:17]
	v_lshl_add_u64 v[22:23], v[22:23], 0, 16
	;; [unrolled: 1-line block ×3, first 2 shown]
	s_or_b64 s[14:15], vcc, s[14:15]
	s_waitcnt vmcnt(7)
	v_subrev_u32_e32 v1, s12, v1
	s_waitcnt vmcnt(6)
	v_subrev_u32_e32 v3, s12, v3
	;; [unrolled: 2-line block ×4, first 2 shown]
	v_lshlrev_b32_e32 v44, 2, v1
	v_lshlrev_b32_e32 v46, 2, v3
	v_lshlrev_b32_e32 v48, 2, v7
	v_lshlrev_b32_e32 v50, 2, v19
	v_ashrrev_i32_e32 v45, 31, v44
	v_ashrrev_i32_e32 v47, 31, v46
	;; [unrolled: 1-line block ×4, first 2 shown]
	s_waitcnt lgkmcnt(0)
	v_lshl_add_u64 v[44:45], s[4:5], 0, v[44:45]
	v_lshl_add_u64 v[46:47], s[4:5], 0, v[46:47]
	;; [unrolled: 1-line block ×4, first 2 shown]
	global_load_dword v1, v[44:45], off
	global_load_dword v3, v[46:47], off
	;; [unrolled: 1-line block ×4, first 2 shown]
	s_waitcnt vmcnt(6)
	v_lshrrev_b16_e32 v21, 8, v35
	v_bfe_i32 v44, v32, 0, 8
	v_perm_b32 v32, v32, v32, s19
	s_waitcnt vmcnt(5)
	v_perm_b32 v48, v39, v31, s23
	v_perm_b32 v49, v39, v31, s24
	;; [unrolled: 1-line block ×4, first 2 shown]
	v_bfe_i32 v45, v36, 0, 8
	s_waitcnt vmcnt(4)
	v_perm_b32 v36, v40, v36, s20
	v_bfe_i32 v47, v43, 8, 8
	v_ashrrev_i32_e32 v46, 24, v40
	v_perm_b32 v40, v40, v40, s21
	v_perm_b32 v41, v41, v41, s22
	s_waitcnt vmcnt(3)
	v_dot4c_i32_i8_e32 v10, v1, v28
	v_dot4c_i32_i8_e32 v11, v1, v29
	s_waitcnt vmcnt(2)
	v_lshrrev_b16_e32 v28, 8, v3
	v_bfe_i32 v29, v3, 0, 8
	v_dot4c_i32_i8_e32 v6, v1, v30
	v_perm_b32 v30, v3, v3, s19
	v_mul_i32_i24_sdwa v51, sext(v35), sext(v3) dst_sel:DWORD dst_unused:UNUSED_PAD src0_sel:BYTE_3 src1_sel:BYTE_3
	s_waitcnt vmcnt(1)
	v_perm_b32 v59, v7, v1, s23
	v_perm_b32 v60, v7, v1, s24
	;; [unrolled: 1-line block ×4, first 2 shown]
	v_mad_i32_i24 v10, v29, v44, v10
	v_mul_i32_i24_sdwa v21, sext(v21), sext(v28) dst_sel:DWORD dst_unused:UNUSED_PAD src0_sel:BYTE_0 src1_sel:BYTE_0
	v_mul_i32_i24_sdwa v39, sext(v35), sext(v3) dst_sel:DWORD dst_unused:UNUSED_PAD src0_sel:BYTE_2 src1_sel:BYTE_2
	v_bfe_i32 v52, v7, 0, 8
	v_dot4c_i32_i8_e32 v11, v3, v33
	v_dot4c_i32_i8_e32 v6, v3, v34
	v_mul_i32_i24_sdwa v3, sext(v35), v29 dst_sel:DWORD dst_unused:UNUSED_PAD src0_sel:BYTE_0 src1_sel:DWORD
	v_dot4c_i32_i8_e32 v51, v50, v61
	v_dot4c_i32_i8_e32 v10, v30, v32
	v_dot4c_i32_i8_e32 v21, v31, v1
	s_waitcnt vmcnt(0)
	v_bfe_i32 v54, v19, 8, 8
	v_perm_b32 v55, v19, v7, s20
	v_mul_i32_i24_sdwa v58, sext(v43), sext(v19) dst_sel:DWORD dst_unused:UNUSED_PAD src0_sel:BYTE_2 src1_sel:BYTE_2
	v_dot4c_i32_i8_e32 v39, v48, v59
	v_dot4c_i32_i8_e32 v11, v7, v37
	;; [unrolled: 1-line block ×4, first 2 shown]
	v_mad_i32_i24 v1, v52, v45, v10
	v_add_u32_e32 v7, v21, v51
	v_ashrrev_i32_e32 v53, 24, v19
	v_perm_b32 v56, v19, v19, s21
	v_mul_i32_i24_sdwa v57, sext(v19), sext(v43) dst_sel:DWORD dst_unused:UNUSED_PAD src0_sel:BYTE_0 src1_sel:BYTE_0
	v_mad_i32_i24 v28, v54, v47, v58
	v_dot4c_i32_i8_e32 v1, v55, v36
	v_add3_u32 v3, v3, v39, v7
	v_mul_i32_i24_sdwa v29, sext(v43), v53 dst_sel:DWORD dst_unused:UNUSED_PAD src0_sel:BYTE_3 src1_sel:DWORD
	v_dot4c_i32_i8_e32 v1, v56, v40
	v_add3_u32 v3, v3, v57, v28
	v_dot4c_i32_i8_e32 v11, v41, v19
	v_dot4c_i32_i8_e32 v6, v42, v19
	v_mad_i32_i24 v10, v53, v46, v1
	v_add3_u32 v18, v3, v18, v29
	s_andn2_b64 exec, exec, s[14:15]
	s_cbranch_execnz .LBB65_21
; %bb.22:
	s_or_b64 exec, exec, s[14:15]
	v_mov_b32_e32 v7, v18
.LBB65_23:
	s_or_b64 exec, exec, s[10:11]
	v_and_b32_e32 v20, 3, v20
	v_mov_b32_e32 v21, 0
	s_mov_b64 s[14:15], 0
	v_cmp_ne_u64_e32 vcc, 0, v[20:21]
	s_and_saveexec_b64 s[10:11], vcc
	s_cbranch_execz .LBB65_27
; %bb.24:
	v_lshl_add_u64 v[18:19], v[22:23], 2, s[8:9]
	v_lshlrev_b32_e32 v20, 2, v20
.LBB65_25:                              ; =>This Inner Loop Header: Depth=1
	global_load_dword v1, v[18:19], off
	global_load_dwordx4 v[22:25], v[16:17], off
	v_lshl_add_u64 v[20:21], v[20:21], 0, -4
	v_cmp_eq_u64_e32 vcc, 0, v[20:21]
	v_lshl_add_u64 v[16:17], v[16:17], 0, 64
	v_lshl_add_u64 v[18:19], v[18:19], 0, 16
	s_or_b64 s[14:15], vcc, s[14:15]
	s_waitcnt vmcnt(1)
	v_subrev_u32_e32 v1, s12, v1
	v_lshlrev_b32_e32 v26, 2, v1
	v_ashrrev_i32_e32 v27, 31, v26
	s_waitcnt lgkmcnt(0)
	v_lshl_add_u64 v[26:27], s[4:5], 0, v[26:27]
	global_load_dword v1, v[26:27], off
	s_waitcnt vmcnt(0)
	v_dot4c_i32_i8_e32 v11, v1, v23
	v_dot4c_i32_i8_e32 v10, v1, v22
	;; [unrolled: 1-line block ×4, first 2 shown]
	s_andn2_b64 exec, exec, s[14:15]
	s_cbranch_execnz .LBB65_25
; %bb.26:
	s_or_b64 exec, exec, s[14:15]
	v_mov_b32_e32 v18, v7
.LBB65_27:
	s_or_b64 exec, exec, s[10:11]
	v_mov_b32_e32 v1, v18
.LBB65_28:
	s_or_b64 exec, exec, s[6:7]
	s_cbranch_execz .LBB65_30
	s_branch .LBB65_41
.LBB65_29:
                                        ; implicit-def: $vgpr6
                                        ; implicit-def: $vgpr11
.LBB65_30:
	v_mov_b32_e32 v1, 0
	v_mov_b32_e32 v6, 0
	;; [unrolled: 1-line block ×4, first 2 shown]
	s_and_saveexec_b64 s[6:7], s[2:3]
	s_cbranch_execz .LBB65_40
; %bb.31:
	v_or_b32_e32 v1, 4, v0
	v_subrev_co_u32_e32 v6, vcc, s12, v1
	v_not_b32_e32 v10, v12
	s_nop 0
	v_subb_co_u32_e64 v7, s[2:3], 0, 0, vcc
	v_lshl_add_u64 v[6:7], v[6:7], 0, v[12:13]
	v_cmp_gt_i64_e32 vcc, v[6:7], v[14:15]
	v_not_b32_e32 v11, v13
	s_nop 0
	v_cndmask_b32_e32 v7, v15, v7, vcc
	v_cndmask_b32_e32 v6, v14, v6, vcc
	v_sub_co_u32_e32 v12, vcc, s12, v0
	s_nop 1
	v_subb_co_u32_e64 v13, s[2:3], 0, 0, vcc
	v_lshl_add_u64 v[10:11], v[12:13], 0, v[10:11]
	v_lshl_add_u64 v[6:7], v[10:11], 0, v[6:7]
	v_lshrrev_b64 v[10:11], 2, v[6:7]
	v_cmp_lt_u64_e32 vcc, 11, v[6:7]
	v_mov_b32_e32 v6, 0
	v_mov_b32_e32 v7, v6
	v_lshl_add_u64 v[12:13], v[10:11], 0, 1
	v_mov_b64_e32 v[10:11], v[6:7]
	s_and_saveexec_b64 s[2:3], vcc
	s_cbranch_execz .LBB65_35
; %bb.32:
	v_lshl_add_u64 v[10:11], v[8:9], 2, s[8:9]
	v_and_b32_e32 v14, -4, v12
	v_mov_b32_e32 v15, v13
	v_lshl_add_u64 v[16:17], v[10:11], 0, 32
	s_mov_b64 s[10:11], 0
	s_mov_b32 s16, 0xc05010c
	s_mov_b32 s17, 0xc0c0c01
	;; [unrolled: 1-line block ×19, first 2 shown]
	s_mov_b64 s[14:15], 0x100
	v_mov_b32_e32 v1, 0
	v_mov_b32_e32 v10, 0
	;; [unrolled: 1-line block ×3, first 2 shown]
.LBB65_33:                              ; =>This Inner Loop Header: Depth=1
	global_load_dword v3, v[16:17], off offset:-32
	global_load_dword v7, v[16:17], off offset:-16
	global_load_dword v13, v[16:17], off
	global_load_dword v34, v[16:17], off offset:16
	global_load_dwordx4 v[18:21], v[4:5], off
	global_load_dwordx4 v[22:25], v[4:5], off offset:64
	global_load_dwordx4 v[26:29], v[4:5], off offset:128
	;; [unrolled: 1-line block ×3, first 2 shown]
	v_lshl_add_u64 v[14:15], v[14:15], 0, -4
	v_cmp_eq_u64_e32 vcc, 0, v[14:15]
	v_lshl_add_u64 v[4:5], v[4:5], 0, s[14:15]
	v_lshl_add_u64 v[8:9], v[8:9], 0, 16
	;; [unrolled: 1-line block ×3, first 2 shown]
	s_or_b64 s[10:11], vcc, s[10:11]
	s_waitcnt vmcnt(7)
	v_subrev_u32_e32 v3, s12, v3
	s_waitcnt vmcnt(6)
	v_subrev_u32_e32 v7, s12, v7
	;; [unrolled: 2-line block ×4, first 2 shown]
	v_lshlrev_b32_e32 v34, 2, v3
	v_lshlrev_b32_e32 v36, 2, v7
	;; [unrolled: 1-line block ×4, first 2 shown]
	v_ashrrev_i32_e32 v35, 31, v34
	v_ashrrev_i32_e32 v37, 31, v36
	;; [unrolled: 1-line block ×4, first 2 shown]
	s_waitcnt lgkmcnt(0)
	v_lshl_add_u64 v[34:35], s[4:5], 0, v[34:35]
	v_lshl_add_u64 v[36:37], s[4:5], 0, v[36:37]
	;; [unrolled: 1-line block ×4, first 2 shown]
	global_load_dword v3, v[34:35], off
	global_load_dword v7, v[40:41], off
	;; [unrolled: 1-line block ×4, first 2 shown]
	s_waitcnt vmcnt(7)
	v_perm_b32 v42, v20, v19, s16
	v_perm_b32 v34, v20, v19, s20
	v_perm_b32 v36, v20, v19, s22
	v_perm_b32 v19, v20, v19, s24
	s_waitcnt vmcnt(6)
	v_perm_b32 v20, v22, v21, s26
	v_perm_b32 v38, v24, v23, s27
	v_perm_b32 v39, v22, v21, s29
	v_perm_b32 v40, v24, v23, s30
	s_waitcnt vmcnt(5)
	v_perm_b32 v41, v26, v25, s29
	v_perm_b32 v45, v28, v27, s30
	v_perm_b32 v46, v26, v25, s26
	v_perm_b32 v47, v28, v27, s27
	s_waitcnt vmcnt(4)
	v_lshrrev_b32_e32 v49, 24, v33
	v_lshrrev_b32_e32 v50, 16, v33
	v_perm_b32 v55, v22, v21, s31
	v_perm_b32 v56, v24, v23, s33
	;; [unrolled: 1-line block ×14, first 2 shown]
	v_or_b32_e32 v21, v22, v21
	v_or_b32_e32 v22, v24, v23
	;; [unrolled: 1-line block ×3, first 2 shown]
	v_bfe_i32 v27, v50, 0, 8
	v_bfe_i32 v28, v49, 0, 8
	v_lshrrev_b32_e32 v48, 8, v33
	v_perm_b32 v51, v30, v29, s26
	v_perm_b32 v52, v32, v31, s27
	;; [unrolled: 1-line block ×6, first 2 shown]
	v_bfe_i32 v31, v33, 0, 8
	v_or_b32_e32 v32, v42, v43
	v_or_b32_e32 v33, v34, v35
	;; [unrolled: 1-line block ×4, first 2 shown]
	v_perm_b32 v27, v28, v27, s36
	v_or_b32_e32 v19, v38, v20
	v_or_b32_e32 v20, v40, v39
	v_or_b32_e32 v39, v56, v55
	v_or_b32_e32 v35, v45, v41
	v_or_b32_e32 v36, v47, v46
	v_or_b32_e32 v23, v26, v25
	v_or_b32_e32 v25, v30, v29
	v_bfe_i32 v26, v48, 0, 8
	v_or_b32_e32 v37, v52, v51
	v_or_b32_e32 v38, v54, v53
	v_perm_b32 v26, v26, v31, s36
	s_waitcnt vmcnt(3)
	v_perm_b32 v28, v3, v3, s19
	v_dot4c_i32_i8_e32 v11, v28, v32
	s_waitcnt vmcnt(1)
	v_perm_b32 v3, v13, v3, s28
	v_dot4c_i32_i8_e32 v10, v28, v33
	v_dot4c_i32_i8_e32 v1, v28, v34
	;; [unrolled: 1-line block ×3, first 2 shown]
	v_lshrrev_b32_e32 v29, 24, v7
	s_waitcnt vmcnt(0)
	v_perm_b32 v13, v44, v13, s28
	v_dot4c_i32_i8_e32 v10, v3, v19
	v_dot4c_i32_i8_e32 v11, v3, v20
	;; [unrolled: 1-line block ×4, first 2 shown]
	v_perm_b32 v7, v7, v44, s28
	v_bfe_i32 v18, v29, 0, 8
	v_dot4c_i32_i8_e32 v11, v13, v35
	v_dot4c_i32_i8_e32 v10, v13, v36
	;; [unrolled: 1-line block ×4, first 2 shown]
	v_pk_mul_lo_u16 v3, v18, v26 op_sel_hi:[0,1]
	v_pk_mul_lo_u16 v18, v18, v27 op_sel_hi:[0,1]
	v_dot4c_i32_i8_e32 v10, v7, v37
	v_dot4c_i32_i8_e32 v11, v7, v38
	v_dot4c_i32_i8_e32 v6, v7, v24
	v_dot4c_i32_i8_e32 v1, v7, v25
	v_add_u32_sdwa v10, v10, sext(v3) dst_sel:DWORD dst_unused:UNUSED_PAD src0_sel:DWORD src1_sel:WORD_0
	v_add_u32_sdwa v11, v11, sext(v3) dst_sel:DWORD dst_unused:UNUSED_PAD src0_sel:DWORD src1_sel:WORD_1
	v_add_u32_sdwa v6, v6, sext(v18) dst_sel:DWORD dst_unused:UNUSED_PAD src0_sel:DWORD src1_sel:WORD_0
	v_add_u32_sdwa v1, v1, sext(v18) dst_sel:DWORD dst_unused:UNUSED_PAD src0_sel:DWORD src1_sel:WORD_1
	s_andn2_b64 exec, exec, s[10:11]
	s_cbranch_execnz .LBB65_33
; %bb.34:
	s_or_b64 exec, exec, s[10:11]
	v_mov_b32_e32 v7, v1
.LBB65_35:
	s_or_b64 exec, exec, s[2:3]
	v_and_b32_e32 v12, 3, v12
	v_mov_b32_e32 v13, 0
	s_mov_b64 s[10:11], 0
	v_cmp_ne_u64_e32 vcc, 0, v[12:13]
	s_and_saveexec_b64 s[2:3], vcc
	s_cbranch_execz .LBB65_39
; %bb.36:
	v_lshl_add_u64 v[8:9], v[8:9], 2, s[8:9]
	v_lshlrev_b32_e32 v12, 2, v12
	s_mov_b32 s8, 0xc0c0501
	s_mov_b32 s9, 0x5010c0c
	;; [unrolled: 1-line block ×8, first 2 shown]
.LBB65_37:                              ; =>This Inner Loop Header: Depth=1
	global_load_dword v1, v[8:9], off
	global_load_dwordx4 v[14:17], v[4:5], off
	v_lshl_add_u64 v[12:13], v[12:13], 0, -4
	v_cmp_eq_u64_e32 vcc, 0, v[12:13]
	v_lshl_add_u64 v[4:5], v[4:5], 0, 64
	v_lshl_add_u64 v[8:9], v[8:9], 0, 16
	s_or_b64 s[10:11], vcc, s[10:11]
	s_waitcnt vmcnt(1)
	v_subrev_u32_e32 v1, s12, v1
	v_lshlrev_b32_e32 v18, 2, v1
	v_ashrrev_i32_e32 v19, 31, v18
	s_waitcnt lgkmcnt(0)
	v_lshl_add_u64 v[18:19], s[4:5], 0, v[18:19]
	global_load_dword v1, v[18:19], off
	s_waitcnt vmcnt(1)
	v_perm_b32 v3, v15, v14, s8
	v_perm_b32 v18, v17, v16, s9
	;; [unrolled: 1-line block ×8, first 2 shown]
	v_or_b32_e32 v3, v18, v3
	v_or_b32_e32 v16, v20, v19
	;; [unrolled: 1-line block ×4, first 2 shown]
	s_waitcnt vmcnt(0)
	v_dot4c_i32_i8_e32 v11, v1, v3
	v_dot4c_i32_i8_e32 v10, v1, v16
	;; [unrolled: 1-line block ×4, first 2 shown]
	s_andn2_b64 exec, exec, s[10:11]
	s_cbranch_execnz .LBB65_37
; %bb.38:
	s_or_b64 exec, exec, s[10:11]
	v_mov_b32_e32 v1, v7
.LBB65_39:
	s_or_b64 exec, exec, s[2:3]
.LBB65_40:
	s_or_b64 exec, exec, s[6:7]
.LBB65_41:
	v_mov_b32_dpp v4, v10 row_shr:1 row_mask:0xf bank_mask:0xf
	v_mov_b32_dpp v3, v11 row_shr:1 row_mask:0xf bank_mask:0xf
	;; [unrolled: 1-line block ×4, first 2 shown]
	v_add_u32_e32 v3, v3, v11
	v_add_u32_e32 v4, v4, v10
	;; [unrolled: 1-line block ×4, first 2 shown]
	v_mov_b32_dpp v5, v4 row_shr:2 row_mask:0xf bank_mask:0xf
	v_mov_b32_dpp v7, v3 row_shr:2 row_mask:0xf bank_mask:0xf
	;; [unrolled: 1-line block ×4, first 2 shown]
	v_cmp_eq_u32_e32 vcc, 3, v0
	s_and_b64 exec, exec, vcc
	s_cbranch_execz .LBB65_14
; %bb.42:
	s_load_dwordx2 s[0:1], s[0:1], 0x50
	v_add_u32_e32 v3, v3, v7
	v_add_u32_e32 v0, v4, v5
	;; [unrolled: 1-line block ×4, first 2 shown]
	s_cmp_eq_u32 s18, 0
	v_lshlrev_b32_e32 v4, 2, v2
	v_mul_lo_u32 v0, v0, s13
	v_mul_lo_u32 v8, v3, s13
	;; [unrolled: 1-line block ×4, first 2 shown]
	s_cbranch_scc1 .LBB65_44
; %bb.43:
	v_ashrrev_i32_e32 v5, 31, v4
	s_waitcnt lgkmcnt(0)
	v_lshl_add_u64 v[14:15], v[4:5], 2, s[0:1]
	global_load_dwordx4 v[10:13], v[14:15], off
	s_waitcnt vmcnt(0)
	v_mad_u64_u32 v[16:17], s[2:3], v11, s18, v[8:9]
	v_mad_u64_u32 v[10:11], s[2:3], v10, s18, v[0:1]
	;; [unrolled: 1-line block ×4, first 2 shown]
	v_mov_b32_e32 v11, v16
	v_mov_b32_e32 v13, v18
	global_store_dwordx4 v[14:15], v[10:13], off
	s_cbranch_execnz .LBB65_14
	s_branch .LBB65_45
.LBB65_44:
.LBB65_45:
	v_ashrrev_i32_e32 v5, 31, v4
	s_waitcnt lgkmcnt(0)
	v_lshl_add_u64 v[4:5], v[4:5], 2, s[0:1]
	v_mov_b32_e32 v1, v8
	v_mov_b32_e32 v3, v6
	global_store_dwordx4 v[4:5], v[0:3], off
	s_endpgm
	.section	.rodata,"a",@progbits
	.p2align	6, 0x0
	.amdhsa_kernel _ZN9rocsparseL18bsrxmvn_4x4_kernelILj128ELj4EiliaaiEEvT3_20rocsparse_direction_NS_24const_host_device_scalarIT1_EES1_PKS1_PKT2_SA_S7_PKT4_PKT5_S5_PT6_21rocsparse_index_base_b
		.amdhsa_group_segment_fixed_size 0
		.amdhsa_private_segment_fixed_size 0
		.amdhsa_kernarg_size 96
		.amdhsa_user_sgpr_count 2
		.amdhsa_user_sgpr_dispatch_ptr 0
		.amdhsa_user_sgpr_queue_ptr 0
		.amdhsa_user_sgpr_kernarg_segment_ptr 1
		.amdhsa_user_sgpr_dispatch_id 0
		.amdhsa_user_sgpr_kernarg_preload_length 0
		.amdhsa_user_sgpr_kernarg_preload_offset 0
		.amdhsa_user_sgpr_private_segment_size 0
		.amdhsa_uses_dynamic_stack 0
		.amdhsa_enable_private_segment 0
		.amdhsa_system_sgpr_workgroup_id_x 1
		.amdhsa_system_sgpr_workgroup_id_y 0
		.amdhsa_system_sgpr_workgroup_id_z 0
		.amdhsa_system_sgpr_workgroup_info 0
		.amdhsa_system_vgpr_workitem_id 0
		.amdhsa_next_free_vgpr 62
		.amdhsa_next_free_sgpr 37
		.amdhsa_accum_offset 64
		.amdhsa_reserve_vcc 1
		.amdhsa_float_round_mode_32 0
		.amdhsa_float_round_mode_16_64 0
		.amdhsa_float_denorm_mode_32 3
		.amdhsa_float_denorm_mode_16_64 3
		.amdhsa_dx10_clamp 1
		.amdhsa_ieee_mode 1
		.amdhsa_fp16_overflow 0
		.amdhsa_tg_split 0
		.amdhsa_exception_fp_ieee_invalid_op 0
		.amdhsa_exception_fp_denorm_src 0
		.amdhsa_exception_fp_ieee_div_zero 0
		.amdhsa_exception_fp_ieee_overflow 0
		.amdhsa_exception_fp_ieee_underflow 0
		.amdhsa_exception_fp_ieee_inexact 0
		.amdhsa_exception_int_div_zero 0
	.end_amdhsa_kernel
	.section	.text._ZN9rocsparseL18bsrxmvn_4x4_kernelILj128ELj4EiliaaiEEvT3_20rocsparse_direction_NS_24const_host_device_scalarIT1_EES1_PKS1_PKT2_SA_S7_PKT4_PKT5_S5_PT6_21rocsparse_index_base_b,"axG",@progbits,_ZN9rocsparseL18bsrxmvn_4x4_kernelILj128ELj4EiliaaiEEvT3_20rocsparse_direction_NS_24const_host_device_scalarIT1_EES1_PKS1_PKT2_SA_S7_PKT4_PKT5_S5_PT6_21rocsparse_index_base_b,comdat
.Lfunc_end65:
	.size	_ZN9rocsparseL18bsrxmvn_4x4_kernelILj128ELj4EiliaaiEEvT3_20rocsparse_direction_NS_24const_host_device_scalarIT1_EES1_PKS1_PKT2_SA_S7_PKT4_PKT5_S5_PT6_21rocsparse_index_base_b, .Lfunc_end65-_ZN9rocsparseL18bsrxmvn_4x4_kernelILj128ELj4EiliaaiEEvT3_20rocsparse_direction_NS_24const_host_device_scalarIT1_EES1_PKS1_PKT2_SA_S7_PKT4_PKT5_S5_PT6_21rocsparse_index_base_b
                                        ; -- End function
	.set _ZN9rocsparseL18bsrxmvn_4x4_kernelILj128ELj4EiliaaiEEvT3_20rocsparse_direction_NS_24const_host_device_scalarIT1_EES1_PKS1_PKT2_SA_S7_PKT4_PKT5_S5_PT6_21rocsparse_index_base_b.num_vgpr, 62
	.set _ZN9rocsparseL18bsrxmvn_4x4_kernelILj128ELj4EiliaaiEEvT3_20rocsparse_direction_NS_24const_host_device_scalarIT1_EES1_PKS1_PKT2_SA_S7_PKT4_PKT5_S5_PT6_21rocsparse_index_base_b.num_agpr, 0
	.set _ZN9rocsparseL18bsrxmvn_4x4_kernelILj128ELj4EiliaaiEEvT3_20rocsparse_direction_NS_24const_host_device_scalarIT1_EES1_PKS1_PKT2_SA_S7_PKT4_PKT5_S5_PT6_21rocsparse_index_base_b.numbered_sgpr, 37
	.set _ZN9rocsparseL18bsrxmvn_4x4_kernelILj128ELj4EiliaaiEEvT3_20rocsparse_direction_NS_24const_host_device_scalarIT1_EES1_PKS1_PKT2_SA_S7_PKT4_PKT5_S5_PT6_21rocsparse_index_base_b.num_named_barrier, 0
	.set _ZN9rocsparseL18bsrxmvn_4x4_kernelILj128ELj4EiliaaiEEvT3_20rocsparse_direction_NS_24const_host_device_scalarIT1_EES1_PKS1_PKT2_SA_S7_PKT4_PKT5_S5_PT6_21rocsparse_index_base_b.private_seg_size, 0
	.set _ZN9rocsparseL18bsrxmvn_4x4_kernelILj128ELj4EiliaaiEEvT3_20rocsparse_direction_NS_24const_host_device_scalarIT1_EES1_PKS1_PKT2_SA_S7_PKT4_PKT5_S5_PT6_21rocsparse_index_base_b.uses_vcc, 1
	.set _ZN9rocsparseL18bsrxmvn_4x4_kernelILj128ELj4EiliaaiEEvT3_20rocsparse_direction_NS_24const_host_device_scalarIT1_EES1_PKS1_PKT2_SA_S7_PKT4_PKT5_S5_PT6_21rocsparse_index_base_b.uses_flat_scratch, 0
	.set _ZN9rocsparseL18bsrxmvn_4x4_kernelILj128ELj4EiliaaiEEvT3_20rocsparse_direction_NS_24const_host_device_scalarIT1_EES1_PKS1_PKT2_SA_S7_PKT4_PKT5_S5_PT6_21rocsparse_index_base_b.has_dyn_sized_stack, 0
	.set _ZN9rocsparseL18bsrxmvn_4x4_kernelILj128ELj4EiliaaiEEvT3_20rocsparse_direction_NS_24const_host_device_scalarIT1_EES1_PKS1_PKT2_SA_S7_PKT4_PKT5_S5_PT6_21rocsparse_index_base_b.has_recursion, 0
	.set _ZN9rocsparseL18bsrxmvn_4x4_kernelILj128ELj4EiliaaiEEvT3_20rocsparse_direction_NS_24const_host_device_scalarIT1_EES1_PKS1_PKT2_SA_S7_PKT4_PKT5_S5_PT6_21rocsparse_index_base_b.has_indirect_call, 0
	.section	.AMDGPU.csdata,"",@progbits
; Kernel info:
; codeLenInByte = 3336
; TotalNumSgprs: 43
; NumVgprs: 62
; NumAgprs: 0
; TotalNumVgprs: 62
; ScratchSize: 0
; MemoryBound: 0
; FloatMode: 240
; IeeeMode: 1
; LDSByteSize: 0 bytes/workgroup (compile time only)
; SGPRBlocks: 5
; VGPRBlocks: 7
; NumSGPRsForWavesPerEU: 43
; NumVGPRsForWavesPerEU: 62
; AccumOffset: 64
; Occupancy: 8
; WaveLimiterHint : 1
; COMPUTE_PGM_RSRC2:SCRATCH_EN: 0
; COMPUTE_PGM_RSRC2:USER_SGPR: 2
; COMPUTE_PGM_RSRC2:TRAP_HANDLER: 0
; COMPUTE_PGM_RSRC2:TGID_X_EN: 1
; COMPUTE_PGM_RSRC2:TGID_Y_EN: 0
; COMPUTE_PGM_RSRC2:TGID_Z_EN: 0
; COMPUTE_PGM_RSRC2:TIDIG_COMP_CNT: 0
; COMPUTE_PGM_RSRC3_GFX90A:ACCUM_OFFSET: 15
; COMPUTE_PGM_RSRC3_GFX90A:TG_SPLIT: 0
	.section	.text._ZN9rocsparseL18bsrxmvn_4x4_kernelILj128ELj8EiliaaiEEvT3_20rocsparse_direction_NS_24const_host_device_scalarIT1_EES1_PKS1_PKT2_SA_S7_PKT4_PKT5_S5_PT6_21rocsparse_index_base_b,"axG",@progbits,_ZN9rocsparseL18bsrxmvn_4x4_kernelILj128ELj8EiliaaiEEvT3_20rocsparse_direction_NS_24const_host_device_scalarIT1_EES1_PKS1_PKT2_SA_S7_PKT4_PKT5_S5_PT6_21rocsparse_index_base_b,comdat
	.globl	_ZN9rocsparseL18bsrxmvn_4x4_kernelILj128ELj8EiliaaiEEvT3_20rocsparse_direction_NS_24const_host_device_scalarIT1_EES1_PKS1_PKT2_SA_S7_PKT4_PKT5_S5_PT6_21rocsparse_index_base_b ; -- Begin function _ZN9rocsparseL18bsrxmvn_4x4_kernelILj128ELj8EiliaaiEEvT3_20rocsparse_direction_NS_24const_host_device_scalarIT1_EES1_PKS1_PKT2_SA_S7_PKT4_PKT5_S5_PT6_21rocsparse_index_base_b
	.p2align	8
	.type	_ZN9rocsparseL18bsrxmvn_4x4_kernelILj128ELj8EiliaaiEEvT3_20rocsparse_direction_NS_24const_host_device_scalarIT1_EES1_PKS1_PKT2_SA_S7_PKT4_PKT5_S5_PT6_21rocsparse_index_base_b,@function
_ZN9rocsparseL18bsrxmvn_4x4_kernelILj128ELj8EiliaaiEEvT3_20rocsparse_direction_NS_24const_host_device_scalarIT1_EES1_PKS1_PKT2_SA_S7_PKT4_PKT5_S5_PT6_21rocsparse_index_base_b: ; @_ZN9rocsparseL18bsrxmvn_4x4_kernelILj128ELj8EiliaaiEEvT3_20rocsparse_direction_NS_24const_host_device_scalarIT1_EES1_PKS1_PKT2_SA_S7_PKT4_PKT5_S5_PT6_21rocsparse_index_base_b
; %bb.0:
	s_load_dwordx2 s[12:13], s[0:1], 0x58
	s_load_dwordx2 s[8:9], s[0:1], 0x8
	s_mov_b64 s[10:11], -1
	s_waitcnt lgkmcnt(0)
	s_bitcmp1_b32 s13, 0
	s_cselect_b64 s[4:5], -1, 0
	s_xor_b64 s[6:7], s[4:5], -1
	s_and_b64 vcc, exec, s[6:7]
                                        ; implicit-def: $sgpr13
	s_cbranch_vccnz .LBB66_4
; %bb.1:
	s_load_dwordx2 s[4:5], s[0:1], 0x48
	s_andn2_b64 vcc, exec, s[10:11]
	s_cbranch_vccz .LBB66_5
.LBB66_2:
	s_and_b64 vcc, exec, s[6:7]
	s_cbranch_vccz .LBB66_6
.LBB66_3:
	s_waitcnt lgkmcnt(0)
	s_load_dword s20, s[4:5], 0x0
	s_cbranch_execz .LBB66_7
	s_branch .LBB66_8
.LBB66_4:
	s_load_dword s13, s[8:9], 0x0
	s_load_dwordx2 s[4:5], s[0:1], 0x48
	s_cbranch_execnz .LBB66_2
.LBB66_5:
	s_waitcnt lgkmcnt(0)
	s_mov_b32 s13, s8
	s_and_b64 vcc, exec, s[6:7]
	s_cbranch_vccnz .LBB66_3
.LBB66_6:
                                        ; implicit-def: $sgpr20
.LBB66_7:
	s_waitcnt lgkmcnt(0)
	s_mov_b32 s20, s4
.LBB66_8:
	s_waitcnt lgkmcnt(0)
	s_cmp_lg_u32 s13, 0
	s_cselect_b64 s[4:5], -1, 0
	s_cmp_lg_u32 s20, 1
	s_cselect_b64 s[6:7], -1, 0
	s_or_b64 s[4:5], s[4:5], s[6:7]
	s_andn2_b64 vcc, exec, s[4:5]
	s_cbranch_vccnz .LBB66_14
; %bb.9:
	s_load_dwordx2 s[4:5], s[0:1], 0x18
	s_load_dwordx2 s[14:15], s[0:1], 0x0
	v_lshrrev_b32_e32 v1, 3, v0
	v_lshl_or_b32 v2, s2, 4, v1
	s_mov_b64 s[2:3], 0
	s_waitcnt lgkmcnt(0)
	s_cmp_lg_u64 s[4:5], 0
	s_cbranch_scc0 .LBB66_15
; %bb.10:
	s_load_dword s6, s[0:1], 0x10
                                        ; implicit-def: $vgpr1
	s_waitcnt lgkmcnt(0)
	v_cmp_gt_i32_e32 vcc, s6, v2
	s_and_saveexec_b64 s[6:7], vcc
	s_xor_b64 s[6:7], exec, s[6:7]
	s_cbranch_execz .LBB66_12
; %bb.11:
	v_ashrrev_i32_e32 v3, 31, v2
	v_lshl_add_u64 v[4:5], v[2:3], 2, s[4:5]
	global_load_dword v1, v[4:5], off
	s_mov_b64 s[2:3], exec
	s_waitcnt vmcnt(0)
	v_subrev_u32_e32 v1, s12, v1
.LBB66_12:
	s_or_b64 exec, exec, s[6:7]
	s_branch .LBB66_16
.LBB66_13:
	v_cmp_gt_i32_e32 vcc, s14, v2
	s_andn2_b64 s[2:3], s[2:3], exec
	s_and_b64 s[4:5], vcc, exec
	s_or_b64 s[2:3], s[2:3], s[4:5]
	s_and_saveexec_b64 s[4:5], s[2:3]
	s_cbranch_execnz .LBB66_17
.LBB66_14:
	s_endpgm
.LBB66_15:
                                        ; implicit-def: $vgpr1
	s_cbranch_execnz .LBB66_13
.LBB66_16:
	v_mov_b32_e32 v2, v1
	s_and_saveexec_b64 s[4:5], s[2:3]
	s_cbranch_execz .LBB66_14
.LBB66_17:
	s_load_dwordx8 s[4:11], s[0:1], 0x20
	v_ashrrev_i32_e32 v3, 31, v2
	v_lshlrev_b64 v[4:5], 3, v[2:3]
	v_and_b32_e32 v0, 7, v0
	v_mov_b32_e32 v1, 0
	s_waitcnt lgkmcnt(0)
	v_lshl_add_u64 v[6:7], s[4:5], 0, v[4:5]
	s_cmp_eq_u64 s[6:7], 0
	v_lshl_add_u64 v[4:5], s[6:7], 0, v[4:5]
	global_load_dwordx2 v[12:13], v[6:7], off
	v_lshl_add_u64 v[6:7], v[6:7], 0, 8
	s_cselect_b64 vcc, -1, 0
	v_cndmask_b32_e32 v5, v5, v7, vcc
	v_cndmask_b32_e32 v4, v4, v6, vcc
	global_load_dwordx2 v[4:5], v[4:5], off
	s_load_dwordx2 s[4:5], s[0:1], 0x40
	s_cmp_eq_u32 s15, 1
	s_waitcnt vmcnt(1)
	v_subrev_co_u32_e32 v6, vcc, s12, v12
	s_nop 1
	v_subbrev_co_u32_e32 v7, vcc, 0, v13, vcc
	v_lshl_add_u64 v[8:9], v[6:7], 0, v[0:1]
	s_waitcnt vmcnt(0)
	v_subrev_co_u32_e32 v14, vcc, s12, v4
	s_nop 1
	v_subbrev_co_u32_e32 v15, vcc, 0, v5, vcc
	v_lshl_add_u64 v[4:5], v[8:9], 4, s[10:11]
	v_cmp_lt_i64_e64 s[2:3], v[8:9], v[14:15]
	s_cbranch_scc1 .LBB66_29
; %bb.18:
	v_mov_b32_e32 v6, v1
	v_mov_b32_e32 v11, v1
	;; [unrolled: 1-line block ×3, first 2 shown]
	s_and_saveexec_b64 s[6:7], s[2:3]
	s_cbranch_execz .LBB66_28
; %bb.19:
	v_or_b32_e32 v1, 8, v0
	v_subrev_co_u32_e32 v6, vcc, s12, v1
	v_not_b32_e32 v11, v13
	s_nop 0
	v_subb_co_u32_e64 v7, s[10:11], 0, 0, vcc
	v_lshl_add_u64 v[6:7], v[6:7], 0, v[12:13]
	v_cmp_gt_i64_e32 vcc, v[6:7], v[14:15]
	v_not_b32_e32 v10, v12
	v_mov_b32_e32 v18, 0
	v_cndmask_b32_e32 v7, v15, v7, vcc
	v_cndmask_b32_e32 v6, v14, v6, vcc
	v_sub_co_u32_e32 v16, vcc, s12, v0
	v_mov_b32_e32 v19, v18
	s_nop 0
	v_subb_co_u32_e64 v17, s[10:11], 0, 0, vcc
	v_lshl_add_u64 v[10:11], v[16:17], 0, v[10:11]
	v_lshl_add_u64 v[6:7], v[10:11], 0, v[6:7]
	v_lshrrev_b64 v[10:11], 3, v[6:7]
	v_lshl_add_u64 v[20:21], v[10:11], 0, 1
	v_cmp_lt_u64_e32 vcc, 23, v[6:7]
	v_mov_b64_e32 v[6:7], v[18:19]
	v_mov_b64_e32 v[10:11], v[18:19]
	;; [unrolled: 1-line block ×4, first 2 shown]
	s_and_saveexec_b64 s[10:11], vcc
	s_cbranch_execz .LBB66_23
; %bb.20:
	v_lshl_add_u64 v[6:7], v[8:9], 2, s[8:9]
	v_and_b32_e32 v24, -4, v20
	v_mov_b32_e32 v25, v21
	v_lshl_add_u64 v[26:27], v[6:7], 0, 64
	s_mov_b64 s[14:15], 0
	s_mov_b32 s21, 0xc030201
	s_mov_b32 s22, 0x4030201
	;; [unrolled: 1-line block ×4, first 2 shown]
	s_mov_b64 s[16:17], 0x200
	s_mov_b64 s[18:19], 0x80
	v_mov_b64_e32 v[16:17], v[4:5]
	v_mov_b64_e32 v[22:23], v[8:9]
	v_mov_b32_e32 v6, 0
	v_mov_b32_e32 v11, 0
	;; [unrolled: 1-line block ×3, first 2 shown]
.LBB66_21:                              ; =>This Inner Loop Header: Depth=1
	global_load_dword v1, v[26:27], off offset:-64
	global_load_dword v3, v[26:27], off offset:-32
	global_load_dword v7, v[26:27], off
	global_load_dword v19, v[26:27], off offset:32
	global_load_dwordx4 v[28:31], v[16:17], off
	global_load_dwordx4 v[32:35], v[16:17], off offset:128
	global_load_dwordx4 v[36:39], v[16:17], off offset:256
	;; [unrolled: 1-line block ×3, first 2 shown]
	v_lshl_add_u64 v[24:25], v[24:25], 0, -4
	v_cmp_eq_u64_e32 vcc, 0, v[24:25]
	v_lshl_add_u64 v[16:17], v[16:17], 0, s[16:17]
	v_lshl_add_u64 v[22:23], v[22:23], 0, 32
	;; [unrolled: 1-line block ×3, first 2 shown]
	s_or_b64 s[14:15], vcc, s[14:15]
	s_waitcnt vmcnt(7)
	v_subrev_u32_e32 v1, s12, v1
	s_waitcnt vmcnt(6)
	v_subrev_u32_e32 v3, s12, v3
	s_waitcnt vmcnt(5)
	v_subrev_u32_e32 v7, s12, v7
	s_waitcnt vmcnt(4)
	v_subrev_u32_e32 v19, s12, v19
	v_lshlrev_b32_e32 v44, 2, v1
	v_lshlrev_b32_e32 v46, 2, v3
	;; [unrolled: 1-line block ×4, first 2 shown]
	v_ashrrev_i32_e32 v45, 31, v44
	v_ashrrev_i32_e32 v47, 31, v46
	;; [unrolled: 1-line block ×4, first 2 shown]
	s_waitcnt lgkmcnt(0)
	v_lshl_add_u64 v[44:45], s[4:5], 0, v[44:45]
	v_lshl_add_u64 v[46:47], s[4:5], 0, v[46:47]
	;; [unrolled: 1-line block ×4, first 2 shown]
	global_load_dword v1, v[44:45], off
	global_load_dword v3, v[46:47], off
	;; [unrolled: 1-line block ×4, first 2 shown]
	s_waitcnt vmcnt(7)
	v_bfe_i32 v44, v28, 0, 8
	v_lshrrev_b16_e32 v21, 8, v31
	v_perm_b32 v28, v28, v28, s21
	v_ashrrev_i32_e32 v45, 24, v31
	v_bfe_i32 v46, v31, 0, 8
	v_bfe_i32 v31, v31, 16, 8
	s_waitcnt vmcnt(6)
	v_lshrrev_b16_e32 v47, 8, v35
	v_bfe_i32 v48, v32, 0, 8
	s_waitcnt vmcnt(5)
	v_perm_b32 v37, v37, v37, s24
	v_perm_b32 v32, v36, v32, s22
	v_bfe_i32 v50, v39, 8, 8
	v_ashrrev_i32_e32 v49, 24, v36
	v_perm_b32 v36, v36, v36, s23
	s_waitcnt vmcnt(3)
	v_bfe_i32 v54, v1, 0, 8
	v_lshrrev_b16_e32 v51, 8, v1
	v_ashrrev_i32_e32 v52, 24, v1
	v_bfe_i32 v53, v1, 16, 8
	v_perm_b32 v55, v1, v1, s21
	v_dot4c_i32_i8_e32 v11, v1, v29
	v_dot4c_i32_i8_e32 v6, v1, v30
	s_waitcnt vmcnt(2)
	v_lshrrev_b16_e32 v1, 8, v3
	v_bfe_i32 v29, v3, 0, 8
	v_mul_i32_i24_sdwa v30, sext(v35), sext(v3) dst_sel:DWORD dst_unused:UNUSED_PAD src0_sel:BYTE_2 src1_sel:BYTE_2
	v_mul_i32_i24_sdwa v56, sext(v35), sext(v3) dst_sel:DWORD dst_unused:UNUSED_PAD src0_sel:BYTE_3 src1_sel:BYTE_3
	v_mad_i32_i24 v10, v54, v44, v10
	s_waitcnt vmcnt(1)
	v_perm_b32 v59, v7, v3, s22
	v_mul_i32_i24_sdwa v21, sext(v21), sext(v51) dst_sel:DWORD dst_unused:UNUSED_PAD src0_sel:BYTE_0 src1_sel:BYTE_0
	v_dot4c_i32_i8_e32 v11, v3, v33
	v_dot4c_i32_i8_e32 v6, v3, v34
	v_mul_i32_i24_sdwa v3, sext(v35), v29 dst_sel:DWORD dst_unused:UNUSED_PAD src0_sel:BYTE_0 src1_sel:DWORD
	v_mul_i32_i24_sdwa v1, sext(v47), sext(v1) dst_sel:DWORD dst_unused:UNUSED_PAD src0_sel:BYTE_0 src1_sel:BYTE_0
	v_mad_i32_i24 v30, v31, v53, v30
	v_mad_i32_i24 v31, v45, v52, v56
	v_dot4c_i32_i8_e32 v10, v55, v28
	v_ashrrev_i32_e32 v57, 24, v7
	v_bfe_i32 v58, v7, 8, 8
	v_perm_b32 v60, v7, v7, s23
	v_mul_i32_i24_sdwa v61, sext(v7), sext(v39) dst_sel:DWORD dst_unused:UNUSED_PAD src0_sel:BYTE_0 src1_sel:BYTE_0
	v_mul_i32_i24_sdwa v62, sext(v39), sext(v7) dst_sel:DWORD dst_unused:UNUSED_PAD src0_sel:BYTE_2 src1_sel:BYTE_2
	v_mad_i32_i24 v3, v46, v54, v3
	v_add3_u32 v1, v21, v1, v31
	v_dot4c_i32_i8_e32 v11, v37, v7
	v_dot4c_i32_i8_e32 v6, v38, v7
	v_mad_i32_i24 v7, v29, v48, v10
	v_mad_i32_i24 v33, v58, v50, v62
	v_add3_u32 v1, v3, v30, v1
	v_dot4c_i32_i8_e32 v7, v59, v32
	v_mul_i32_i24_sdwa v34, sext(v39), v57 dst_sel:DWORD dst_unused:UNUSED_PAD src0_sel:BYTE_3 src1_sel:DWORD
	v_add3_u32 v1, v1, v61, v33
	v_dot4c_i32_i8_e32 v7, v60, v36
	v_add3_u32 v18, v1, v18, v34
	s_waitcnt vmcnt(0)
	v_dot4c_i32_i8_e32 v11, v19, v41
	v_dot4c_i32_i8_e32 v6, v19, v42
	v_mad_i32_i24 v10, v57, v49, v7
	v_dot4c_i32_i8_e32 v18, v19, v43
	v_dot4c_i32_i8_e32 v10, v19, v40
	s_andn2_b64 exec, exec, s[14:15]
	s_cbranch_execnz .LBB66_21
; %bb.22:
	s_or_b64 exec, exec, s[14:15]
	v_mov_b32_e32 v7, v18
.LBB66_23:
	s_or_b64 exec, exec, s[10:11]
	v_and_b32_e32 v20, 3, v20
	v_mov_b32_e32 v21, 0
	s_mov_b64 s[14:15], 0
	v_cmp_ne_u64_e32 vcc, 0, v[20:21]
	s_and_saveexec_b64 s[10:11], vcc
	s_cbranch_execz .LBB66_27
; %bb.24:
	v_lshl_add_u64 v[18:19], v[22:23], 2, s[8:9]
	v_lshlrev_b32_e32 v20, 2, v20
	s_mov_b64 s[16:17], 0x80
.LBB66_25:                              ; =>This Inner Loop Header: Depth=1
	global_load_dword v1, v[18:19], off
	global_load_dwordx4 v[22:25], v[16:17], off
	v_lshl_add_u64 v[20:21], v[20:21], 0, -4
	v_cmp_eq_u64_e32 vcc, 0, v[20:21]
	v_lshl_add_u64 v[16:17], v[16:17], 0, s[16:17]
	v_lshl_add_u64 v[18:19], v[18:19], 0, 32
	s_or_b64 s[14:15], vcc, s[14:15]
	s_waitcnt vmcnt(1)
	v_subrev_u32_e32 v1, s12, v1
	v_lshlrev_b32_e32 v26, 2, v1
	v_ashrrev_i32_e32 v27, 31, v26
	s_waitcnt lgkmcnt(0)
	v_lshl_add_u64 v[26:27], s[4:5], 0, v[26:27]
	global_load_dword v1, v[26:27], off
	s_waitcnt vmcnt(0)
	v_dot4c_i32_i8_e32 v11, v1, v23
	v_dot4c_i32_i8_e32 v10, v1, v22
	;; [unrolled: 1-line block ×4, first 2 shown]
	s_andn2_b64 exec, exec, s[14:15]
	s_cbranch_execnz .LBB66_25
; %bb.26:
	s_or_b64 exec, exec, s[14:15]
	v_mov_b32_e32 v18, v7
.LBB66_27:
	s_or_b64 exec, exec, s[10:11]
	v_mov_b32_e32 v1, v18
.LBB66_28:
	s_or_b64 exec, exec, s[6:7]
	v_mov_b32_e32 v16, v1
	s_cbranch_execz .LBB66_30
	s_branch .LBB66_41
.LBB66_29:
                                        ; implicit-def: $vgpr16
                                        ; implicit-def: $vgpr6
                                        ; implicit-def: $vgpr11
.LBB66_30:
	v_mov_b32_e32 v16, 0
	v_mov_b32_e32 v6, 0
	;; [unrolled: 1-line block ×4, first 2 shown]
	s_and_saveexec_b64 s[6:7], s[2:3]
	s_cbranch_execz .LBB66_40
; %bb.31:
	v_or_b32_e32 v1, 8, v0
	v_subrev_co_u32_e32 v6, vcc, s12, v1
	v_not_b32_e32 v10, v12
	s_nop 0
	v_subb_co_u32_e64 v7, s[2:3], 0, 0, vcc
	v_lshl_add_u64 v[6:7], v[6:7], 0, v[12:13]
	v_cmp_gt_i64_e32 vcc, v[6:7], v[14:15]
	v_not_b32_e32 v11, v13
	v_mov_b32_e32 v16, 0
	v_cndmask_b32_e32 v7, v15, v7, vcc
	v_cndmask_b32_e32 v6, v14, v6, vcc
	v_sub_co_u32_e32 v12, vcc, s12, v0
	v_mov_b32_e32 v17, v16
	s_nop 0
	v_subb_co_u32_e64 v13, s[2:3], 0, 0, vcc
	v_lshl_add_u64 v[10:11], v[12:13], 0, v[10:11]
	v_lshl_add_u64 v[6:7], v[10:11], 0, v[6:7]
	v_lshrrev_b64 v[10:11], 3, v[6:7]
	v_lshl_add_u64 v[12:13], v[10:11], 0, 1
	v_cmp_lt_u64_e32 vcc, 23, v[6:7]
	v_mov_b64_e32 v[6:7], v[16:17]
	v_mov_b64_e32 v[10:11], v[16:17]
	s_and_saveexec_b64 s[2:3], vcc
	s_cbranch_execz .LBB66_35
; %bb.32:
	v_lshl_add_u64 v[6:7], v[8:9], 2, s[8:9]
	v_and_b32_e32 v14, -4, v12
	v_mov_b32_e32 v15, v13
	v_lshl_add_u64 v[18:19], v[6:7], 0, 64
	s_mov_b64 s[10:11], 0
	s_mov_b32 s18, 0xc05010c
	s_mov_b32 s19, 0xc0c0c01
	;; [unrolled: 1-line block ×19, first 2 shown]
	s_mov_b64 s[14:15], 0x200
	s_mov_b64 s[16:17], 0x80
	v_mov_b32_e32 v6, 0
	v_mov_b32_e32 v11, 0
	;; [unrolled: 1-line block ×3, first 2 shown]
.LBB66_33:                              ; =>This Inner Loop Header: Depth=1
	global_load_dword v1, v[18:19], off offset:-64
	global_load_dword v3, v[18:19], off offset:-32
	global_load_dword v7, v[18:19], off
	global_load_dword v13, v[18:19], off offset:32
	global_load_dwordx4 v[20:23], v[4:5], off
	global_load_dwordx4 v[24:27], v[4:5], off offset:128
	global_load_dwordx4 v[28:31], v[4:5], off offset:256
	;; [unrolled: 1-line block ×3, first 2 shown]
	v_lshl_add_u64 v[14:15], v[14:15], 0, -4
	v_cmp_eq_u64_e32 vcc, 0, v[14:15]
	v_lshl_add_u64 v[4:5], v[4:5], 0, s[14:15]
	v_lshl_add_u64 v[8:9], v[8:9], 0, 32
	;; [unrolled: 1-line block ×3, first 2 shown]
	s_or_b64 s[10:11], vcc, s[10:11]
	s_waitcnt vmcnt(7)
	v_subrev_u32_e32 v1, s12, v1
	s_waitcnt vmcnt(6)
	v_subrev_u32_e32 v3, s12, v3
	s_waitcnt vmcnt(5)
	v_subrev_u32_e32 v7, s12, v7
	s_waitcnt vmcnt(4)
	v_subrev_u32_e32 v13, s12, v13
	v_lshlrev_b32_e32 v40, 2, v7
	v_lshlrev_b32_e32 v36, 2, v1
	;; [unrolled: 1-line block ×4, first 2 shown]
	v_ashrrev_i32_e32 v41, 31, v40
	v_ashrrev_i32_e32 v37, 31, v36
	;; [unrolled: 1-line block ×4, first 2 shown]
	s_waitcnt lgkmcnt(0)
	v_lshl_add_u64 v[40:41], s[4:5], 0, v[40:41]
	v_lshl_add_u64 v[36:37], s[4:5], 0, v[36:37]
	;; [unrolled: 1-line block ×4, first 2 shown]
	global_load_dword v1, v[40:41], off
	global_load_dword v3, v[36:37], off
	;; [unrolled: 1-line block ×4, first 2 shown]
	s_waitcnt vmcnt(7)
	v_perm_b32 v17, v22, v21, s18
	v_perm_b32 v44, v20, v20, s19
	v_perm_b32 v45, v22, v21, s22
	v_perm_b32 v46, v20, v20, s23
	s_waitcnt vmcnt(6)
	v_perm_b32 v36, v24, v23, s24
	v_perm_b32 v37, v26, v25, s25
	;; [unrolled: 1-line block ×4, first 2 shown]
	s_waitcnt vmcnt(5)
	v_lshrrev_b32_e32 v40, 8, v31
	v_perm_b32 v50, v22, v21, s29
	v_perm_b32 v51, v20, v20, s30
	;; [unrolled: 1-line block ×10, first 2 shown]
	v_lshrrev_b32_e32 v41, 24, v31
	v_lshrrev_b32_e32 v42, 16, v31
	v_perm_b32 v43, v28, v27, s27
	v_perm_b32 v47, v30, v29, s28
	;; [unrolled: 1-line block ×6, first 2 shown]
	v_bfe_i32 v29, v31, 0, 8
	v_or_b32_e32 v20, v21, v20
	v_or_b32_e32 v21, v52, v22
	;; [unrolled: 1-line block ×4, first 2 shown]
	v_bfe_i32 v25, v40, 0, 8
	s_waitcnt vmcnt(4)
	v_perm_b32 v30, v33, v32, s27
	v_perm_b32 v31, v35, v34, s28
	;; [unrolled: 1-line block ×8, first 2 shown]
	v_or_b32_e32 v17, v17, v44
	v_or_b32_e32 v34, v45, v46
	v_or_b32_e32 v35, v37, v36
	v_or_b32_e32 v36, v39, v38
	v_or_b32_e32 v39, v50, v51
	v_or_b32_e32 v24, v28, v27
	v_bfe_i32 v26, v42, 0, 8
	v_bfe_i32 v27, v41, 0, 8
	v_perm_b32 v25, v25, v29, s38
	v_perm_b32 v26, v27, v26, s38
	v_or_b32_e32 v37, v47, v43
	v_or_b32_e32 v38, v49, v48
	;; [unrolled: 1-line block ×6, first 2 shown]
	s_waitcnt vmcnt(3)
	v_lshrrev_b32_e32 v27, 24, v1
	s_waitcnt vmcnt(2)
	v_perm_b32 v29, v3, v3, s21
	s_waitcnt vmcnt(1)
	v_perm_b32 v3, v7, v3, s26
	v_dot4c_i32_i8_e32 v11, v29, v17
	v_dot4c_i32_i8_e32 v10, v29, v34
	;; [unrolled: 1-line block ×4, first 2 shown]
	v_perm_b32 v1, v1, v7, s26
	v_bfe_i32 v7, v27, 0, 8
	v_dot4c_i32_i8_e32 v10, v3, v35
	v_dot4c_i32_i8_e32 v11, v3, v36
	;; [unrolled: 1-line block ×4, first 2 shown]
	v_pk_mul_lo_u16 v3, v7, v25 op_sel_hi:[0,1]
	v_pk_mul_lo_u16 v7, v7, v26 op_sel_hi:[0,1]
	v_dot4c_i32_i8_e32 v11, v1, v37
	v_dot4c_i32_i8_e32 v10, v1, v38
	;; [unrolled: 1-line block ×4, first 2 shown]
	v_add_u32_sdwa v11, v11, sext(v3) dst_sel:DWORD dst_unused:UNUSED_PAD src0_sel:DWORD src1_sel:WORD_1
	v_add_u32_sdwa v10, v10, sext(v3) dst_sel:DWORD dst_unused:UNUSED_PAD src0_sel:DWORD src1_sel:WORD_0
	v_add_u32_sdwa v16, v16, sext(v7) dst_sel:DWORD dst_unused:UNUSED_PAD src0_sel:DWORD src1_sel:WORD_1
	v_add_u32_sdwa v6, v6, sext(v7) dst_sel:DWORD dst_unused:UNUSED_PAD src0_sel:DWORD src1_sel:WORD_0
	s_waitcnt vmcnt(0)
	v_dot4c_i32_i8_e32 v11, v13, v28
	v_dot4c_i32_i8_e32 v10, v13, v30
	;; [unrolled: 1-line block ×4, first 2 shown]
	s_andn2_b64 exec, exec, s[10:11]
	s_cbranch_execnz .LBB66_33
; %bb.34:
	s_or_b64 exec, exec, s[10:11]
	v_mov_b32_e32 v7, v16
.LBB66_35:
	s_or_b64 exec, exec, s[2:3]
	v_and_b32_e32 v12, 3, v12
	v_mov_b32_e32 v13, 0
	s_mov_b64 s[10:11], 0
	v_cmp_ne_u64_e32 vcc, 0, v[12:13]
	s_and_saveexec_b64 s[2:3], vcc
	s_cbranch_execz .LBB66_39
; %bb.36:
	v_lshl_add_u64 v[8:9], v[8:9], 2, s[8:9]
	v_lshlrev_b32_e32 v12, 2, v12
	s_mov_b32 s14, 0xc0c0501
	s_mov_b32 s15, 0x5010c0c
	;; [unrolled: 1-line block ×8, first 2 shown]
	s_mov_b64 s[8:9], 0x80
.LBB66_37:                              ; =>This Inner Loop Header: Depth=1
	global_load_dword v1, v[8:9], off
	global_load_dwordx4 v[14:17], v[4:5], off
	v_lshl_add_u64 v[12:13], v[12:13], 0, -4
	v_cmp_eq_u64_e32 vcc, 0, v[12:13]
	v_lshl_add_u64 v[4:5], v[4:5], 0, s[8:9]
	v_lshl_add_u64 v[8:9], v[8:9], 0, 32
	s_or_b64 s[10:11], vcc, s[10:11]
	s_waitcnt vmcnt(1)
	v_subrev_u32_e32 v1, s12, v1
	v_lshlrev_b32_e32 v18, 2, v1
	v_ashrrev_i32_e32 v19, 31, v18
	s_waitcnt lgkmcnt(0)
	v_lshl_add_u64 v[18:19], s[4:5], 0, v[18:19]
	global_load_dword v1, v[18:19], off
	s_waitcnt vmcnt(1)
	v_perm_b32 v3, v15, v14, s14
	v_perm_b32 v18, v17, v16, s15
	;; [unrolled: 1-line block ×8, first 2 shown]
	v_or_b32_e32 v3, v18, v3
	v_or_b32_e32 v16, v20, v19
	;; [unrolled: 1-line block ×4, first 2 shown]
	s_waitcnt vmcnt(0)
	v_dot4c_i32_i8_e32 v11, v1, v3
	v_dot4c_i32_i8_e32 v10, v1, v16
	;; [unrolled: 1-line block ×4, first 2 shown]
	s_andn2_b64 exec, exec, s[10:11]
	s_cbranch_execnz .LBB66_37
; %bb.38:
	s_or_b64 exec, exec, s[10:11]
	v_mov_b32_e32 v16, v7
.LBB66_39:
	s_or_b64 exec, exec, s[2:3]
.LBB66_40:
	s_or_b64 exec, exec, s[6:7]
.LBB66_41:
	v_mov_b32_dpp v1, v10 row_shr:1 row_mask:0xf bank_mask:0xf
	v_mov_b32_dpp v3, v11 row_shr:1 row_mask:0xf bank_mask:0xf
	;; [unrolled: 1-line block ×4, first 2 shown]
	v_add_u32_e32 v3, v3, v11
	v_add_u32_e32 v4, v1, v10
	;; [unrolled: 1-line block ×4, first 2 shown]
	v_mov_b32_dpp v5, v4 row_shr:2 row_mask:0xf bank_mask:0xf
	v_mov_b32_dpp v1, v3 row_shr:2 row_mask:0xf bank_mask:0xf
	;; [unrolled: 1-line block ×4, first 2 shown]
	v_add_u32_e32 v1, v3, v1
	v_add_u32_e32 v3, v4, v5
	;; [unrolled: 1-line block ×4, first 2 shown]
	v_mov_b32_dpp v4, v3 row_shr:4 row_mask:0xf bank_mask:0xe
	v_mov_b32_dpp v5, v1 row_shr:4 row_mask:0xf bank_mask:0xe
	;; [unrolled: 1-line block ×4, first 2 shown]
	v_cmp_eq_u32_e32 vcc, 7, v0
	s_and_b64 exec, exec, vcc
	s_cbranch_execz .LBB66_14
; %bb.42:
	s_load_dwordx2 s[0:1], s[0:1], 0x50
	v_add_u32_e32 v1, v1, v5
	v_add_u32_e32 v0, v3, v4
	;; [unrolled: 1-line block ×4, first 2 shown]
	s_cmp_eq_u32 s20, 0
	v_lshlrev_b32_e32 v4, 2, v2
	v_mul_lo_u32 v0, v0, s13
	v_mul_lo_u32 v8, v1, s13
	;; [unrolled: 1-line block ×4, first 2 shown]
	s_cbranch_scc1 .LBB66_44
; %bb.43:
	v_ashrrev_i32_e32 v5, 31, v4
	s_waitcnt lgkmcnt(0)
	v_lshl_add_u64 v[14:15], v[4:5], 2, s[0:1]
	global_load_dwordx4 v[10:13], v[14:15], off
	s_waitcnt vmcnt(0)
	v_mad_u64_u32 v[16:17], s[2:3], v11, s20, v[8:9]
	v_mad_u64_u32 v[10:11], s[2:3], v10, s20, v[0:1]
	;; [unrolled: 1-line block ×4, first 2 shown]
	v_mov_b32_e32 v11, v16
	v_mov_b32_e32 v13, v18
	global_store_dwordx4 v[14:15], v[10:13], off
	s_cbranch_execnz .LBB66_14
	s_branch .LBB66_45
.LBB66_44:
.LBB66_45:
	v_ashrrev_i32_e32 v5, 31, v4
	s_waitcnt lgkmcnt(0)
	v_lshl_add_u64 v[4:5], v[4:5], 2, s[0:1]
	v_mov_b32_e32 v1, v8
	v_mov_b32_e32 v3, v6
	global_store_dwordx4 v[4:5], v[0:3], off
	s_endpgm
	.section	.rodata,"a",@progbits
	.p2align	6, 0x0
	.amdhsa_kernel _ZN9rocsparseL18bsrxmvn_4x4_kernelILj128ELj8EiliaaiEEvT3_20rocsparse_direction_NS_24const_host_device_scalarIT1_EES1_PKS1_PKT2_SA_S7_PKT4_PKT5_S5_PT6_21rocsparse_index_base_b
		.amdhsa_group_segment_fixed_size 0
		.amdhsa_private_segment_fixed_size 0
		.amdhsa_kernarg_size 96
		.amdhsa_user_sgpr_count 2
		.amdhsa_user_sgpr_dispatch_ptr 0
		.amdhsa_user_sgpr_queue_ptr 0
		.amdhsa_user_sgpr_kernarg_segment_ptr 1
		.amdhsa_user_sgpr_dispatch_id 0
		.amdhsa_user_sgpr_kernarg_preload_length 0
		.amdhsa_user_sgpr_kernarg_preload_offset 0
		.amdhsa_user_sgpr_private_segment_size 0
		.amdhsa_uses_dynamic_stack 0
		.amdhsa_enable_private_segment 0
		.amdhsa_system_sgpr_workgroup_id_x 1
		.amdhsa_system_sgpr_workgroup_id_y 0
		.amdhsa_system_sgpr_workgroup_id_z 0
		.amdhsa_system_sgpr_workgroup_info 0
		.amdhsa_system_vgpr_workitem_id 0
		.amdhsa_next_free_vgpr 63
		.amdhsa_next_free_sgpr 39
		.amdhsa_accum_offset 64
		.amdhsa_reserve_vcc 1
		.amdhsa_float_round_mode_32 0
		.amdhsa_float_round_mode_16_64 0
		.amdhsa_float_denorm_mode_32 3
		.amdhsa_float_denorm_mode_16_64 3
		.amdhsa_dx10_clamp 1
		.amdhsa_ieee_mode 1
		.amdhsa_fp16_overflow 0
		.amdhsa_tg_split 0
		.amdhsa_exception_fp_ieee_invalid_op 0
		.amdhsa_exception_fp_denorm_src 0
		.amdhsa_exception_fp_ieee_div_zero 0
		.amdhsa_exception_fp_ieee_overflow 0
		.amdhsa_exception_fp_ieee_underflow 0
		.amdhsa_exception_fp_ieee_inexact 0
		.amdhsa_exception_int_div_zero 0
	.end_amdhsa_kernel
	.section	.text._ZN9rocsparseL18bsrxmvn_4x4_kernelILj128ELj8EiliaaiEEvT3_20rocsparse_direction_NS_24const_host_device_scalarIT1_EES1_PKS1_PKT2_SA_S7_PKT4_PKT5_S5_PT6_21rocsparse_index_base_b,"axG",@progbits,_ZN9rocsparseL18bsrxmvn_4x4_kernelILj128ELj8EiliaaiEEvT3_20rocsparse_direction_NS_24const_host_device_scalarIT1_EES1_PKS1_PKT2_SA_S7_PKT4_PKT5_S5_PT6_21rocsparse_index_base_b,comdat
.Lfunc_end66:
	.size	_ZN9rocsparseL18bsrxmvn_4x4_kernelILj128ELj8EiliaaiEEvT3_20rocsparse_direction_NS_24const_host_device_scalarIT1_EES1_PKS1_PKT2_SA_S7_PKT4_PKT5_S5_PT6_21rocsparse_index_base_b, .Lfunc_end66-_ZN9rocsparseL18bsrxmvn_4x4_kernelILj128ELj8EiliaaiEEvT3_20rocsparse_direction_NS_24const_host_device_scalarIT1_EES1_PKS1_PKT2_SA_S7_PKT4_PKT5_S5_PT6_21rocsparse_index_base_b
                                        ; -- End function
	.set _ZN9rocsparseL18bsrxmvn_4x4_kernelILj128ELj8EiliaaiEEvT3_20rocsparse_direction_NS_24const_host_device_scalarIT1_EES1_PKS1_PKT2_SA_S7_PKT4_PKT5_S5_PT6_21rocsparse_index_base_b.num_vgpr, 63
	.set _ZN9rocsparseL18bsrxmvn_4x4_kernelILj128ELj8EiliaaiEEvT3_20rocsparse_direction_NS_24const_host_device_scalarIT1_EES1_PKS1_PKT2_SA_S7_PKT4_PKT5_S5_PT6_21rocsparse_index_base_b.num_agpr, 0
	.set _ZN9rocsparseL18bsrxmvn_4x4_kernelILj128ELj8EiliaaiEEvT3_20rocsparse_direction_NS_24const_host_device_scalarIT1_EES1_PKS1_PKT2_SA_S7_PKT4_PKT5_S5_PT6_21rocsparse_index_base_b.numbered_sgpr, 39
	.set _ZN9rocsparseL18bsrxmvn_4x4_kernelILj128ELj8EiliaaiEEvT3_20rocsparse_direction_NS_24const_host_device_scalarIT1_EES1_PKS1_PKT2_SA_S7_PKT4_PKT5_S5_PT6_21rocsparse_index_base_b.num_named_barrier, 0
	.set _ZN9rocsparseL18bsrxmvn_4x4_kernelILj128ELj8EiliaaiEEvT3_20rocsparse_direction_NS_24const_host_device_scalarIT1_EES1_PKS1_PKT2_SA_S7_PKT4_PKT5_S5_PT6_21rocsparse_index_base_b.private_seg_size, 0
	.set _ZN9rocsparseL18bsrxmvn_4x4_kernelILj128ELj8EiliaaiEEvT3_20rocsparse_direction_NS_24const_host_device_scalarIT1_EES1_PKS1_PKT2_SA_S7_PKT4_PKT5_S5_PT6_21rocsparse_index_base_b.uses_vcc, 1
	.set _ZN9rocsparseL18bsrxmvn_4x4_kernelILj128ELj8EiliaaiEEvT3_20rocsparse_direction_NS_24const_host_device_scalarIT1_EES1_PKS1_PKT2_SA_S7_PKT4_PKT5_S5_PT6_21rocsparse_index_base_b.uses_flat_scratch, 0
	.set _ZN9rocsparseL18bsrxmvn_4x4_kernelILj128ELj8EiliaaiEEvT3_20rocsparse_direction_NS_24const_host_device_scalarIT1_EES1_PKS1_PKT2_SA_S7_PKT4_PKT5_S5_PT6_21rocsparse_index_base_b.has_dyn_sized_stack, 0
	.set _ZN9rocsparseL18bsrxmvn_4x4_kernelILj128ELj8EiliaaiEEvT3_20rocsparse_direction_NS_24const_host_device_scalarIT1_EES1_PKS1_PKT2_SA_S7_PKT4_PKT5_S5_PT6_21rocsparse_index_base_b.has_recursion, 0
	.set _ZN9rocsparseL18bsrxmvn_4x4_kernelILj128ELj8EiliaaiEEvT3_20rocsparse_direction_NS_24const_host_device_scalarIT1_EES1_PKS1_PKT2_SA_S7_PKT4_PKT5_S5_PT6_21rocsparse_index_base_b.has_indirect_call, 0
	.section	.AMDGPU.csdata,"",@progbits
; Kernel info:
; codeLenInByte = 3384
; TotalNumSgprs: 45
; NumVgprs: 63
; NumAgprs: 0
; TotalNumVgprs: 63
; ScratchSize: 0
; MemoryBound: 0
; FloatMode: 240
; IeeeMode: 1
; LDSByteSize: 0 bytes/workgroup (compile time only)
; SGPRBlocks: 5
; VGPRBlocks: 7
; NumSGPRsForWavesPerEU: 45
; NumVGPRsForWavesPerEU: 63
; AccumOffset: 64
; Occupancy: 8
; WaveLimiterHint : 1
; COMPUTE_PGM_RSRC2:SCRATCH_EN: 0
; COMPUTE_PGM_RSRC2:USER_SGPR: 2
; COMPUTE_PGM_RSRC2:TRAP_HANDLER: 0
; COMPUTE_PGM_RSRC2:TGID_X_EN: 1
; COMPUTE_PGM_RSRC2:TGID_Y_EN: 0
; COMPUTE_PGM_RSRC2:TGID_Z_EN: 0
; COMPUTE_PGM_RSRC2:TIDIG_COMP_CNT: 0
; COMPUTE_PGM_RSRC3_GFX90A:ACCUM_OFFSET: 15
; COMPUTE_PGM_RSRC3_GFX90A:TG_SPLIT: 0
	.section	.text._ZN9rocsparseL18bsrxmvn_4x4_kernelILj128ELj16EiliaaiEEvT3_20rocsparse_direction_NS_24const_host_device_scalarIT1_EES1_PKS1_PKT2_SA_S7_PKT4_PKT5_S5_PT6_21rocsparse_index_base_b,"axG",@progbits,_ZN9rocsparseL18bsrxmvn_4x4_kernelILj128ELj16EiliaaiEEvT3_20rocsparse_direction_NS_24const_host_device_scalarIT1_EES1_PKS1_PKT2_SA_S7_PKT4_PKT5_S5_PT6_21rocsparse_index_base_b,comdat
	.globl	_ZN9rocsparseL18bsrxmvn_4x4_kernelILj128ELj16EiliaaiEEvT3_20rocsparse_direction_NS_24const_host_device_scalarIT1_EES1_PKS1_PKT2_SA_S7_PKT4_PKT5_S5_PT6_21rocsparse_index_base_b ; -- Begin function _ZN9rocsparseL18bsrxmvn_4x4_kernelILj128ELj16EiliaaiEEvT3_20rocsparse_direction_NS_24const_host_device_scalarIT1_EES1_PKS1_PKT2_SA_S7_PKT4_PKT5_S5_PT6_21rocsparse_index_base_b
	.p2align	8
	.type	_ZN9rocsparseL18bsrxmvn_4x4_kernelILj128ELj16EiliaaiEEvT3_20rocsparse_direction_NS_24const_host_device_scalarIT1_EES1_PKS1_PKT2_SA_S7_PKT4_PKT5_S5_PT6_21rocsparse_index_base_b,@function
_ZN9rocsparseL18bsrxmvn_4x4_kernelILj128ELj16EiliaaiEEvT3_20rocsparse_direction_NS_24const_host_device_scalarIT1_EES1_PKS1_PKT2_SA_S7_PKT4_PKT5_S5_PT6_21rocsparse_index_base_b: ; @_ZN9rocsparseL18bsrxmvn_4x4_kernelILj128ELj16EiliaaiEEvT3_20rocsparse_direction_NS_24const_host_device_scalarIT1_EES1_PKS1_PKT2_SA_S7_PKT4_PKT5_S5_PT6_21rocsparse_index_base_b
; %bb.0:
	s_load_dwordx2 s[12:13], s[0:1], 0x58
	s_load_dwordx2 s[8:9], s[0:1], 0x8
	s_mov_b64 s[10:11], -1
	s_waitcnt lgkmcnt(0)
	s_bitcmp1_b32 s13, 0
	s_cselect_b64 s[4:5], -1, 0
	s_xor_b64 s[6:7], s[4:5], -1
	s_and_b64 vcc, exec, s[6:7]
                                        ; implicit-def: $sgpr13
	s_cbranch_vccnz .LBB67_4
; %bb.1:
	s_load_dwordx2 s[4:5], s[0:1], 0x48
	s_andn2_b64 vcc, exec, s[10:11]
	s_cbranch_vccz .LBB67_5
.LBB67_2:
	s_and_b64 vcc, exec, s[6:7]
	s_cbranch_vccz .LBB67_6
.LBB67_3:
	s_waitcnt lgkmcnt(0)
	s_load_dword s20, s[4:5], 0x0
	s_cbranch_execz .LBB67_7
	s_branch .LBB67_8
.LBB67_4:
	s_load_dword s13, s[8:9], 0x0
	s_load_dwordx2 s[4:5], s[0:1], 0x48
	s_cbranch_execnz .LBB67_2
.LBB67_5:
	s_waitcnt lgkmcnt(0)
	s_mov_b32 s13, s8
	s_and_b64 vcc, exec, s[6:7]
	s_cbranch_vccnz .LBB67_3
.LBB67_6:
                                        ; implicit-def: $sgpr20
.LBB67_7:
	s_waitcnt lgkmcnt(0)
	s_mov_b32 s20, s4
.LBB67_8:
	s_waitcnt lgkmcnt(0)
	s_cmp_lg_u32 s13, 0
	s_cselect_b64 s[4:5], -1, 0
	s_cmp_lg_u32 s20, 1
	s_cselect_b64 s[6:7], -1, 0
	s_or_b64 s[4:5], s[4:5], s[6:7]
	s_andn2_b64 vcc, exec, s[4:5]
	s_cbranch_vccnz .LBB67_14
; %bb.9:
	s_load_dwordx2 s[4:5], s[0:1], 0x18
	s_load_dwordx2 s[14:15], s[0:1], 0x0
	v_lshrrev_b32_e32 v1, 4, v0
	v_lshl_or_b32 v2, s2, 3, v1
	s_mov_b64 s[2:3], 0
	s_waitcnt lgkmcnt(0)
	s_cmp_lg_u64 s[4:5], 0
	s_cbranch_scc0 .LBB67_15
; %bb.10:
	s_load_dword s6, s[0:1], 0x10
                                        ; implicit-def: $vgpr1
	s_waitcnt lgkmcnt(0)
	v_cmp_gt_i32_e32 vcc, s6, v2
	s_and_saveexec_b64 s[6:7], vcc
	s_xor_b64 s[6:7], exec, s[6:7]
	s_cbranch_execz .LBB67_12
; %bb.11:
	v_ashrrev_i32_e32 v3, 31, v2
	v_lshl_add_u64 v[4:5], v[2:3], 2, s[4:5]
	global_load_dword v1, v[4:5], off
	s_mov_b64 s[2:3], exec
	s_waitcnt vmcnt(0)
	v_subrev_u32_e32 v1, s12, v1
.LBB67_12:
	s_or_b64 exec, exec, s[6:7]
	s_branch .LBB67_16
.LBB67_13:
	v_cmp_gt_i32_e32 vcc, s14, v2
	s_andn2_b64 s[2:3], s[2:3], exec
	s_and_b64 s[4:5], vcc, exec
	s_or_b64 s[2:3], s[2:3], s[4:5]
	s_and_saveexec_b64 s[4:5], s[2:3]
	s_cbranch_execnz .LBB67_17
.LBB67_14:
	s_endpgm
.LBB67_15:
                                        ; implicit-def: $vgpr1
	s_cbranch_execnz .LBB67_13
.LBB67_16:
	v_mov_b32_e32 v2, v1
	s_and_saveexec_b64 s[4:5], s[2:3]
	s_cbranch_execz .LBB67_14
.LBB67_17:
	s_load_dwordx8 s[4:11], s[0:1], 0x20
	v_ashrrev_i32_e32 v3, 31, v2
	v_lshlrev_b64 v[4:5], 3, v[2:3]
	v_and_b32_e32 v0, 15, v0
	v_mov_b32_e32 v1, 0
	s_waitcnt lgkmcnt(0)
	v_lshl_add_u64 v[6:7], s[4:5], 0, v[4:5]
	s_cmp_eq_u64 s[6:7], 0
	v_lshl_add_u64 v[4:5], s[6:7], 0, v[4:5]
	global_load_dwordx2 v[8:9], v[6:7], off
	v_lshl_add_u64 v[6:7], v[6:7], 0, 8
	s_cselect_b64 vcc, -1, 0
	v_cndmask_b32_e32 v5, v5, v7, vcc
	v_cndmask_b32_e32 v4, v4, v6, vcc
	global_load_dwordx2 v[4:5], v[4:5], off
	s_load_dwordx2 s[4:5], s[0:1], 0x40
	s_cmp_eq_u32 s15, 1
	s_waitcnt vmcnt(1)
	v_subrev_co_u32_e32 v6, vcc, s12, v8
	s_nop 1
	v_subbrev_co_u32_e32 v7, vcc, 0, v9, vcc
	v_lshl_add_u64 v[6:7], v[6:7], 0, v[0:1]
	s_waitcnt vmcnt(0)
	v_subrev_co_u32_e32 v10, vcc, s12, v4
	s_nop 1
	v_subbrev_co_u32_e32 v11, vcc, 0, v5, vcc
	v_lshl_add_u64 v[4:5], v[6:7], 4, s[10:11]
	v_cmp_lt_i64_e64 s[2:3], v[6:7], v[10:11]
	s_cbranch_scc1 .LBB67_29
; %bb.18:
	v_mov_b32_e32 v23, v1
	v_mov_b32_e32 v22, v1
	;; [unrolled: 1-line block ×3, first 2 shown]
	s_and_saveexec_b64 s[6:7], s[2:3]
	s_cbranch_execz .LBB67_28
; %bb.19:
	v_or_b32_e32 v1, 16, v0
	v_subrev_co_u32_e32 v12, vcc, s12, v1
	v_not_b32_e32 v15, v9
	s_nop 0
	v_subb_co_u32_e64 v13, s[10:11], 0, 0, vcc
	v_lshl_add_u64 v[12:13], v[12:13], 0, v[8:9]
	v_cmp_gt_i64_e32 vcc, v[12:13], v[10:11]
	v_not_b32_e32 v14, v8
	v_mov_b32_e32 v3, 0
	v_cndmask_b32_e32 v13, v11, v13, vcc
	v_cndmask_b32_e32 v12, v10, v12, vcc
	v_sub_co_u32_e32 v16, vcc, s12, v0
	v_mov_b32_e32 v22, 0
	s_nop 0
	v_subb_co_u32_e64 v17, s[10:11], 0, 0, vcc
	v_lshl_add_u64 v[14:15], v[16:17], 0, v[14:15]
	v_lshl_add_u64 v[12:13], v[14:15], 0, v[12:13]
	v_lshrrev_b64 v[14:15], 4, v[12:13]
	v_lshl_add_u64 v[14:15], v[14:15], 0, 1
	v_cmp_lt_u64_e32 vcc, 47, v[12:13]
	v_mov_b32_e32 v23, 0
	v_mov_b32_e32 v1, 0
	v_mov_b64_e32 v[16:17], v[6:7]
	v_mov_b64_e32 v[12:13], v[4:5]
	s_and_saveexec_b64 s[10:11], vcc
	s_cbranch_execz .LBB67_23
; %bb.20:
	v_lshl_add_u64 v[12:13], v[6:7], 2, s[8:9]
	s_mov_b64 s[14:15], 0x80
	v_mov_b32_e32 v1, 0
	v_and_b32_e32 v18, -4, v14
	v_mov_b32_e32 v19, v15
	v_lshl_add_u64 v[20:21], v[12:13], 0, s[14:15]
	s_mov_b64 s[14:15], 0
	s_mov_b32 s21, 0xc0c0100
	s_mov_b32 s22, 0xc0c0302
	;; [unrolled: 1-line block ×3, first 2 shown]
	s_mov_b64 s[16:17], 0x400
	s_mov_b64 s[18:19], 0x100
	v_mov_b64_e32 v[12:13], v[4:5]
	v_mov_b64_e32 v[16:17], v[6:7]
	v_mov_b32_e32 v23, v1
	v_mov_b32_e32 v22, v1
	;; [unrolled: 1-line block ×3, first 2 shown]
.LBB67_21:                              ; =>This Inner Loop Header: Depth=1
	global_load_dword v15, v[20:21], off offset:-128
	global_load_dword v40, v[20:21], off offset:-64
	global_load_dword v41, v[20:21], off
	global_load_dword v42, v[20:21], off offset:64
	global_load_dwordx4 v[24:27], v[12:13], off
	global_load_dwordx4 v[28:31], v[12:13], off offset:256
	global_load_dwordx4 v[32:35], v[12:13], off offset:512
	;; [unrolled: 1-line block ×3, first 2 shown]
	v_lshl_add_u64 v[18:19], v[18:19], 0, -4
	v_cmp_eq_u64_e32 vcc, 0, v[18:19]
	v_lshl_add_u64 v[12:13], v[12:13], 0, s[16:17]
	v_lshl_add_u64 v[16:17], v[16:17], 0, 64
	;; [unrolled: 1-line block ×3, first 2 shown]
	s_or_b64 s[14:15], vcc, s[14:15]
	s_waitcnt vmcnt(7)
	v_subrev_u32_e32 v15, s12, v15
	s_waitcnt vmcnt(6)
	v_subrev_u32_e32 v43, s12, v40
	;; [unrolled: 2-line block ×4, first 2 shown]
	v_lshlrev_b32_e32 v40, 2, v15
	v_lshlrev_b32_e32 v42, 2, v43
	;; [unrolled: 1-line block ×4, first 2 shown]
	v_ashrrev_i32_e32 v41, 31, v40
	v_ashrrev_i32_e32 v43, 31, v42
	;; [unrolled: 1-line block ×4, first 2 shown]
	s_waitcnt lgkmcnt(0)
	v_lshl_add_u64 v[40:41], s[4:5], 0, v[40:41]
	v_lshl_add_u64 v[42:43], s[4:5], 0, v[42:43]
	;; [unrolled: 1-line block ×4, first 2 shown]
	global_load_dword v15, v[40:41], off
	global_load_dword v48, v[46:47], off
	;; [unrolled: 1-line block ×4, first 2 shown]
	s_waitcnt vmcnt(7)
	v_perm_b32 v40, v27, v27, s21
	v_perm_b32 v41, v26, v26, s21
	;; [unrolled: 1-line block ×8, first 2 shown]
	s_waitcnt vmcnt(4)
	v_bfe_i32 v44, v36, 0, 8
	v_bfe_i32 v45, v37, 0, 8
	;; [unrolled: 1-line block ×4, first 2 shown]
	v_perm_b32 v36, v36, v36, s23
	v_perm_b32 v37, v37, v37, s23
	;; [unrolled: 1-line block ×4, first 2 shown]
	s_waitcnt vmcnt(3)
	v_perm_b32 v51, v15, v15, s21
	v_perm_b32 v15, v15, v15, s22
	v_dot4c_i32_i8_e32 v1, v40, v51
	v_dot4c_i32_i8_e32 v23, v41, v51
	;; [unrolled: 1-line block ×8, first 2 shown]
	s_waitcnt vmcnt(1)
	v_dot4c_i32_i8_e32 v1, v49, v31
	v_dot4c_i32_i8_e32 v23, v49, v30
	;; [unrolled: 1-line block ×4, first 2 shown]
	v_bfe_i32 v52, v48, 0, 8
	s_waitcnt vmcnt(0)
	v_dot4c_i32_i8_e32 v3, v50, v32
	v_dot4c_i32_i8_e32 v22, v50, v33
	;; [unrolled: 1-line block ×4, first 2 shown]
	v_perm_b32 v48, v48, v48, s23
	v_mad_i32_i24 v22, v45, v52, v22
	v_mad_i32_i24 v23, v46, v52, v23
	;; [unrolled: 1-line block ×4, first 2 shown]
	v_dot4c_i32_i8_e32 v3, v48, v36
	v_dot4c_i32_i8_e32 v22, v48, v37
	;; [unrolled: 1-line block ×4, first 2 shown]
	s_andn2_b64 exec, exec, s[14:15]
	s_cbranch_execnz .LBB67_21
; %bb.22:
	s_or_b64 exec, exec, s[14:15]
.LBB67_23:
	s_or_b64 exec, exec, s[10:11]
	v_and_b32_e32 v14, 3, v14
	v_mov_b32_e32 v15, 0
	s_mov_b64 s[14:15], 0
	v_cmp_ne_u64_e32 vcc, 0, v[14:15]
	s_and_saveexec_b64 s[10:11], vcc
	s_cbranch_execz .LBB67_27
; %bb.24:
	v_lshl_add_u64 v[16:17], v[16:17], 2, s[8:9]
	v_lshlrev_b32_e32 v14, 2, v14
	s_mov_b64 s[16:17], 0x100
.LBB67_25:                              ; =>This Inner Loop Header: Depth=1
	global_load_dword v24, v[16:17], off
	global_load_dwordx4 v[18:21], v[12:13], off
	v_lshl_add_u64 v[14:15], v[14:15], 0, -4
	v_cmp_eq_u64_e32 vcc, 0, v[14:15]
	v_lshl_add_u64 v[12:13], v[12:13], 0, s[16:17]
	v_lshl_add_u64 v[16:17], v[16:17], 0, 64
	s_or_b64 s[14:15], vcc, s[14:15]
	s_waitcnt vmcnt(1)
	v_subrev_u32_e32 v24, s12, v24
	v_lshlrev_b32_e32 v24, 2, v24
	v_ashrrev_i32_e32 v25, 31, v24
	s_waitcnt lgkmcnt(0)
	v_lshl_add_u64 v[24:25], s[4:5], 0, v[24:25]
	global_load_dword v24, v[24:25], off
	s_waitcnt vmcnt(0)
	v_dot4c_i32_i8_e32 v3, v24, v18
	v_dot4c_i32_i8_e32 v22, v24, v19
	;; [unrolled: 1-line block ×4, first 2 shown]
	s_andn2_b64 exec, exec, s[14:15]
	s_cbranch_execnz .LBB67_25
; %bb.26:
	s_or_b64 exec, exec, s[14:15]
.LBB67_27:
	s_or_b64 exec, exec, s[10:11]
.LBB67_28:
	s_or_b64 exec, exec, s[6:7]
	s_cbranch_execz .LBB67_30
	s_branch .LBB67_41
.LBB67_29:
                                        ; implicit-def: $vgpr23
                                        ; implicit-def: $vgpr22
                                        ; implicit-def: $vgpr3
.LBB67_30:
	v_mov_b32_e32 v1, 0
	v_mov_b32_e32 v23, 0
	;; [unrolled: 1-line block ×4, first 2 shown]
	s_and_saveexec_b64 s[6:7], s[2:3]
	s_cbranch_execz .LBB67_40
; %bb.31:
	v_or_b32_e32 v1, 16, v0
	v_subrev_co_u32_e32 v12, vcc, s12, v1
	v_mov_b32_e32 v3, 0
	s_nop 0
	v_subb_co_u32_e64 v13, s[2:3], 0, 0, vcc
	v_lshl_add_u64 v[12:13], v[12:13], 0, v[8:9]
	v_cmp_gt_i64_e32 vcc, v[12:13], v[10:11]
	v_not_b32_e32 v9, v9
	v_not_b32_e32 v8, v8
	v_cndmask_b32_e32 v11, v11, v13, vcc
	v_cndmask_b32_e32 v10, v10, v12, vcc
	v_sub_co_u32_e32 v12, vcc, s12, v0
	v_mov_b32_e32 v22, 0
	s_nop 0
	v_subb_co_u32_e64 v13, s[2:3], 0, 0, vcc
	v_lshl_add_u64 v[8:9], v[12:13], 0, v[8:9]
	v_lshl_add_u64 v[10:11], v[8:9], 0, v[10:11]
	v_lshrrev_b64 v[8:9], 4, v[10:11]
	v_lshl_add_u64 v[8:9], v[8:9], 0, 1
	v_cmp_lt_u64_e32 vcc, 47, v[10:11]
	v_mov_b32_e32 v23, 0
	v_mov_b32_e32 v1, 0
	s_and_saveexec_b64 s[2:3], vcc
	s_cbranch_execz .LBB67_35
; %bb.32:
	v_lshl_add_u64 v[12:13], v[6:7], 2, s[8:9]
	s_mov_b64 s[10:11], 0x80
	v_and_b32_e32 v10, -4, v8
	v_mov_b32_e32 v11, v9
	v_lshl_add_u64 v[12:13], v[12:13], 0, s[10:11]
	v_mov_b32_e32 v3, 0
	s_mov_b64 s[10:11], 0
	s_mov_b32 s18, 0x5040100
	s_mov_b32 s19, 0xc0c0703
	;; [unrolled: 1-line block ×19, first 2 shown]
	s_mov_b64 s[14:15], 0x400
	s_mov_b64 s[16:17], 0x100
	v_mov_b32_e32 v22, 0
	v_mov_b32_e32 v23, 0
	;; [unrolled: 1-line block ×3, first 2 shown]
.LBB67_33:                              ; =>This Inner Loop Header: Depth=1
	global_load_dword v9, v[12:13], off offset:-128
	global_load_dwordx4 v[14:17], v[4:5], off
	global_load_dword v32, v[12:13], off offset:-64
	global_load_dword v33, v[12:13], off
	global_load_dword v34, v[12:13], off offset:64
	global_load_dwordx4 v[18:21], v[4:5], off offset:256
	global_load_dwordx4 v[24:27], v[4:5], off offset:512
	;; [unrolled: 1-line block ×3, first 2 shown]
	v_lshl_add_u64 v[10:11], v[10:11], 0, -4
	v_cmp_eq_u64_e32 vcc, 0, v[10:11]
	v_lshl_add_u64 v[4:5], v[4:5], 0, s[14:15]
	v_lshl_add_u64 v[6:7], v[6:7], 0, 64
	;; [unrolled: 1-line block ×3, first 2 shown]
	s_or_b64 s[10:11], vcc, s[10:11]
	s_waitcnt vmcnt(7)
	v_subrev_u32_e32 v9, s12, v9
	s_waitcnt vmcnt(6)
	v_perm_b32 v40, v17, v16, s19
	s_waitcnt vmcnt(5)
	v_subrev_u32_e32 v32, s12, v32
	s_waitcnt vmcnt(4)
	v_subrev_u32_e32 v33, s12, v33
	v_perm_b32 v41, v17, v16, s22
	v_perm_b32 v42, v17, v16, s23
	;; [unrolled: 1-line block ×3, first 2 shown]
	s_waitcnt vmcnt(3)
	v_subrev_u32_e32 v17, s12, v34
	v_lshlrev_b32_e32 v16, 2, v9
	v_lshlrev_b32_e32 v32, 2, v32
	v_lshlrev_b32_e32 v34, 2, v33
	v_lshlrev_b32_e32 v36, 2, v17
	v_ashrrev_i32_e32 v17, 31, v16
	v_ashrrev_i32_e32 v33, 31, v32
	v_ashrrev_i32_e32 v35, 31, v34
	v_ashrrev_i32_e32 v37, 31, v36
	s_waitcnt lgkmcnt(0)
	v_lshl_add_u64 v[16:17], s[4:5], 0, v[16:17]
	v_lshl_add_u64 v[32:33], s[4:5], 0, v[32:33]
	;; [unrolled: 1-line block ×4, first 2 shown]
	global_load_dword v9, v[16:17], off
	global_load_dword v49, v[36:37], off
	;; [unrolled: 1-line block ×4, first 2 shown]
	s_waitcnt vmcnt(6)
	v_perm_b32 v44, v19, v18, s24
	v_perm_b32 v45, v21, v20, s25
	v_perm_b32 v46, v19, v18, s23
	v_perm_b32 v47, v21, v20, s26
	v_perm_b32 v48, v19, v18, s22
	v_perm_b32 v16, v21, v20, s27
	v_perm_b32 v17, v19, v18, s19
	v_perm_b32 v18, v21, v20, s28
	s_waitcnt vmcnt(5)
	v_perm_b32 v19, v25, v24, s19
	v_perm_b32 v20, v27, v26, s28
	;; [unrolled: 1-line block ×8, first 2 shown]
	s_waitcnt vmcnt(4)
	v_lshrrev_b32_e32 v26, 16, v28
	v_lshrrev_b32_e32 v38, 16, v15
	v_or_b32_e32 v17, v18, v17
	v_or_b32_e32 v18, v20, v19
	;; [unrolled: 1-line block ×4, first 2 shown]
	v_ashrrev_i16_e32 v24, 8, v26
	v_bfe_i32 v25, v26, 0, 8
	v_ashrrev_i16_e32 v39, 8, v15
	v_bfe_i32 v15, v15, 0, 8
	v_perm_b32 v35, v31, v30, s29
	v_perm_b32 v36, v29, v29, s30
	;; [unrolled: 1-line block ×8, first 2 shown]
	v_ashrrev_i16_e32 v31, 8, v38
	v_bfe_i32 v38, v38, 0, 8
	v_perm_b32 v24, v24, v25, s18
	v_ashrrev_i16_e32 v27, 8, v28
	v_bfe_i32 v28, v28, 0, 8
	v_perm_b32 v15, v39, v15, s18
	v_or_b32_e32 v29, v30, v29
	v_perm_b32 v30, v31, v38, s18
	v_perm_b32 v26, v27, v28, s18
	v_or_b32_e32 v27, v35, v36
	v_or_b32_e32 v20, v34, v33
	;; [unrolled: 1-line block ×7, first 2 shown]
	s_waitcnt vmcnt(3)
	v_lshrrev_b32_e32 v25, 8, v9
	v_bfe_i32 v25, v25, 0, 8
	s_waitcnt vmcnt(2)
	v_bfe_i32 v35, v49, 0, 8
	v_pk_mul_lo_u16 v30, v25, v30 op_sel_hi:[0,1]
	v_pk_mul_lo_u16 v15, v25, v15 op_sel_hi:[0,1]
	v_mul_i32_i24_sdwa v31, sext(v9), sext(v14) dst_sel:DWORD dst_unused:UNUSED_PAD src0_sel:BYTE_0 src1_sel:BYTE_1
	v_mul_i32_i24_sdwa v33, sext(v9), sext(v14) dst_sel:DWORD dst_unused:UNUSED_PAD src0_sel:BYTE_0 src1_sel:BYTE_0
	v_mul_i32_i24_sdwa v34, sext(v9), sext(v14) dst_sel:DWORD dst_unused:UNUSED_PAD src0_sel:BYTE_0 src1_sel:BYTE_3
	v_mul_i32_i24_sdwa v14, sext(v9), sext(v14) dst_sel:DWORD dst_unused:UNUSED_PAD src0_sel:BYTE_0 src1_sel:BYTE_2
	v_pk_mul_lo_u16 v24, v35, v24 op_sel_hi:[0,1]
	v_pk_mul_lo_u16 v26, v35, v26 op_sel_hi:[0,1]
	v_ashrrev_i32_e32 v25, 16, v30
	v_bfe_i32 v30, v30, 0, 16
	v_ashrrev_i32_e32 v35, 16, v15
	v_bfe_i32 v15, v15, 0, 16
	v_perm_b32 v9, v9, v9, s21
	v_add3_u32 v3, v33, v3, v15
	v_add3_u32 v15, v31, v22, v35
	;; [unrolled: 1-line block ×4, first 2 shown]
	v_dot4c_i32_i8_e32 v1, v9, v40
	v_dot4c_i32_i8_e32 v14, v9, v41
	;; [unrolled: 1-line block ×4, first 2 shown]
	s_waitcnt vmcnt(1)
	v_dot4c_i32_i8_e32 v3, v50, v39
	v_dot4c_i32_i8_e32 v15, v50, v44
	;; [unrolled: 1-line block ×4, first 2 shown]
	s_waitcnt vmcnt(0)
	v_dot4c_i32_i8_e32 v1, v51, v18
	v_dot4c_i32_i8_e32 v14, v51, v19
	;; [unrolled: 1-line block ×4, first 2 shown]
	v_perm_b32 v36, v49, v49, s31
	v_add_u32_sdwa v23, v14, sext(v24) dst_sel:DWORD dst_unused:UNUSED_PAD src0_sel:DWORD src1_sel:WORD_0
	v_add_u32_sdwa v22, v15, sext(v26) dst_sel:DWORD dst_unused:UNUSED_PAD src0_sel:DWORD src1_sel:WORD_1
	v_add_u32_sdwa v3, v3, sext(v26) dst_sel:DWORD dst_unused:UNUSED_PAD src0_sel:DWORD src1_sel:WORD_0
	v_add_u32_sdwa v1, v1, sext(v24) dst_sel:DWORD dst_unused:UNUSED_PAD src0_sel:DWORD src1_sel:WORD_1
	v_dot4c_i32_i8_e32 v1, v36, v27
	v_dot4c_i32_i8_e32 v23, v36, v28
	;; [unrolled: 1-line block ×4, first 2 shown]
	s_andn2_b64 exec, exec, s[10:11]
	s_cbranch_execnz .LBB67_33
; %bb.34:
	s_or_b64 exec, exec, s[10:11]
.LBB67_35:
	s_or_b64 exec, exec, s[2:3]
	v_and_b32_e32 v8, 3, v8
	v_mov_b32_e32 v9, 0
	s_mov_b64 s[10:11], 0
	v_cmp_ne_u64_e32 vcc, 0, v[8:9]
	s_and_saveexec_b64 s[2:3], vcc
	s_cbranch_execz .LBB67_39
; %bb.36:
	v_lshl_add_u64 v[6:7], v[6:7], 2, s[8:9]
	v_lshlrev_b32_e32 v8, 2, v8
	s_mov_b32 s14, 0xc0c0400
	s_mov_b32 s15, 0x4000c0c
	;; [unrolled: 1-line block ×8, first 2 shown]
	s_mov_b64 s[8:9], 0x100
.LBB67_37:                              ; =>This Inner Loop Header: Depth=1
	global_load_dword v14, v[6:7], off
	global_load_dwordx4 v[10:13], v[4:5], off
	v_lshl_add_u64 v[8:9], v[8:9], 0, -4
	v_cmp_eq_u64_e32 vcc, 0, v[8:9]
	v_lshl_add_u64 v[6:7], v[6:7], 0, 64
	v_lshl_add_u64 v[4:5], v[4:5], 0, s[8:9]
	s_or_b64 s[10:11], vcc, s[10:11]
	s_waitcnt vmcnt(1)
	v_subrev_u32_e32 v14, s12, v14
	v_lshlrev_b32_e32 v14, 2, v14
	v_ashrrev_i32_e32 v15, 31, v14
	s_waitcnt lgkmcnt(0)
	v_lshl_add_u64 v[14:15], s[4:5], 0, v[14:15]
	global_load_dword v14, v[14:15], off
	s_waitcnt vmcnt(1)
	v_perm_b32 v15, v11, v10, s14
	v_perm_b32 v16, v13, v12, s15
	;; [unrolled: 1-line block ×8, first 2 shown]
	v_or_b32_e32 v12, v16, v15
	v_or_b32_e32 v13, v18, v17
	;; [unrolled: 1-line block ×4, first 2 shown]
	s_waitcnt vmcnt(0)
	v_dot4c_i32_i8_e32 v3, v14, v12
	v_dot4c_i32_i8_e32 v22, v14, v13
	;; [unrolled: 1-line block ×4, first 2 shown]
	s_andn2_b64 exec, exec, s[10:11]
	s_cbranch_execnz .LBB67_37
; %bb.38:
	s_or_b64 exec, exec, s[10:11]
.LBB67_39:
	s_or_b64 exec, exec, s[2:3]
.LBB67_40:
	s_or_b64 exec, exec, s[6:7]
.LBB67_41:
	v_mov_b32_dpp v4, v3 row_shr:1 row_mask:0xf bank_mask:0xf
	v_mov_b32_dpp v5, v22 row_shr:1 row_mask:0xf bank_mask:0xf
	v_mov_b32_dpp v6, v23 row_shr:1 row_mask:0xf bank_mask:0xf
	v_mov_b32_dpp v7, v1 row_shr:1 row_mask:0xf bank_mask:0xf
	v_add_u32_e32 v1, v7, v1
	v_add_u32_e32 v6, v6, v23
	v_add_u32_e32 v5, v5, v22
	v_add_u32_e32 v3, v4, v3
	v_mov_b32_dpp v8, v6 row_shr:2 row_mask:0xf bank_mask:0xf
	v_mov_b32_dpp v7, v5 row_shr:2 row_mask:0xf bank_mask:0xf
	v_mov_b32_dpp v4, v3 row_shr:2 row_mask:0xf bank_mask:0xf
	v_mov_b32_dpp v9, v1 row_shr:2 row_mask:0xf bank_mask:0xf
	v_add_u32_e32 v1, v1, v9
	v_add_u32_e32 v6, v6, v8
	v_add_u32_e32 v5, v5, v7
	v_add_u32_e32 v7, v3, v4
	;; [unrolled: 8-line block ×3, first 2 shown]
	v_mov_b32_dpp v8, v3 row_shr:8 row_mask:0xf bank_mask:0xc
	v_mov_b32_dpp v7, v4 row_shr:8 row_mask:0xf bank_mask:0xc
	;; [unrolled: 1-line block ×4, first 2 shown]
	v_cmp_eq_u32_e32 vcc, 15, v0
	s_and_b64 exec, exec, vcc
	s_cbranch_execz .LBB67_14
; %bb.42:
	s_load_dwordx2 s[0:1], s[0:1], 0x50
	v_add_u32_e32 v1, v1, v9
	v_add_u32_e32 v3, v3, v8
	;; [unrolled: 1-line block ×4, first 2 shown]
	s_cmp_eq_u32 s20, 0
	v_lshlrev_b32_e32 v4, 2, v2
	v_mul_lo_u32 v0, v0, s13
	v_mul_lo_u32 v8, v7, s13
	;; [unrolled: 1-line block ×4, first 2 shown]
	s_cbranch_scc1 .LBB67_44
; %bb.43:
	v_ashrrev_i32_e32 v5, 31, v4
	s_waitcnt lgkmcnt(0)
	v_lshl_add_u64 v[14:15], v[4:5], 2, s[0:1]
	global_load_dwordx4 v[10:13], v[14:15], off
	s_waitcnt vmcnt(0)
	v_mad_u64_u32 v[16:17], s[2:3], v11, s20, v[8:9]
	v_mad_u64_u32 v[10:11], s[2:3], v10, s20, v[0:1]
	v_mad_u64_u32 v[18:19], s[2:3], v13, s20, v[6:7]
	v_mad_u64_u32 v[12:13], s[2:3], v12, s20, v[2:3]
	v_mov_b32_e32 v11, v16
	v_mov_b32_e32 v13, v18
	global_store_dwordx4 v[14:15], v[10:13], off
	s_cbranch_execnz .LBB67_14
	s_branch .LBB67_45
.LBB67_44:
.LBB67_45:
	v_ashrrev_i32_e32 v5, 31, v4
	v_mov_b32_e32 v1, v8
	v_mov_b32_e32 v3, v6
	s_waitcnt lgkmcnt(0)
	v_lshl_add_u64 v[4:5], v[4:5], 2, s[0:1]
	global_store_dwordx4 v[4:5], v[0:3], off
	s_endpgm
	.section	.rodata,"a",@progbits
	.p2align	6, 0x0
	.amdhsa_kernel _ZN9rocsparseL18bsrxmvn_4x4_kernelILj128ELj16EiliaaiEEvT3_20rocsparse_direction_NS_24const_host_device_scalarIT1_EES1_PKS1_PKT2_SA_S7_PKT4_PKT5_S5_PT6_21rocsparse_index_base_b
		.amdhsa_group_segment_fixed_size 0
		.amdhsa_private_segment_fixed_size 0
		.amdhsa_kernarg_size 96
		.amdhsa_user_sgpr_count 2
		.amdhsa_user_sgpr_dispatch_ptr 0
		.amdhsa_user_sgpr_queue_ptr 0
		.amdhsa_user_sgpr_kernarg_segment_ptr 1
		.amdhsa_user_sgpr_dispatch_id 0
		.amdhsa_user_sgpr_kernarg_preload_length 0
		.amdhsa_user_sgpr_kernarg_preload_offset 0
		.amdhsa_user_sgpr_private_segment_size 0
		.amdhsa_uses_dynamic_stack 0
		.amdhsa_enable_private_segment 0
		.amdhsa_system_sgpr_workgroup_id_x 1
		.amdhsa_system_sgpr_workgroup_id_y 0
		.amdhsa_system_sgpr_workgroup_id_z 0
		.amdhsa_system_sgpr_workgroup_info 0
		.amdhsa_system_vgpr_workitem_id 0
		.amdhsa_next_free_vgpr 55
		.amdhsa_next_free_sgpr 39
		.amdhsa_accum_offset 56
		.amdhsa_reserve_vcc 1
		.amdhsa_float_round_mode_32 0
		.amdhsa_float_round_mode_16_64 0
		.amdhsa_float_denorm_mode_32 3
		.amdhsa_float_denorm_mode_16_64 3
		.amdhsa_dx10_clamp 1
		.amdhsa_ieee_mode 1
		.amdhsa_fp16_overflow 0
		.amdhsa_tg_split 0
		.amdhsa_exception_fp_ieee_invalid_op 0
		.amdhsa_exception_fp_denorm_src 0
		.amdhsa_exception_fp_ieee_div_zero 0
		.amdhsa_exception_fp_ieee_overflow 0
		.amdhsa_exception_fp_ieee_underflow 0
		.amdhsa_exception_fp_ieee_inexact 0
		.amdhsa_exception_int_div_zero 0
	.end_amdhsa_kernel
	.section	.text._ZN9rocsparseL18bsrxmvn_4x4_kernelILj128ELj16EiliaaiEEvT3_20rocsparse_direction_NS_24const_host_device_scalarIT1_EES1_PKS1_PKT2_SA_S7_PKT4_PKT5_S5_PT6_21rocsparse_index_base_b,"axG",@progbits,_ZN9rocsparseL18bsrxmvn_4x4_kernelILj128ELj16EiliaaiEEvT3_20rocsparse_direction_NS_24const_host_device_scalarIT1_EES1_PKS1_PKT2_SA_S7_PKT4_PKT5_S5_PT6_21rocsparse_index_base_b,comdat
.Lfunc_end67:
	.size	_ZN9rocsparseL18bsrxmvn_4x4_kernelILj128ELj16EiliaaiEEvT3_20rocsparse_direction_NS_24const_host_device_scalarIT1_EES1_PKS1_PKT2_SA_S7_PKT4_PKT5_S5_PT6_21rocsparse_index_base_b, .Lfunc_end67-_ZN9rocsparseL18bsrxmvn_4x4_kernelILj128ELj16EiliaaiEEvT3_20rocsparse_direction_NS_24const_host_device_scalarIT1_EES1_PKS1_PKT2_SA_S7_PKT4_PKT5_S5_PT6_21rocsparse_index_base_b
                                        ; -- End function
	.set _ZN9rocsparseL18bsrxmvn_4x4_kernelILj128ELj16EiliaaiEEvT3_20rocsparse_direction_NS_24const_host_device_scalarIT1_EES1_PKS1_PKT2_SA_S7_PKT4_PKT5_S5_PT6_21rocsparse_index_base_b.num_vgpr, 55
	.set _ZN9rocsparseL18bsrxmvn_4x4_kernelILj128ELj16EiliaaiEEvT3_20rocsparse_direction_NS_24const_host_device_scalarIT1_EES1_PKS1_PKT2_SA_S7_PKT4_PKT5_S5_PT6_21rocsparse_index_base_b.num_agpr, 0
	.set _ZN9rocsparseL18bsrxmvn_4x4_kernelILj128ELj16EiliaaiEEvT3_20rocsparse_direction_NS_24const_host_device_scalarIT1_EES1_PKS1_PKT2_SA_S7_PKT4_PKT5_S5_PT6_21rocsparse_index_base_b.numbered_sgpr, 39
	.set _ZN9rocsparseL18bsrxmvn_4x4_kernelILj128ELj16EiliaaiEEvT3_20rocsparse_direction_NS_24const_host_device_scalarIT1_EES1_PKS1_PKT2_SA_S7_PKT4_PKT5_S5_PT6_21rocsparse_index_base_b.num_named_barrier, 0
	.set _ZN9rocsparseL18bsrxmvn_4x4_kernelILj128ELj16EiliaaiEEvT3_20rocsparse_direction_NS_24const_host_device_scalarIT1_EES1_PKS1_PKT2_SA_S7_PKT4_PKT5_S5_PT6_21rocsparse_index_base_b.private_seg_size, 0
	.set _ZN9rocsparseL18bsrxmvn_4x4_kernelILj128ELj16EiliaaiEEvT3_20rocsparse_direction_NS_24const_host_device_scalarIT1_EES1_PKS1_PKT2_SA_S7_PKT4_PKT5_S5_PT6_21rocsparse_index_base_b.uses_vcc, 1
	.set _ZN9rocsparseL18bsrxmvn_4x4_kernelILj128ELj16EiliaaiEEvT3_20rocsparse_direction_NS_24const_host_device_scalarIT1_EES1_PKS1_PKT2_SA_S7_PKT4_PKT5_S5_PT6_21rocsparse_index_base_b.uses_flat_scratch, 0
	.set _ZN9rocsparseL18bsrxmvn_4x4_kernelILj128ELj16EiliaaiEEvT3_20rocsparse_direction_NS_24const_host_device_scalarIT1_EES1_PKS1_PKT2_SA_S7_PKT4_PKT5_S5_PT6_21rocsparse_index_base_b.has_dyn_sized_stack, 0
	.set _ZN9rocsparseL18bsrxmvn_4x4_kernelILj128ELj16EiliaaiEEvT3_20rocsparse_direction_NS_24const_host_device_scalarIT1_EES1_PKS1_PKT2_SA_S7_PKT4_PKT5_S5_PT6_21rocsparse_index_base_b.has_recursion, 0
	.set _ZN9rocsparseL18bsrxmvn_4x4_kernelILj128ELj16EiliaaiEEvT3_20rocsparse_direction_NS_24const_host_device_scalarIT1_EES1_PKS1_PKT2_SA_S7_PKT4_PKT5_S5_PT6_21rocsparse_index_base_b.has_indirect_call, 0
	.section	.AMDGPU.csdata,"",@progbits
; Kernel info:
; codeLenInByte = 3408
; TotalNumSgprs: 45
; NumVgprs: 55
; NumAgprs: 0
; TotalNumVgprs: 55
; ScratchSize: 0
; MemoryBound: 0
; FloatMode: 240
; IeeeMode: 1
; LDSByteSize: 0 bytes/workgroup (compile time only)
; SGPRBlocks: 5
; VGPRBlocks: 6
; NumSGPRsForWavesPerEU: 45
; NumVGPRsForWavesPerEU: 55
; AccumOffset: 56
; Occupancy: 8
; WaveLimiterHint : 1
; COMPUTE_PGM_RSRC2:SCRATCH_EN: 0
; COMPUTE_PGM_RSRC2:USER_SGPR: 2
; COMPUTE_PGM_RSRC2:TRAP_HANDLER: 0
; COMPUTE_PGM_RSRC2:TGID_X_EN: 1
; COMPUTE_PGM_RSRC2:TGID_Y_EN: 0
; COMPUTE_PGM_RSRC2:TGID_Z_EN: 0
; COMPUTE_PGM_RSRC2:TIDIG_COMP_CNT: 0
; COMPUTE_PGM_RSRC3_GFX90A:ACCUM_OFFSET: 13
; COMPUTE_PGM_RSRC3_GFX90A:TG_SPLIT: 0
	.section	.text._ZN9rocsparseL18bsrxmvn_4x4_kernelILj128ELj32EiliaaiEEvT3_20rocsparse_direction_NS_24const_host_device_scalarIT1_EES1_PKS1_PKT2_SA_S7_PKT4_PKT5_S5_PT6_21rocsparse_index_base_b,"axG",@progbits,_ZN9rocsparseL18bsrxmvn_4x4_kernelILj128ELj32EiliaaiEEvT3_20rocsparse_direction_NS_24const_host_device_scalarIT1_EES1_PKS1_PKT2_SA_S7_PKT4_PKT5_S5_PT6_21rocsparse_index_base_b,comdat
	.globl	_ZN9rocsparseL18bsrxmvn_4x4_kernelILj128ELj32EiliaaiEEvT3_20rocsparse_direction_NS_24const_host_device_scalarIT1_EES1_PKS1_PKT2_SA_S7_PKT4_PKT5_S5_PT6_21rocsparse_index_base_b ; -- Begin function _ZN9rocsparseL18bsrxmvn_4x4_kernelILj128ELj32EiliaaiEEvT3_20rocsparse_direction_NS_24const_host_device_scalarIT1_EES1_PKS1_PKT2_SA_S7_PKT4_PKT5_S5_PT6_21rocsparse_index_base_b
	.p2align	8
	.type	_ZN9rocsparseL18bsrxmvn_4x4_kernelILj128ELj32EiliaaiEEvT3_20rocsparse_direction_NS_24const_host_device_scalarIT1_EES1_PKS1_PKT2_SA_S7_PKT4_PKT5_S5_PT6_21rocsparse_index_base_b,@function
_ZN9rocsparseL18bsrxmvn_4x4_kernelILj128ELj32EiliaaiEEvT3_20rocsparse_direction_NS_24const_host_device_scalarIT1_EES1_PKS1_PKT2_SA_S7_PKT4_PKT5_S5_PT6_21rocsparse_index_base_b: ; @_ZN9rocsparseL18bsrxmvn_4x4_kernelILj128ELj32EiliaaiEEvT3_20rocsparse_direction_NS_24const_host_device_scalarIT1_EES1_PKS1_PKT2_SA_S7_PKT4_PKT5_S5_PT6_21rocsparse_index_base_b
; %bb.0:
	s_load_dwordx2 s[12:13], s[0:1], 0x58
	s_load_dwordx2 s[8:9], s[0:1], 0x8
	s_mov_b64 s[10:11], -1
	s_waitcnt lgkmcnt(0)
	s_bitcmp1_b32 s13, 0
	s_cselect_b64 s[4:5], -1, 0
	s_xor_b64 s[6:7], s[4:5], -1
	s_and_b64 vcc, exec, s[6:7]
                                        ; implicit-def: $sgpr13
	s_cbranch_vccnz .LBB68_4
; %bb.1:
	s_load_dwordx2 s[4:5], s[0:1], 0x48
	s_andn2_b64 vcc, exec, s[10:11]
	s_cbranch_vccz .LBB68_5
.LBB68_2:
	s_and_b64 vcc, exec, s[6:7]
	s_cbranch_vccz .LBB68_6
.LBB68_3:
	s_waitcnt lgkmcnt(0)
	s_load_dword s22, s[4:5], 0x0
	s_cbranch_execz .LBB68_7
	s_branch .LBB68_8
.LBB68_4:
	s_load_dword s13, s[8:9], 0x0
	s_load_dwordx2 s[4:5], s[0:1], 0x48
	s_cbranch_execnz .LBB68_2
.LBB68_5:
	s_waitcnt lgkmcnt(0)
	s_mov_b32 s13, s8
	s_and_b64 vcc, exec, s[6:7]
	s_cbranch_vccnz .LBB68_3
.LBB68_6:
                                        ; implicit-def: $sgpr22
.LBB68_7:
	s_waitcnt lgkmcnt(0)
	s_mov_b32 s22, s4
.LBB68_8:
	s_waitcnt lgkmcnt(0)
	s_cmp_lg_u32 s13, 0
	s_cselect_b64 s[4:5], -1, 0
	s_cmp_lg_u32 s22, 1
	s_cselect_b64 s[6:7], -1, 0
	s_or_b64 s[4:5], s[4:5], s[6:7]
	s_andn2_b64 vcc, exec, s[4:5]
	s_cbranch_vccnz .LBB68_14
; %bb.9:
	s_load_dwordx2 s[4:5], s[0:1], 0x18
	s_load_dwordx2 s[14:15], s[0:1], 0x0
	v_lshrrev_b32_e32 v1, 5, v0
	v_lshl_or_b32 v2, s2, 2, v1
	s_mov_b64 s[2:3], 0
	s_waitcnt lgkmcnt(0)
	s_cmp_lg_u64 s[4:5], 0
	s_cbranch_scc0 .LBB68_15
; %bb.10:
	s_load_dword s6, s[0:1], 0x10
                                        ; implicit-def: $vgpr1
	s_waitcnt lgkmcnt(0)
	v_cmp_gt_i32_e32 vcc, s6, v2
	s_and_saveexec_b64 s[6:7], vcc
	s_xor_b64 s[6:7], exec, s[6:7]
	s_cbranch_execz .LBB68_12
; %bb.11:
	v_ashrrev_i32_e32 v3, 31, v2
	v_lshl_add_u64 v[4:5], v[2:3], 2, s[4:5]
	global_load_dword v1, v[4:5], off
	s_mov_b64 s[2:3], exec
	s_waitcnt vmcnt(0)
	v_subrev_u32_e32 v1, s12, v1
.LBB68_12:
	s_or_b64 exec, exec, s[6:7]
	s_branch .LBB68_16
.LBB68_13:
	v_cmp_gt_i32_e32 vcc, s14, v2
	s_andn2_b64 s[2:3], s[2:3], exec
	s_and_b64 s[4:5], vcc, exec
	s_or_b64 s[2:3], s[2:3], s[4:5]
	s_and_saveexec_b64 s[4:5], s[2:3]
	s_cbranch_execnz .LBB68_17
.LBB68_14:
	s_endpgm
.LBB68_15:
                                        ; implicit-def: $vgpr1
	s_cbranch_execnz .LBB68_13
.LBB68_16:
	v_mov_b32_e32 v2, v1
	s_and_saveexec_b64 s[4:5], s[2:3]
	s_cbranch_execz .LBB68_14
.LBB68_17:
	s_load_dwordx8 s[4:11], s[0:1], 0x20
	v_ashrrev_i32_e32 v3, 31, v2
	v_lshlrev_b64 v[4:5], 3, v[2:3]
	v_and_b32_e32 v0, 31, v0
	v_mov_b32_e32 v1, 0
	s_waitcnt lgkmcnt(0)
	v_lshl_add_u64 v[6:7], s[4:5], 0, v[4:5]
	s_cmp_eq_u64 s[6:7], 0
	v_lshl_add_u64 v[4:5], s[6:7], 0, v[4:5]
	global_load_dwordx2 v[8:9], v[6:7], off
	v_lshl_add_u64 v[6:7], v[6:7], 0, 8
	s_cselect_b64 vcc, -1, 0
	v_cndmask_b32_e32 v5, v5, v7, vcc
	v_cndmask_b32_e32 v4, v4, v6, vcc
	global_load_dwordx2 v[4:5], v[4:5], off
	s_load_dwordx2 s[4:5], s[0:1], 0x40
	s_cmp_eq_u32 s15, 1
	s_waitcnt vmcnt(1)
	v_subrev_co_u32_e32 v6, vcc, s12, v8
	s_nop 1
	v_subbrev_co_u32_e32 v7, vcc, 0, v9, vcc
	v_lshl_add_u64 v[6:7], v[6:7], 0, v[0:1]
	s_waitcnt vmcnt(0)
	v_subrev_co_u32_e32 v10, vcc, s12, v4
	s_nop 1
	v_subbrev_co_u32_e32 v11, vcc, 0, v5, vcc
	v_lshl_add_u64 v[4:5], v[6:7], 4, s[10:11]
	v_cmp_lt_i64_e64 s[2:3], v[6:7], v[10:11]
	s_cbranch_scc1 .LBB68_29
; %bb.18:
	v_mov_b32_e32 v23, v1
	v_mov_b32_e32 v22, v1
	;; [unrolled: 1-line block ×3, first 2 shown]
	s_and_saveexec_b64 s[6:7], s[2:3]
	s_cbranch_execz .LBB68_28
; %bb.19:
	v_or_b32_e32 v1, 32, v0
	v_subrev_co_u32_e32 v12, vcc, s12, v1
	v_not_b32_e32 v15, v9
	s_nop 0
	v_subb_co_u32_e64 v13, s[10:11], 0, 0, vcc
	v_lshl_add_u64 v[12:13], v[12:13], 0, v[8:9]
	v_cmp_gt_i64_e32 vcc, v[12:13], v[10:11]
	v_not_b32_e32 v14, v8
	v_mov_b32_e32 v3, 0
	v_cndmask_b32_e32 v13, v11, v13, vcc
	v_cndmask_b32_e32 v12, v10, v12, vcc
	v_sub_co_u32_e32 v16, vcc, s12, v0
	v_mov_b32_e32 v22, 0
	s_nop 0
	v_subb_co_u32_e64 v17, s[10:11], 0, 0, vcc
	v_lshl_add_u64 v[14:15], v[16:17], 0, v[14:15]
	v_lshl_add_u64 v[12:13], v[14:15], 0, v[12:13]
	v_lshrrev_b64 v[14:15], 5, v[12:13]
	s_mov_b64 s[10:11], 0x5f
	v_lshl_add_u64 v[14:15], v[14:15], 0, 1
	v_cmp_lt_u64_e32 vcc, s[10:11], v[12:13]
	v_mov_b32_e32 v23, 0
	v_mov_b32_e32 v1, 0
	v_mov_b64_e32 v[16:17], v[6:7]
	v_mov_b64_e32 v[12:13], v[4:5]
	s_and_saveexec_b64 s[10:11], vcc
	s_cbranch_execz .LBB68_23
; %bb.20:
	v_lshl_add_u64 v[12:13], v[6:7], 2, s[8:9]
	s_mov_b64 s[14:15], 0x100
	v_mov_b32_e32 v1, 0
	v_and_b32_e32 v18, -4, v14
	v_mov_b32_e32 v19, v15
	v_lshl_add_u64 v[20:21], v[12:13], 0, s[14:15]
	s_mov_b64 s[14:15], 0
	s_mov_b32 s23, 0x7060100
	s_mov_b32 s24, 0xc0c0100
	;; [unrolled: 1-line block ×9, first 2 shown]
	s_mov_b64 s[16:17], 0x800
	s_mov_b64 s[18:19], 0x80
	;; [unrolled: 1-line block ×3, first 2 shown]
	v_mov_b64_e32 v[12:13], v[4:5]
	v_mov_b64_e32 v[16:17], v[6:7]
	v_mov_b32_e32 v23, v1
	v_mov_b32_e32 v22, v1
	;; [unrolled: 1-line block ×3, first 2 shown]
.LBB68_21:                              ; =>This Inner Loop Header: Depth=1
	global_load_dword v15, v[20:21], off offset:-256
	global_load_dword v40, v[20:21], off offset:-128
	global_load_dword v41, v[20:21], off
	global_load_dword v42, v[20:21], off offset:128
	global_load_dwordx4 v[24:27], v[12:13], off
	global_load_dwordx4 v[28:31], v[12:13], off offset:512
	global_load_dwordx4 v[32:35], v[12:13], off offset:1024
	;; [unrolled: 1-line block ×3, first 2 shown]
	v_lshl_add_u64 v[18:19], v[18:19], 0, -4
	v_cmp_eq_u64_e32 vcc, 0, v[18:19]
	v_lshl_add_u64 v[12:13], v[12:13], 0, s[16:17]
	v_lshl_add_u64 v[16:17], v[16:17], 0, s[18:19]
	;; [unrolled: 1-line block ×3, first 2 shown]
	s_or_b64 s[14:15], vcc, s[14:15]
	s_waitcnt vmcnt(7)
	v_subrev_u32_e32 v15, s12, v15
	s_waitcnt vmcnt(6)
	v_subrev_u32_e32 v43, s12, v40
	;; [unrolled: 2-line block ×4, first 2 shown]
	v_lshlrev_b32_e32 v40, 2, v15
	v_lshlrev_b32_e32 v42, 2, v43
	;; [unrolled: 1-line block ×4, first 2 shown]
	v_ashrrev_i32_e32 v41, 31, v40
	v_ashrrev_i32_e32 v43, 31, v42
	;; [unrolled: 1-line block ×4, first 2 shown]
	s_waitcnt lgkmcnt(0)
	v_lshl_add_u64 v[40:41], s[4:5], 0, v[40:41]
	v_lshl_add_u64 v[42:43], s[4:5], 0, v[42:43]
	;; [unrolled: 1-line block ×4, first 2 shown]
	global_load_dword v15, v[40:41], off
	global_load_dword v48, v[42:43], off
	;; [unrolled: 1-line block ×4, first 2 shown]
	s_waitcnt vmcnt(7)
	v_perm_b32 v24, v24, v24, s23
	v_perm_b32 v40, v25, v25, s24
	;; [unrolled: 1-line block ×3, first 2 shown]
	s_waitcnt vmcnt(6)
	v_lshrrev_b16_e32 v42, 8, v31
	v_bfe_i32 v43, v28, 0, 8
	s_waitcnt vmcnt(5)
	v_perm_b32 v44, v35, v27, s27
	v_perm_b32 v45, v35, v27, s28
	;; [unrolled: 1-line block ×9, first 2 shown]
	s_waitcnt vmcnt(4)
	v_perm_b32 v35, v36, v32, s26
	v_perm_b32 v47, v39, v39, s31
	;; [unrolled: 1-line block ×5, first 2 shown]
	s_waitcnt vmcnt(3)
	v_dot4c_i32_i8_e32 v3, v15, v24
	v_perm_b32 v24, v15, v15, s24
	s_waitcnt vmcnt(2)
	v_lshrrev_b16_e32 v53, 8, v48
	v_bfe_i32 v54, v48, 0, 8
	v_mul_i32_i24_sdwa v57, sext(v31), sext(v48) dst_sel:DWORD dst_unused:UNUSED_PAD src0_sel:BYTE_2 src1_sel:BYTE_2
	v_mul_i32_i24_sdwa v58, sext(v31), sext(v48) dst_sel:DWORD dst_unused:UNUSED_PAD src0_sel:BYTE_3 src1_sel:BYTE_3
	v_mul_i32_i24_sdwa v31, sext(v31), v54 dst_sel:DWORD dst_unused:UNUSED_PAD src0_sel:BYTE_0 src1_sel:DWORD
	v_perm_b32 v59, v48, v15, s26
	v_dot4c_i32_i8_e32 v22, v24, v40
	s_waitcnt vmcnt(1)
	v_perm_b32 v40, v49, v15, s27
	v_dot4c_i32_i8_e32 v23, v24, v41
	v_perm_b32 v24, v49, v15, s28
	v_perm_b32 v41, v49, v15, s29
	;; [unrolled: 1-line block ×3, first 2 shown]
	v_mul_i32_i24_sdwa v42, sext(v42), sext(v53) dst_sel:DWORD dst_unused:UNUSED_PAD src0_sel:BYTE_0 src1_sel:BYTE_0
	v_perm_b32 v56, v48, v48, s25
	v_lshrrev_b16_e32 v60, 8, v49
	v_mad_i32_i24 v3, v54, v43, v3
	v_dot4c_i32_i8_e32 v58, v44, v40
	v_dot4c_i32_i8_e32 v57, v46, v41
	;; [unrolled: 1-line block ×4, first 2 shown]
	s_waitcnt vmcnt(0)
	v_mul_i32_i24_sdwa v55, sext(v39), sext(v50) dst_sel:DWORD dst_unused:UNUSED_PAD src0_sel:BYTE_0 src1_sel:BYTE_0
	v_mul_i32_i24_sdwa v61, sext(v49), sext(v32) dst_sel:DWORD dst_unused:UNUSED_PAD src0_sel:BYTE_0 src1_sel:BYTE_0
	v_perm_b32 v48, v49, v48, s26
	v_mul_i32_i24_sdwa v32, sext(v60), sext(v32) dst_sel:DWORD dst_unused:UNUSED_PAD src0_sel:BYTE_0 src1_sel:BYTE_1
	v_dot4c_i32_i8_e32 v3, v56, v28
	v_dot4c_i32_i8_e32 v22, v59, v25
	;; [unrolled: 1-line block ×3, first 2 shown]
	v_add_u32_e32 v15, v31, v57
	v_add_u32_e32 v24, v42, v58
	v_mul_i32_i24_sdwa v39, sext(v39), sext(v50) dst_sel:DWORD dst_unused:UNUSED_PAD src0_sel:BYTE_1 src1_sel:BYTE_1
	v_perm_b32 v38, v38, v49, s26
	v_perm_b32 v37, v37, v49, s26
	;; [unrolled: 1-line block ×5, first 2 shown]
	v_add3_u32 v3, v3, v61, v32
	v_dot4c_i32_i8_e32 v22, v48, v29
	v_dot4c_i32_i8_e32 v23, v48, v30
	v_add3_u32 v15, v15, v24, v55
	v_perm_b32 v49, v50, v50, s31
	v_dot4c_i32_i8_e32 v23, v38, v34
	v_dot4c_i32_i8_e32 v22, v37, v33
	;; [unrolled: 1-line block ×3, first 2 shown]
	v_add3_u32 v1, v15, v1, v39
	v_dot4c_i32_i8_e32 v3, v49, v36
	v_dot4c_i32_i8_e32 v22, v49, v51
	;; [unrolled: 1-line block ×4, first 2 shown]
	s_andn2_b64 exec, exec, s[14:15]
	s_cbranch_execnz .LBB68_21
; %bb.22:
	s_or_b64 exec, exec, s[14:15]
.LBB68_23:
	s_or_b64 exec, exec, s[10:11]
	v_and_b32_e32 v14, 3, v14
	v_mov_b32_e32 v15, 0
	s_mov_b64 s[14:15], 0
	v_cmp_ne_u64_e32 vcc, 0, v[14:15]
	s_and_saveexec_b64 s[10:11], vcc
	s_cbranch_execz .LBB68_27
; %bb.24:
	v_lshl_add_u64 v[16:17], v[16:17], 2, s[8:9]
	v_lshlrev_b32_e32 v14, 2, v14
	s_mov_b32 s20, 0xc030201
	s_mov_b64 s[16:17], 0x80
	s_mov_b64 s[18:19], 0x200
.LBB68_25:                              ; =>This Inner Loop Header: Depth=1
	global_load_dword v24, v[16:17], off
	global_load_dwordx4 v[18:21], v[12:13], off
	v_lshl_add_u64 v[14:15], v[14:15], 0, -4
	v_cmp_eq_u64_e32 vcc, 0, v[14:15]
	v_lshl_add_u64 v[16:17], v[16:17], 0, s[16:17]
	v_lshl_add_u64 v[12:13], v[12:13], 0, s[18:19]
	s_or_b64 s[14:15], vcc, s[14:15]
	s_waitcnt vmcnt(1)
	v_subrev_u32_e32 v24, s12, v24
	v_lshlrev_b32_e32 v24, 2, v24
	v_ashrrev_i32_e32 v25, 31, v24
	s_waitcnt lgkmcnt(0)
	v_lshl_add_u64 v[24:25], s[4:5], 0, v[24:25]
	global_load_dword v24, v[24:25], off
	s_waitcnt vmcnt(1)
	v_bfe_i32 v25, v18, 0, 8
	v_bfe_i32 v26, v19, 0, 8
	;; [unrolled: 1-line block ×4, first 2 shown]
	v_perm_b32 v18, v18, v18, s20
	v_perm_b32 v19, v19, v19, s20
	;; [unrolled: 1-line block ×4, first 2 shown]
	s_waitcnt vmcnt(0)
	v_bfe_i32 v29, v24, 0, 8
	v_perm_b32 v24, v24, v24, s20
	v_mad_i32_i24 v1, v28, v29, v1
	v_mad_i32_i24 v23, v27, v29, v23
	;; [unrolled: 1-line block ×4, first 2 shown]
	v_dot4c_i32_i8_e32 v3, v24, v18
	v_dot4c_i32_i8_e32 v22, v24, v19
	;; [unrolled: 1-line block ×4, first 2 shown]
	s_andn2_b64 exec, exec, s[14:15]
	s_cbranch_execnz .LBB68_25
; %bb.26:
	s_or_b64 exec, exec, s[14:15]
.LBB68_27:
	s_or_b64 exec, exec, s[10:11]
.LBB68_28:
	s_or_b64 exec, exec, s[6:7]
	s_cbranch_execz .LBB68_30
	s_branch .LBB68_41
.LBB68_29:
                                        ; implicit-def: $vgpr23
                                        ; implicit-def: $vgpr22
                                        ; implicit-def: $vgpr3
.LBB68_30:
	v_mov_b32_e32 v1, 0
	v_mov_b32_e32 v23, 0
	;; [unrolled: 1-line block ×4, first 2 shown]
	s_and_saveexec_b64 s[6:7], s[2:3]
	s_cbranch_execz .LBB68_40
; %bb.31:
	v_or_b32_e32 v1, 32, v0
	v_subrev_co_u32_e32 v12, vcc, s12, v1
	v_mov_b32_e32 v3, 0
	s_nop 0
	v_subb_co_u32_e64 v13, s[2:3], 0, 0, vcc
	v_lshl_add_u64 v[12:13], v[12:13], 0, v[8:9]
	v_cmp_gt_i64_e32 vcc, v[12:13], v[10:11]
	v_not_b32_e32 v9, v9
	v_not_b32_e32 v8, v8
	v_cndmask_b32_e32 v11, v11, v13, vcc
	v_cndmask_b32_e32 v10, v10, v12, vcc
	v_sub_co_u32_e32 v12, vcc, s12, v0
	v_mov_b32_e32 v22, 0
	s_nop 0
	v_subb_co_u32_e64 v13, s[2:3], 0, 0, vcc
	v_lshl_add_u64 v[8:9], v[12:13], 0, v[8:9]
	v_lshl_add_u64 v[10:11], v[8:9], 0, v[10:11]
	v_lshrrev_b64 v[8:9], 5, v[10:11]
	s_mov_b64 s[2:3], 0x5f
	v_lshl_add_u64 v[8:9], v[8:9], 0, 1
	v_cmp_lt_u64_e32 vcc, s[2:3], v[10:11]
	v_mov_b32_e32 v23, 0
	v_mov_b32_e32 v1, 0
	s_and_saveexec_b64 s[2:3], vcc
	s_cbranch_execz .LBB68_35
; %bb.32:
	v_lshl_add_u64 v[12:13], v[6:7], 2, s[8:9]
	s_mov_b64 s[10:11], 0x100
	v_and_b32_e32 v10, -4, v8
	v_mov_b32_e32 v11, v9
	v_lshl_add_u64 v[12:13], v[12:13], 0, s[10:11]
	v_mov_b32_e32 v3, 0
	s_mov_b64 s[10:11], 0
	s_mov_b32 s20, 0xc0c0501
	s_mov_b32 s21, 0xc0c0100
	;; [unrolled: 1-line block ×13, first 2 shown]
	s_mov_b64 s[14:15], 0x800
	s_mov_b64 s[16:17], 0x80
	;; [unrolled: 1-line block ×3, first 2 shown]
	v_mov_b32_e32 v22, 0
	v_mov_b32_e32 v23, 0
	;; [unrolled: 1-line block ×3, first 2 shown]
.LBB68_33:                              ; =>This Inner Loop Header: Depth=1
	global_load_dword v9, v[12:13], off offset:-256
	global_load_dword v32, v[12:13], off offset:-128
	global_load_dword v33, v[12:13], off
	global_load_dword v34, v[12:13], off offset:128
	global_load_dwordx4 v[14:17], v[4:5], off
	global_load_dwordx4 v[18:21], v[4:5], off offset:512
	global_load_dwordx4 v[24:27], v[4:5], off offset:1024
	;; [unrolled: 1-line block ×3, first 2 shown]
	v_lshl_add_u64 v[10:11], v[10:11], 0, -4
	v_cmp_eq_u64_e32 vcc, 0, v[10:11]
	v_lshl_add_u64 v[4:5], v[4:5], 0, s[14:15]
	v_lshl_add_u64 v[6:7], v[6:7], 0, s[16:17]
	;; [unrolled: 1-line block ×3, first 2 shown]
	s_or_b64 s[10:11], vcc, s[10:11]
	s_waitcnt vmcnt(7)
	v_subrev_u32_e32 v9, s12, v9
	s_waitcnt vmcnt(5)
	v_subrev_u32_e32 v33, s12, v33
	;; [unrolled: 2-line block ×3, first 2 shown]
	s_waitcnt vmcnt(3)
	v_perm_b32 v39, v15, v14, s20
	v_perm_b32 v40, v15, v14, s23
	;; [unrolled: 1-line block ×4, first 2 shown]
	v_subrev_u32_e32 v15, s12, v32
	v_lshlrev_b32_e32 v14, 2, v9
	v_lshlrev_b32_e32 v32, 2, v15
	v_lshlrev_b32_e32 v34, 2, v33
	v_lshlrev_b32_e32 v36, 2, v35
	v_ashrrev_i32_e32 v15, 31, v14
	v_ashrrev_i32_e32 v33, 31, v32
	;; [unrolled: 1-line block ×4, first 2 shown]
	s_waitcnt lgkmcnt(0)
	v_lshl_add_u64 v[14:15], s[4:5], 0, v[14:15]
	v_lshl_add_u64 v[32:33], s[4:5], 0, v[32:33]
	;; [unrolled: 1-line block ×4, first 2 shown]
	global_load_dword v9, v[14:15], off
	global_load_dword v44, v[36:37], off
	;; [unrolled: 1-line block ×4, first 2 shown]
	s_waitcnt vmcnt(6)
	v_perm_b32 v14, v18, v17, s24
	v_perm_b32 v15, v18, v17, s25
	;; [unrolled: 1-line block ×5, first 2 shown]
	s_waitcnt vmcnt(5)
	v_perm_b32 v33, v24, v21, s29
	v_perm_b32 v34, v20, v19, s20
	;; [unrolled: 1-line block ×7, first 2 shown]
	s_waitcnt vmcnt(4)
	v_lshrrev_b32_e32 v21, 16, v29
	v_perm_b32 v24, v26, v25, s24
	v_perm_b32 v48, v26, v25, s25
	;; [unrolled: 1-line block ×5, first 2 shown]
	v_lshrrev_b32_e32 v38, 16, v16
	v_or_b32_e32 v25, v26, v25
	v_ashrrev_i16_e32 v26, 8, v21
	v_bfe_i32 v21, v21, 0, 8
	v_ashrrev_i16_e32 v43, 8, v16
	v_bfe_i32 v16, v16, 0, 8
	v_perm_b32 v47, v28, v27, s33
	v_perm_b32 v49, v28, v27, s31
	;; [unrolled: 1-line block ×3, first 2 shown]
	v_ashrrev_i16_e32 v27, 8, v29
	v_bfe_i32 v28, v29, 0, 8
	v_perm_b32 v29, v31, v30, s24
	v_perm_b32 v52, v31, v30, s25
	;; [unrolled: 1-line block ×4, first 2 shown]
	v_ashrrev_i16_e32 v31, 8, v38
	v_bfe_i32 v38, v38, 0, 8
	v_perm_b32 v21, v26, v21, s26
	v_perm_b32 v16, v43, v16, s26
	;; [unrolled: 1-line block ×4, first 2 shown]
	v_or_b32_e32 v18, v33, v18
	v_or_b32_e32 v33, v35, v34
	;; [unrolled: 1-line block ×7, first 2 shown]
	s_waitcnt vmcnt(3)
	v_lshrrev_b32_e32 v26, 16, v9
	v_perm_b32 v31, v9, v9, s21
	v_bfe_i32 v26, v26, 0, 8
	v_dot4c_i32_i8_e32 v22, v31, v39
	v_dot4c_i32_i8_e32 v3, v31, v40
	;; [unrolled: 1-line block ×4, first 2 shown]
	v_pk_mul_lo_u16 v28, v26, v28 op_sel_hi:[0,1]
	v_pk_mul_lo_u16 v16, v26, v16 op_sel_hi:[0,1]
	s_waitcnt vmcnt(1)
	v_perm_b32 v9, v45, v9, s27
	v_add_u32_sdwa v23, v23, sext(v28) dst_sel:DWORD dst_unused:UNUSED_PAD src0_sel:DWORD src1_sel:WORD_0
	v_add_u32_sdwa v1, v1, sext(v28) dst_sel:DWORD dst_unused:UNUSED_PAD src0_sel:DWORD src1_sel:WORD_1
	v_add_u32_sdwa v3, v3, sext(v16) dst_sel:DWORD dst_unused:UNUSED_PAD src0_sel:DWORD src1_sel:WORD_0
	v_add_u32_sdwa v16, v22, sext(v16) dst_sel:DWORD dst_unused:UNUSED_PAD src0_sel:DWORD src1_sel:WORD_1
	v_lshrrev_b32_e32 v36, 8, v44
	s_waitcnt vmcnt(0)
	v_perm_b32 v37, v46, v45, s28
	v_dot4c_i32_i8_e32 v1, v9, v14
	v_dot4c_i32_i8_e32 v23, v9, v15
	;; [unrolled: 1-line block ×4, first 2 shown]
	v_perm_b32 v38, v44, v46, s28
	v_bfe_i32 v31, v36, 0, 8
	v_dot4c_i32_i8_e32 v3, v37, v18
	v_dot4c_i32_i8_e32 v16, v37, v33
	;; [unrolled: 1-line block ×4, first 2 shown]
	v_pk_mul_lo_u16 v21, v31, v21 op_sel_hi:[0,1]
	v_pk_mul_lo_u16 v26, v31, v27 op_sel_hi:[0,1]
	v_dot4c_i32_i8_e32 v1, v38, v20
	v_dot4c_i32_i8_e32 v23, v38, v24
	;; [unrolled: 1-line block ×4, first 2 shown]
	v_perm_b32 v43, v44, v44, s34
	v_add_u32_sdwa v23, v23, sext(v21) dst_sel:DWORD dst_unused:UNUSED_PAD src0_sel:DWORD src1_sel:WORD_0
	v_add_u32_sdwa v22, v16, sext(v26) dst_sel:DWORD dst_unused:UNUSED_PAD src0_sel:DWORD src1_sel:WORD_1
	v_add_u32_sdwa v3, v3, sext(v26) dst_sel:DWORD dst_unused:UNUSED_PAD src0_sel:DWORD src1_sel:WORD_0
	v_add_u32_sdwa v1, v1, sext(v21) dst_sel:DWORD dst_unused:UNUSED_PAD src0_sel:DWORD src1_sel:WORD_1
	v_dot4c_i32_i8_e32 v1, v43, v29
	v_dot4c_i32_i8_e32 v23, v43, v52
	;; [unrolled: 1-line block ×4, first 2 shown]
	s_andn2_b64 exec, exec, s[10:11]
	s_cbranch_execnz .LBB68_33
; %bb.34:
	s_or_b64 exec, exec, s[10:11]
.LBB68_35:
	s_or_b64 exec, exec, s[2:3]
	v_and_b32_e32 v8, 3, v8
	v_mov_b32_e32 v9, 0
	s_mov_b64 s[10:11], 0
	v_cmp_ne_u64_e32 vcc, 0, v[8:9]
	s_and_saveexec_b64 s[2:3], vcc
	s_cbranch_execz .LBB68_39
; %bb.36:
	v_lshl_add_u64 v[6:7], v[6:7], 2, s[8:9]
	v_lshlrev_b32_e32 v8, 2, v8
	s_mov_b32 s16, 0x5040100
	s_mov_b32 s17, 0xc04000c
	;; [unrolled: 1-line block ×10, first 2 shown]
	s_mov_b64 s[8:9], 0x80
	s_mov_b64 s[14:15], 0x200
.LBB68_37:                              ; =>This Inner Loop Header: Depth=1
	global_load_dword v14, v[6:7], off
	global_load_dwordx4 v[10:13], v[4:5], off
	v_lshl_add_u64 v[8:9], v[8:9], 0, -4
	v_cmp_eq_u64_e32 vcc, 0, v[8:9]
	v_lshl_add_u64 v[6:7], v[6:7], 0, s[8:9]
	v_lshl_add_u64 v[4:5], v[4:5], 0, s[14:15]
	s_or_b64 s[10:11], vcc, s[10:11]
	s_waitcnt vmcnt(1)
	v_subrev_u32_e32 v14, s12, v14
	v_lshlrev_b32_e32 v14, 2, v14
	v_ashrrev_i32_e32 v15, 31, v14
	s_waitcnt lgkmcnt(0)
	v_lshl_add_u64 v[14:15], s[4:5], 0, v[14:15]
	global_load_dword v14, v[14:15], off
	s_waitcnt vmcnt(1)
	v_lshrrev_b32_e32 v15, 16, v10
	v_ashrrev_i16_e32 v16, 8, v10
	v_ashrrev_i32_e32 v17, 24, v10
	v_bfe_i32 v10, v10, 0, 8
	v_perm_b32 v18, v13, v12, s17
	v_perm_b32 v19, v11, v11, s18
	;; [unrolled: 1-line block ×8, first 2 shown]
	v_bfe_i32 v13, v15, 0, 8
	v_perm_b32 v10, v16, v10, s16
	v_or_b32_e32 v11, v12, v11
	v_perm_b32 v12, v17, v13, s16
	v_or_b32_e32 v15, v18, v19
	v_or_b32_e32 v16, v20, v21
	;; [unrolled: 1-line block ×3, first 2 shown]
	s_waitcnt vmcnt(0)
	v_bfe_i32 v13, v14, 0, 8
	v_pk_mul_lo_u16 v12, v13, v12 op_sel_hi:[0,1]
	v_pk_mul_lo_u16 v10, v13, v10 op_sel_hi:[0,1]
	v_perm_b32 v14, v14, v14, s19
	v_add_u32_sdwa v1, v1, sext(v12) dst_sel:DWORD dst_unused:UNUSED_PAD src0_sel:DWORD src1_sel:WORD_1
	v_add_u32_sdwa v23, v23, sext(v12) dst_sel:DWORD dst_unused:UNUSED_PAD src0_sel:DWORD src1_sel:WORD_0
	v_add_u32_sdwa v22, v22, sext(v10) dst_sel:DWORD dst_unused:UNUSED_PAD src0_sel:DWORD src1_sel:WORD_1
	v_add_u32_sdwa v3, v3, sext(v10) dst_sel:DWORD dst_unused:UNUSED_PAD src0_sel:DWORD src1_sel:WORD_0
	v_dot4c_i32_i8_e32 v3, v14, v15
	v_dot4c_i32_i8_e32 v22, v14, v16
	;; [unrolled: 1-line block ×4, first 2 shown]
	s_andn2_b64 exec, exec, s[10:11]
	s_cbranch_execnz .LBB68_37
; %bb.38:
	s_or_b64 exec, exec, s[10:11]
.LBB68_39:
	s_or_b64 exec, exec, s[2:3]
.LBB68_40:
	s_or_b64 exec, exec, s[6:7]
.LBB68_41:
	v_mov_b32_dpp v4, v3 row_shr:1 row_mask:0xf bank_mask:0xf
	v_mov_b32_dpp v5, v22 row_shr:1 row_mask:0xf bank_mask:0xf
	v_mov_b32_dpp v6, v23 row_shr:1 row_mask:0xf bank_mask:0xf
	v_mov_b32_dpp v7, v1 row_shr:1 row_mask:0xf bank_mask:0xf
	v_add_u32_e32 v1, v7, v1
	v_add_u32_e32 v6, v6, v23
	v_add_u32_e32 v5, v5, v22
	v_add_u32_e32 v3, v4, v3
	v_mov_b32_dpp v8, v6 row_shr:2 row_mask:0xf bank_mask:0xf
	v_mov_b32_dpp v7, v5 row_shr:2 row_mask:0xf bank_mask:0xf
	v_mov_b32_dpp v4, v3 row_shr:2 row_mask:0xf bank_mask:0xf
	v_mov_b32_dpp v9, v1 row_shr:2 row_mask:0xf bank_mask:0xf
	v_add_u32_e32 v1, v1, v9
	v_add_u32_e32 v6, v6, v8
	v_add_u32_e32 v5, v5, v7
	v_add_u32_e32 v3, v3, v4
	;; [unrolled: 8-line block ×4, first 2 shown]
	v_mov_b32_dpp v8, v3 row_bcast:15 row_mask:0xa bank_mask:0xf
	v_mov_b32_dpp v7, v4 row_bcast:15 row_mask:0xa bank_mask:0xf
	v_mov_b32_dpp v6, v5 row_bcast:15 row_mask:0xa bank_mask:0xf
	v_mov_b32_dpp v9, v1 row_bcast:15 row_mask:0xa bank_mask:0xf
	v_cmp_eq_u32_e32 vcc, 31, v0
	s_and_b64 exec, exec, vcc
	s_cbranch_execz .LBB68_14
; %bb.42:
	s_load_dwordx2 s[0:1], s[0:1], 0x50
	v_add_u32_e32 v1, v1, v9
	v_add_u32_e32 v3, v3, v8
	v_add_u32_e32 v7, v4, v7
	v_add_u32_e32 v0, v5, v6
	s_cmp_eq_u32 s22, 0
	v_lshlrev_b32_e32 v4, 2, v2
	v_mul_lo_u32 v0, v0, s13
	v_mul_lo_u32 v8, v7, s13
	;; [unrolled: 1-line block ×4, first 2 shown]
	s_cbranch_scc1 .LBB68_44
; %bb.43:
	v_ashrrev_i32_e32 v5, 31, v4
	s_waitcnt lgkmcnt(0)
	v_lshl_add_u64 v[14:15], v[4:5], 2, s[0:1]
	global_load_dwordx4 v[10:13], v[14:15], off
	s_waitcnt vmcnt(0)
	v_mad_u64_u32 v[16:17], s[2:3], v11, s22, v[8:9]
	v_mad_u64_u32 v[10:11], s[2:3], v10, s22, v[0:1]
	;; [unrolled: 1-line block ×4, first 2 shown]
	v_mov_b32_e32 v11, v16
	v_mov_b32_e32 v13, v18
	global_store_dwordx4 v[14:15], v[10:13], off
	s_cbranch_execnz .LBB68_14
	s_branch .LBB68_45
.LBB68_44:
.LBB68_45:
	v_ashrrev_i32_e32 v5, 31, v4
	v_mov_b32_e32 v1, v8
	v_mov_b32_e32 v3, v6
	s_waitcnt lgkmcnt(0)
	v_lshl_add_u64 v[4:5], v[4:5], 2, s[0:1]
	global_store_dwordx4 v[4:5], v[0:3], off
	s_endpgm
	.section	.rodata,"a",@progbits
	.p2align	6, 0x0
	.amdhsa_kernel _ZN9rocsparseL18bsrxmvn_4x4_kernelILj128ELj32EiliaaiEEvT3_20rocsparse_direction_NS_24const_host_device_scalarIT1_EES1_PKS1_PKT2_SA_S7_PKT4_PKT5_S5_PT6_21rocsparse_index_base_b
		.amdhsa_group_segment_fixed_size 0
		.amdhsa_private_segment_fixed_size 0
		.amdhsa_kernarg_size 96
		.amdhsa_user_sgpr_count 2
		.amdhsa_user_sgpr_dispatch_ptr 0
		.amdhsa_user_sgpr_queue_ptr 0
		.amdhsa_user_sgpr_kernarg_segment_ptr 1
		.amdhsa_user_sgpr_dispatch_id 0
		.amdhsa_user_sgpr_kernarg_preload_length 0
		.amdhsa_user_sgpr_kernarg_preload_offset 0
		.amdhsa_user_sgpr_private_segment_size 0
		.amdhsa_uses_dynamic_stack 0
		.amdhsa_enable_private_segment 0
		.amdhsa_system_sgpr_workgroup_id_x 1
		.amdhsa_system_sgpr_workgroup_id_y 0
		.amdhsa_system_sgpr_workgroup_id_z 0
		.amdhsa_system_sgpr_workgroup_info 0
		.amdhsa_system_vgpr_workitem_id 0
		.amdhsa_next_free_vgpr 62
		.amdhsa_next_free_sgpr 35
		.amdhsa_accum_offset 64
		.amdhsa_reserve_vcc 1
		.amdhsa_float_round_mode_32 0
		.amdhsa_float_round_mode_16_64 0
		.amdhsa_float_denorm_mode_32 3
		.amdhsa_float_denorm_mode_16_64 3
		.amdhsa_dx10_clamp 1
		.amdhsa_ieee_mode 1
		.amdhsa_fp16_overflow 0
		.amdhsa_tg_split 0
		.amdhsa_exception_fp_ieee_invalid_op 0
		.amdhsa_exception_fp_denorm_src 0
		.amdhsa_exception_fp_ieee_div_zero 0
		.amdhsa_exception_fp_ieee_overflow 0
		.amdhsa_exception_fp_ieee_underflow 0
		.amdhsa_exception_fp_ieee_inexact 0
		.amdhsa_exception_int_div_zero 0
	.end_amdhsa_kernel
	.section	.text._ZN9rocsparseL18bsrxmvn_4x4_kernelILj128ELj32EiliaaiEEvT3_20rocsparse_direction_NS_24const_host_device_scalarIT1_EES1_PKS1_PKT2_SA_S7_PKT4_PKT5_S5_PT6_21rocsparse_index_base_b,"axG",@progbits,_ZN9rocsparseL18bsrxmvn_4x4_kernelILj128ELj32EiliaaiEEvT3_20rocsparse_direction_NS_24const_host_device_scalarIT1_EES1_PKS1_PKT2_SA_S7_PKT4_PKT5_S5_PT6_21rocsparse_index_base_b,comdat
.Lfunc_end68:
	.size	_ZN9rocsparseL18bsrxmvn_4x4_kernelILj128ELj32EiliaaiEEvT3_20rocsparse_direction_NS_24const_host_device_scalarIT1_EES1_PKS1_PKT2_SA_S7_PKT4_PKT5_S5_PT6_21rocsparse_index_base_b, .Lfunc_end68-_ZN9rocsparseL18bsrxmvn_4x4_kernelILj128ELj32EiliaaiEEvT3_20rocsparse_direction_NS_24const_host_device_scalarIT1_EES1_PKS1_PKT2_SA_S7_PKT4_PKT5_S5_PT6_21rocsparse_index_base_b
                                        ; -- End function
	.set _ZN9rocsparseL18bsrxmvn_4x4_kernelILj128ELj32EiliaaiEEvT3_20rocsparse_direction_NS_24const_host_device_scalarIT1_EES1_PKS1_PKT2_SA_S7_PKT4_PKT5_S5_PT6_21rocsparse_index_base_b.num_vgpr, 62
	.set _ZN9rocsparseL18bsrxmvn_4x4_kernelILj128ELj32EiliaaiEEvT3_20rocsparse_direction_NS_24const_host_device_scalarIT1_EES1_PKS1_PKT2_SA_S7_PKT4_PKT5_S5_PT6_21rocsparse_index_base_b.num_agpr, 0
	.set _ZN9rocsparseL18bsrxmvn_4x4_kernelILj128ELj32EiliaaiEEvT3_20rocsparse_direction_NS_24const_host_device_scalarIT1_EES1_PKS1_PKT2_SA_S7_PKT4_PKT5_S5_PT6_21rocsparse_index_base_b.numbered_sgpr, 35
	.set _ZN9rocsparseL18bsrxmvn_4x4_kernelILj128ELj32EiliaaiEEvT3_20rocsparse_direction_NS_24const_host_device_scalarIT1_EES1_PKS1_PKT2_SA_S7_PKT4_PKT5_S5_PT6_21rocsparse_index_base_b.num_named_barrier, 0
	.set _ZN9rocsparseL18bsrxmvn_4x4_kernelILj128ELj32EiliaaiEEvT3_20rocsparse_direction_NS_24const_host_device_scalarIT1_EES1_PKS1_PKT2_SA_S7_PKT4_PKT5_S5_PT6_21rocsparse_index_base_b.private_seg_size, 0
	.set _ZN9rocsparseL18bsrxmvn_4x4_kernelILj128ELj32EiliaaiEEvT3_20rocsparse_direction_NS_24const_host_device_scalarIT1_EES1_PKS1_PKT2_SA_S7_PKT4_PKT5_S5_PT6_21rocsparse_index_base_b.uses_vcc, 1
	.set _ZN9rocsparseL18bsrxmvn_4x4_kernelILj128ELj32EiliaaiEEvT3_20rocsparse_direction_NS_24const_host_device_scalarIT1_EES1_PKS1_PKT2_SA_S7_PKT4_PKT5_S5_PT6_21rocsparse_index_base_b.uses_flat_scratch, 0
	.set _ZN9rocsparseL18bsrxmvn_4x4_kernelILj128ELj32EiliaaiEEvT3_20rocsparse_direction_NS_24const_host_device_scalarIT1_EES1_PKS1_PKT2_SA_S7_PKT4_PKT5_S5_PT6_21rocsparse_index_base_b.has_dyn_sized_stack, 0
	.set _ZN9rocsparseL18bsrxmvn_4x4_kernelILj128ELj32EiliaaiEEvT3_20rocsparse_direction_NS_24const_host_device_scalarIT1_EES1_PKS1_PKT2_SA_S7_PKT4_PKT5_S5_PT6_21rocsparse_index_base_b.has_recursion, 0
	.set _ZN9rocsparseL18bsrxmvn_4x4_kernelILj128ELj32EiliaaiEEvT3_20rocsparse_direction_NS_24const_host_device_scalarIT1_EES1_PKS1_PKT2_SA_S7_PKT4_PKT5_S5_PT6_21rocsparse_index_base_b.has_indirect_call, 0
	.section	.AMDGPU.csdata,"",@progbits
; Kernel info:
; codeLenInByte = 3912
; TotalNumSgprs: 41
; NumVgprs: 62
; NumAgprs: 0
; TotalNumVgprs: 62
; ScratchSize: 0
; MemoryBound: 0
; FloatMode: 240
; IeeeMode: 1
; LDSByteSize: 0 bytes/workgroup (compile time only)
; SGPRBlocks: 5
; VGPRBlocks: 7
; NumSGPRsForWavesPerEU: 41
; NumVGPRsForWavesPerEU: 62
; AccumOffset: 64
; Occupancy: 8
; WaveLimiterHint : 1
; COMPUTE_PGM_RSRC2:SCRATCH_EN: 0
; COMPUTE_PGM_RSRC2:USER_SGPR: 2
; COMPUTE_PGM_RSRC2:TRAP_HANDLER: 0
; COMPUTE_PGM_RSRC2:TGID_X_EN: 1
; COMPUTE_PGM_RSRC2:TGID_Y_EN: 0
; COMPUTE_PGM_RSRC2:TGID_Z_EN: 0
; COMPUTE_PGM_RSRC2:TIDIG_COMP_CNT: 0
; COMPUTE_PGM_RSRC3_GFX90A:ACCUM_OFFSET: 15
; COMPUTE_PGM_RSRC3_GFX90A:TG_SPLIT: 0
	.section	.text._ZN9rocsparseL18bsrxmvn_4x4_kernelILj128ELj64EiliaaiEEvT3_20rocsparse_direction_NS_24const_host_device_scalarIT1_EES1_PKS1_PKT2_SA_S7_PKT4_PKT5_S5_PT6_21rocsparse_index_base_b,"axG",@progbits,_ZN9rocsparseL18bsrxmvn_4x4_kernelILj128ELj64EiliaaiEEvT3_20rocsparse_direction_NS_24const_host_device_scalarIT1_EES1_PKS1_PKT2_SA_S7_PKT4_PKT5_S5_PT6_21rocsparse_index_base_b,comdat
	.globl	_ZN9rocsparseL18bsrxmvn_4x4_kernelILj128ELj64EiliaaiEEvT3_20rocsparse_direction_NS_24const_host_device_scalarIT1_EES1_PKS1_PKT2_SA_S7_PKT4_PKT5_S5_PT6_21rocsparse_index_base_b ; -- Begin function _ZN9rocsparseL18bsrxmvn_4x4_kernelILj128ELj64EiliaaiEEvT3_20rocsparse_direction_NS_24const_host_device_scalarIT1_EES1_PKS1_PKT2_SA_S7_PKT4_PKT5_S5_PT6_21rocsparse_index_base_b
	.p2align	8
	.type	_ZN9rocsparseL18bsrxmvn_4x4_kernelILj128ELj64EiliaaiEEvT3_20rocsparse_direction_NS_24const_host_device_scalarIT1_EES1_PKS1_PKT2_SA_S7_PKT4_PKT5_S5_PT6_21rocsparse_index_base_b,@function
_ZN9rocsparseL18bsrxmvn_4x4_kernelILj128ELj64EiliaaiEEvT3_20rocsparse_direction_NS_24const_host_device_scalarIT1_EES1_PKS1_PKT2_SA_S7_PKT4_PKT5_S5_PT6_21rocsparse_index_base_b: ; @_ZN9rocsparseL18bsrxmvn_4x4_kernelILj128ELj64EiliaaiEEvT3_20rocsparse_direction_NS_24const_host_device_scalarIT1_EES1_PKS1_PKT2_SA_S7_PKT4_PKT5_S5_PT6_21rocsparse_index_base_b
; %bb.0:
	s_load_dwordx2 s[12:13], s[0:1], 0x58
	s_load_dwordx2 s[8:9], s[0:1], 0x8
	s_mov_b64 s[10:11], -1
	s_waitcnt lgkmcnt(0)
	s_bitcmp1_b32 s13, 0
	s_cselect_b64 s[4:5], -1, 0
	s_xor_b64 s[6:7], s[4:5], -1
	s_and_b64 vcc, exec, s[6:7]
                                        ; implicit-def: $sgpr13
	s_cbranch_vccnz .LBB69_4
; %bb.1:
	s_load_dwordx2 s[4:5], s[0:1], 0x48
	s_andn2_b64 vcc, exec, s[10:11]
	s_cbranch_vccz .LBB69_5
.LBB69_2:
	s_and_b64 vcc, exec, s[6:7]
	s_cbranch_vccz .LBB69_6
.LBB69_3:
	s_waitcnt lgkmcnt(0)
	s_load_dword s22, s[4:5], 0x0
	s_cbranch_execz .LBB69_7
	s_branch .LBB69_8
.LBB69_4:
	s_load_dword s13, s[8:9], 0x0
	s_load_dwordx2 s[4:5], s[0:1], 0x48
	s_cbranch_execnz .LBB69_2
.LBB69_5:
	s_waitcnt lgkmcnt(0)
	s_mov_b32 s13, s8
	s_and_b64 vcc, exec, s[6:7]
	s_cbranch_vccnz .LBB69_3
.LBB69_6:
                                        ; implicit-def: $sgpr22
.LBB69_7:
	s_waitcnt lgkmcnt(0)
	s_mov_b32 s22, s4
.LBB69_8:
	s_waitcnt lgkmcnt(0)
	s_cmp_lg_u32 s13, 0
	s_cselect_b64 s[4:5], -1, 0
	s_cmp_lg_u32 s22, 1
	s_cselect_b64 s[6:7], -1, 0
	s_or_b64 s[4:5], s[4:5], s[6:7]
	s_andn2_b64 vcc, exec, s[4:5]
	s_cbranch_vccnz .LBB69_14
; %bb.9:
	s_load_dwordx2 s[4:5], s[0:1], 0x18
	s_load_dwordx2 s[14:15], s[0:1], 0x0
	v_lshrrev_b32_e32 v1, 6, v0
	v_lshl_or_b32 v2, s2, 1, v1
	s_mov_b64 s[2:3], 0
	s_waitcnt lgkmcnt(0)
	s_cmp_lg_u64 s[4:5], 0
	s_cbranch_scc0 .LBB69_15
; %bb.10:
	s_load_dword s6, s[0:1], 0x10
                                        ; implicit-def: $vgpr1
	s_waitcnt lgkmcnt(0)
	v_cmp_gt_i32_e32 vcc, s6, v2
	s_and_saveexec_b64 s[6:7], vcc
	s_xor_b64 s[6:7], exec, s[6:7]
	s_cbranch_execz .LBB69_12
; %bb.11:
	v_ashrrev_i32_e32 v3, 31, v2
	v_lshl_add_u64 v[4:5], v[2:3], 2, s[4:5]
	global_load_dword v1, v[4:5], off
	s_mov_b64 s[2:3], exec
	s_waitcnt vmcnt(0)
	v_subrev_u32_e32 v1, s12, v1
.LBB69_12:
	s_or_b64 exec, exec, s[6:7]
	s_branch .LBB69_16
.LBB69_13:
	v_cmp_gt_i32_e32 vcc, s14, v2
	s_andn2_b64 s[2:3], s[2:3], exec
	s_and_b64 s[4:5], vcc, exec
	s_or_b64 s[2:3], s[2:3], s[4:5]
	s_and_saveexec_b64 s[4:5], s[2:3]
	s_cbranch_execnz .LBB69_17
.LBB69_14:
	s_endpgm
.LBB69_15:
                                        ; implicit-def: $vgpr1
	s_cbranch_execnz .LBB69_13
.LBB69_16:
	v_mov_b32_e32 v2, v1
	s_and_saveexec_b64 s[4:5], s[2:3]
	s_cbranch_execz .LBB69_14
.LBB69_17:
	s_load_dwordx8 s[4:11], s[0:1], 0x20
	v_ashrrev_i32_e32 v3, 31, v2
	v_lshlrev_b64 v[4:5], 3, v[2:3]
	v_and_b32_e32 v0, 63, v0
	v_mov_b32_e32 v1, 0
	s_waitcnt lgkmcnt(0)
	v_lshl_add_u64 v[6:7], s[4:5], 0, v[4:5]
	s_cmp_eq_u64 s[6:7], 0
	v_lshl_add_u64 v[4:5], s[6:7], 0, v[4:5]
	global_load_dwordx2 v[12:13], v[6:7], off
	v_lshl_add_u64 v[6:7], v[6:7], 0, 8
	s_cselect_b64 vcc, -1, 0
	v_cndmask_b32_e32 v5, v5, v7, vcc
	v_cndmask_b32_e32 v4, v4, v6, vcc
	global_load_dwordx2 v[4:5], v[4:5], off
	s_load_dwordx2 s[4:5], s[0:1], 0x40
	s_cmp_eq_u32 s15, 1
	s_waitcnt vmcnt(1)
	v_subrev_co_u32_e32 v6, vcc, s12, v12
	s_nop 1
	v_subbrev_co_u32_e32 v7, vcc, 0, v13, vcc
	v_lshl_add_u64 v[10:11], v[6:7], 0, v[0:1]
	s_waitcnt vmcnt(0)
	v_subrev_co_u32_e32 v14, vcc, s12, v4
	s_nop 1
	v_subbrev_co_u32_e32 v15, vcc, 0, v5, vcc
	v_lshl_add_u64 v[4:5], v[10:11], 4, s[10:11]
	v_cmp_lt_i64_e64 s[2:3], v[10:11], v[14:15]
	s_cbranch_scc1 .LBB69_29
; %bb.18:
	v_mov_b32_e32 v6, v1
	v_mov_b32_e32 v9, v1
	;; [unrolled: 1-line block ×3, first 2 shown]
	s_and_saveexec_b64 s[6:7], s[2:3]
	s_cbranch_execz .LBB69_28
; %bb.19:
	v_or_b32_e32 v1, 64, v0
	v_subrev_co_u32_e32 v6, vcc, s12, v1
	v_not_b32_e32 v9, v13
	s_nop 0
	v_subb_co_u32_e64 v7, s[10:11], 0, 0, vcc
	v_lshl_add_u64 v[6:7], v[6:7], 0, v[12:13]
	v_cmp_gt_i64_e32 vcc, v[6:7], v[14:15]
	v_not_b32_e32 v8, v12
	v_mov_b32_e32 v1, 0
	v_cndmask_b32_e32 v7, v15, v7, vcc
	v_cndmask_b32_e32 v6, v14, v6, vcc
	v_sub_co_u32_e32 v16, vcc, s12, v0
	v_mov_b64_e32 v[20:21], v[10:11]
	s_nop 0
	v_subb_co_u32_e64 v17, s[10:11], 0, 0, vcc
	v_lshl_add_u64 v[8:9], v[16:17], 0, v[8:9]
	v_lshl_add_u64 v[6:7], v[8:9], 0, v[6:7]
	v_lshrrev_b64 v[8:9], 6, v[6:7]
	s_mov_b64 s[10:11], 0xbf
	v_lshl_add_u64 v[18:19], v[8:9], 0, 1
	v_cmp_lt_u64_e32 vcc, s[10:11], v[6:7]
	v_mov_b32_e32 v8, 0
	v_mov_b32_e32 v9, 0
	;; [unrolled: 1-line block ×3, first 2 shown]
	v_mov_b64_e32 v[16:17], v[4:5]
	s_and_saveexec_b64 s[10:11], vcc
	s_cbranch_execz .LBB69_23
; %bb.20:
	v_lshl_add_u64 v[6:7], v[10:11], 2, s[8:9]
	s_mov_b64 s[14:15], 0x200
	v_mov_b32_e32 v1, 0
	v_and_b32_e32 v22, -4, v18
	v_mov_b32_e32 v23, v19
	v_lshl_add_u64 v[24:25], v[6:7], 0, s[14:15]
	s_mov_b64 s[14:15], 0
	s_mov_b32 s23, 0xc030201
	s_mov_b32 s24, 0x4030201
	;; [unrolled: 1-line block ×8, first 2 shown]
	s_mov_b64 s[16:17], 0x1000
	s_mov_b64 s[18:19], 0x100
	;; [unrolled: 1-line block ×3, first 2 shown]
	v_mov_b64_e32 v[16:17], v[4:5]
	v_mov_b64_e32 v[20:21], v[10:11]
	v_mov_b32_e32 v6, v1
	v_mov_b32_e32 v9, v1
	;; [unrolled: 1-line block ×3, first 2 shown]
.LBB69_21:                              ; =>This Inner Loop Header: Depth=1
	global_load_dword v3, v[24:25], off offset:-512
	global_load_dword v7, v[24:25], off offset:-256
	global_load_dword v19, v[24:25], off
	global_load_dword v42, v[24:25], off offset:256
	global_load_dwordx4 v[26:29], v[16:17], off
	global_load_dwordx4 v[30:33], v[16:17], off offset:1024
	global_load_dwordx4 v[34:37], v[16:17], off offset:2048
	;; [unrolled: 1-line block ×3, first 2 shown]
	v_lshl_add_u64 v[22:23], v[22:23], 0, -4
	v_cmp_eq_u64_e32 vcc, 0, v[22:23]
	v_lshl_add_u64 v[16:17], v[16:17], 0, s[16:17]
	v_lshl_add_u64 v[20:21], v[20:21], 0, s[18:19]
	;; [unrolled: 1-line block ×3, first 2 shown]
	s_or_b64 s[14:15], vcc, s[14:15]
	s_waitcnt vmcnt(7)
	v_subrev_u32_e32 v3, s12, v3
	s_waitcnt vmcnt(6)
	v_subrev_u32_e32 v7, s12, v7
	;; [unrolled: 2-line block ×4, first 2 shown]
	v_lshlrev_b32_e32 v42, 2, v3
	v_lshlrev_b32_e32 v44, 2, v7
	;; [unrolled: 1-line block ×4, first 2 shown]
	v_ashrrev_i32_e32 v43, 31, v42
	v_ashrrev_i32_e32 v45, 31, v44
	v_ashrrev_i32_e32 v47, 31, v46
	v_ashrrev_i32_e32 v49, 31, v48
	s_waitcnt lgkmcnt(0)
	v_lshl_add_u64 v[42:43], s[4:5], 0, v[42:43]
	v_lshl_add_u64 v[44:45], s[4:5], 0, v[44:45]
	;; [unrolled: 1-line block ×4, first 2 shown]
	global_load_dword v3, v[42:43], off
	global_load_dword v7, v[44:45], off
	;; [unrolled: 1-line block ×4, first 2 shown]
	s_waitcnt vmcnt(6)
	v_lshrrev_b16_e32 v42, 8, v33
	v_bfe_i32 v43, v30, 0, 8
	v_perm_b32 v30, v30, v30, s23
	s_waitcnt vmcnt(5)
	v_perm_b32 v47, v37, v29, s27
	v_perm_b32 v48, v37, v29, s28
	;; [unrolled: 1-line block ×4, first 2 shown]
	v_bfe_i32 v44, v34, 0, 8
	s_waitcnt vmcnt(4)
	v_perm_b32 v34, v38, v34, s24
	v_bfe_i32 v46, v41, 8, 8
	v_ashrrev_i32_e32 v45, 24, v38
	v_perm_b32 v38, v38, v38, s25
	v_perm_b32 v39, v39, v39, s26
	s_waitcnt vmcnt(3)
	v_dot4c_i32_i8_e32 v8, v3, v26
	v_dot4c_i32_i8_e32 v9, v3, v27
	s_waitcnt vmcnt(2)
	v_lshrrev_b16_e32 v26, 8, v7
	v_bfe_i32 v27, v7, 0, 8
	v_dot4c_i32_i8_e32 v6, v3, v28
	v_perm_b32 v28, v7, v7, s23
	v_mul_i32_i24_sdwa v51, sext(v33), sext(v7) dst_sel:DWORD dst_unused:UNUSED_PAD src0_sel:BYTE_3 src1_sel:BYTE_3
	s_waitcnt vmcnt(1)
	v_perm_b32 v59, v19, v3, s27
	v_perm_b32 v60, v19, v3, s28
	;; [unrolled: 1-line block ×4, first 2 shown]
	v_mad_i32_i24 v8, v27, v43, v8
	v_mul_i32_i24_sdwa v26, sext(v42), sext(v26) dst_sel:DWORD dst_unused:UNUSED_PAD src0_sel:BYTE_0 src1_sel:BYTE_0
	v_mul_i32_i24_sdwa v37, sext(v33), sext(v7) dst_sel:DWORD dst_unused:UNUSED_PAD src0_sel:BYTE_2 src1_sel:BYTE_2
	v_bfe_i32 v52, v19, 0, 8
	v_dot4c_i32_i8_e32 v9, v7, v31
	v_dot4c_i32_i8_e32 v6, v7, v32
	v_mul_i32_i24_sdwa v7, sext(v33), v27 dst_sel:DWORD dst_unused:UNUSED_PAD src0_sel:BYTE_0 src1_sel:DWORD
	v_dot4c_i32_i8_e32 v51, v49, v61
	v_dot4c_i32_i8_e32 v8, v28, v30
	;; [unrolled: 1-line block ×3, first 2 shown]
	s_waitcnt vmcnt(0)
	v_bfe_i32 v54, v50, 8, 8
	v_perm_b32 v55, v50, v19, s24
	v_mul_i32_i24_sdwa v58, sext(v41), sext(v50) dst_sel:DWORD dst_unused:UNUSED_PAD src0_sel:BYTE_2 src1_sel:BYTE_2
	v_dot4c_i32_i8_e32 v37, v47, v59
	v_dot4c_i32_i8_e32 v7, v48, v60
	v_mad_i32_i24 v3, v52, v44, v8
	v_add_u32_e32 v8, v26, v51
	v_ashrrev_i32_e32 v53, 24, v50
	v_perm_b32 v56, v50, v50, s25
	v_mul_i32_i24_sdwa v57, sext(v50), sext(v41) dst_sel:DWORD dst_unused:UNUSED_PAD src0_sel:BYTE_0 src1_sel:BYTE_0
	v_mad_i32_i24 v27, v54, v46, v58
	v_dot4c_i32_i8_e32 v3, v55, v34
	v_add3_u32 v7, v7, v37, v8
	v_mul_i32_i24_sdwa v31, sext(v41), v53 dst_sel:DWORD dst_unused:UNUSED_PAD src0_sel:BYTE_3 src1_sel:DWORD
	v_dot4c_i32_i8_e32 v9, v19, v35
	v_dot4c_i32_i8_e32 v6, v19, v36
	v_dot4c_i32_i8_e32 v3, v56, v38
	v_add3_u32 v7, v7, v57, v27
	v_dot4c_i32_i8_e32 v9, v39, v50
	v_dot4c_i32_i8_e32 v6, v40, v50
	v_mad_i32_i24 v8, v53, v45, v3
	v_add3_u32 v1, v7, v1, v31
	s_andn2_b64 exec, exec, s[14:15]
	s_cbranch_execnz .LBB69_21
; %bb.22:
	s_or_b64 exec, exec, s[14:15]
.LBB69_23:
	s_or_b64 exec, exec, s[10:11]
	v_and_b32_e32 v18, 3, v18
	v_mov_b32_e32 v19, 0
	s_mov_b64 s[14:15], 0
	v_cmp_ne_u64_e32 vcc, 0, v[18:19]
	s_and_saveexec_b64 s[10:11], vcc
	s_cbranch_execz .LBB69_27
; %bb.24:
	v_lshl_add_u64 v[20:21], v[20:21], 2, s[8:9]
	v_lshlrev_b32_e32 v18, 2, v18
	s_mov_b64 s[16:17], 0x100
	s_mov_b64 s[18:19], 0x400
.LBB69_25:                              ; =>This Inner Loop Header: Depth=1
	global_load_dword v3, v[20:21], off
	global_load_dwordx4 v[22:25], v[16:17], off
	v_lshl_add_u64 v[18:19], v[18:19], 0, -4
	v_cmp_eq_u64_e32 vcc, 0, v[18:19]
	v_lshl_add_u64 v[20:21], v[20:21], 0, s[16:17]
	v_lshl_add_u64 v[16:17], v[16:17], 0, s[18:19]
	s_or_b64 s[14:15], vcc, s[14:15]
	s_waitcnt vmcnt(1)
	v_subrev_u32_e32 v3, s12, v3
	v_lshlrev_b32_e32 v26, 2, v3
	v_ashrrev_i32_e32 v27, 31, v26
	s_waitcnt lgkmcnt(0)
	v_lshl_add_u64 v[26:27], s[4:5], 0, v[26:27]
	global_load_dword v3, v[26:27], off
	s_waitcnt vmcnt(0)
	v_dot4c_i32_i8_e32 v8, v22, v3
	v_dot4c_i32_i8_e32 v9, v23, v3
	;; [unrolled: 1-line block ×4, first 2 shown]
	s_andn2_b64 exec, exec, s[14:15]
	s_cbranch_execnz .LBB69_25
; %bb.26:
	s_or_b64 exec, exec, s[14:15]
.LBB69_27:
	s_or_b64 exec, exec, s[10:11]
.LBB69_28:
	s_or_b64 exec, exec, s[6:7]
	s_cbranch_execz .LBB69_30
	s_branch .LBB69_41
.LBB69_29:
                                        ; implicit-def: $vgpr6
                                        ; implicit-def: $vgpr9
.LBB69_30:
	v_mov_b32_e32 v1, 0
	v_mov_b32_e32 v6, 0
	;; [unrolled: 1-line block ×4, first 2 shown]
	s_and_saveexec_b64 s[6:7], s[2:3]
	s_cbranch_execz .LBB69_40
; %bb.31:
	v_or_b32_e32 v1, 64, v0
	v_subrev_co_u32_e32 v6, vcc, s12, v1
	v_not_b32_e32 v8, v12
	s_nop 0
	v_subb_co_u32_e64 v7, s[2:3], 0, 0, vcc
	v_lshl_add_u64 v[6:7], v[6:7], 0, v[12:13]
	v_cmp_gt_i64_e32 vcc, v[6:7], v[14:15]
	v_not_b32_e32 v9, v13
	s_nop 0
	v_cndmask_b32_e32 v7, v15, v7, vcc
	v_cndmask_b32_e32 v6, v14, v6, vcc
	v_sub_co_u32_e32 v12, vcc, s12, v0
	s_nop 1
	v_subb_co_u32_e64 v13, s[2:3], 0, 0, vcc
	v_lshl_add_u64 v[8:9], v[12:13], 0, v[8:9]
	v_lshl_add_u64 v[6:7], v[8:9], 0, v[6:7]
	s_mov_b64 s[2:3], 0xbf
	v_lshrrev_b64 v[8:9], 6, v[6:7]
	v_cmp_lt_u64_e32 vcc, s[2:3], v[6:7]
	v_mov_b32_e32 v6, 0
	v_mov_b32_e32 v7, v6
	v_lshl_add_u64 v[12:13], v[8:9], 0, 1
	v_mov_b64_e32 v[8:9], v[6:7]
	s_and_saveexec_b64 s[2:3], vcc
	s_cbranch_execz .LBB69_35
; %bb.32:
	v_lshl_add_u64 v[8:9], v[10:11], 2, s[8:9]
	s_mov_b64 s[10:11], 0x200
	v_and_b32_e32 v14, -4, v12
	v_mov_b32_e32 v15, v13
	v_lshl_add_u64 v[16:17], v[8:9], 0, s[10:11]
	s_mov_b64 s[10:11], 0
	s_mov_b32 s20, 0xc05010c
	s_mov_b32 s21, 0xc0c0c01
	;; [unrolled: 1-line block ×19, first 2 shown]
	s_mov_b64 s[14:15], 0x1000
	s_mov_b64 s[16:17], 0x100
	s_mov_b64 s[18:19], 0x400
	v_mov_b32_e32 v1, 0
	v_mov_b32_e32 v8, 0
	;; [unrolled: 1-line block ×3, first 2 shown]
.LBB69_33:                              ; =>This Inner Loop Header: Depth=1
	global_load_dword v3, v[16:17], off offset:-512
	global_load_dword v7, v[16:17], off offset:-256
	global_load_dword v13, v[16:17], off
	global_load_dword v34, v[16:17], off offset:256
	global_load_dwordx4 v[18:21], v[4:5], off
	global_load_dwordx4 v[22:25], v[4:5], off offset:1024
	global_load_dwordx4 v[26:29], v[4:5], off offset:2048
	;; [unrolled: 1-line block ×3, first 2 shown]
	v_lshl_add_u64 v[14:15], v[14:15], 0, -4
	v_cmp_eq_u64_e32 vcc, 0, v[14:15]
	v_lshl_add_u64 v[4:5], v[4:5], 0, s[14:15]
	v_lshl_add_u64 v[10:11], v[10:11], 0, s[16:17]
	;; [unrolled: 1-line block ×3, first 2 shown]
	s_or_b64 s[10:11], vcc, s[10:11]
	s_waitcnt vmcnt(7)
	v_subrev_u32_e32 v3, s12, v3
	s_waitcnt vmcnt(6)
	v_subrev_u32_e32 v7, s12, v7
	;; [unrolled: 2-line block ×4, first 2 shown]
	v_lshlrev_b32_e32 v34, 2, v3
	v_lshlrev_b32_e32 v36, 2, v7
	;; [unrolled: 1-line block ×4, first 2 shown]
	v_ashrrev_i32_e32 v35, 31, v34
	v_ashrrev_i32_e32 v37, 31, v36
	v_ashrrev_i32_e32 v39, 31, v38
	v_ashrrev_i32_e32 v41, 31, v40
	s_waitcnt lgkmcnt(0)
	v_lshl_add_u64 v[34:35], s[4:5], 0, v[34:35]
	v_lshl_add_u64 v[36:37], s[4:5], 0, v[36:37]
	;; [unrolled: 1-line block ×4, first 2 shown]
	global_load_dword v3, v[34:35], off
	global_load_dword v7, v[40:41], off
	;; [unrolled: 1-line block ×4, first 2 shown]
	s_waitcnt vmcnt(7)
	v_perm_b32 v42, v20, v19, s20
	v_perm_b32 v34, v20, v19, s24
	v_perm_b32 v36, v20, v19, s26
	v_perm_b32 v19, v20, v19, s28
	s_waitcnt vmcnt(6)
	v_perm_b32 v20, v22, v21, s30
	v_perm_b32 v38, v24, v23, s31
	v_perm_b32 v39, v22, v21, s34
	v_perm_b32 v40, v24, v23, s35
	;; [unrolled: 5-line block ×3, first 2 shown]
	s_waitcnt vmcnt(4)
	v_lshrrev_b32_e32 v49, 24, v33
	v_lshrrev_b32_e32 v50, 16, v33
	v_perm_b32 v55, v22, v21, s36
	v_perm_b32 v56, v24, v23, s37
	;; [unrolled: 1-line block ×14, first 2 shown]
	v_or_b32_e32 v21, v22, v21
	v_or_b32_e32 v22, v24, v23
	;; [unrolled: 1-line block ×3, first 2 shown]
	v_bfe_i32 v27, v50, 0, 8
	v_bfe_i32 v28, v49, 0, 8
	v_lshrrev_b32_e32 v48, 8, v33
	v_perm_b32 v51, v30, v29, s30
	v_perm_b32 v52, v32, v31, s31
	;; [unrolled: 1-line block ×6, first 2 shown]
	v_bfe_i32 v31, v33, 0, 8
	v_or_b32_e32 v32, v42, v43
	v_or_b32_e32 v33, v34, v35
	;; [unrolled: 1-line block ×4, first 2 shown]
	v_perm_b32 v27, v28, v27, s40
	v_or_b32_e32 v19, v38, v20
	v_or_b32_e32 v20, v40, v39
	;; [unrolled: 1-line block ×7, first 2 shown]
	v_bfe_i32 v26, v48, 0, 8
	v_or_b32_e32 v37, v52, v51
	v_or_b32_e32 v38, v54, v53
	v_perm_b32 v26, v26, v31, s40
	s_waitcnt vmcnt(3)
	v_perm_b32 v28, v3, v3, s23
	v_dot4c_i32_i8_e32 v9, v28, v32
	s_waitcnt vmcnt(1)
	v_perm_b32 v3, v13, v3, s33
	v_dot4c_i32_i8_e32 v8, v28, v33
	v_dot4c_i32_i8_e32 v1, v28, v34
	;; [unrolled: 1-line block ×3, first 2 shown]
	v_lshrrev_b32_e32 v29, 24, v7
	s_waitcnt vmcnt(0)
	v_perm_b32 v13, v44, v13, s33
	v_dot4c_i32_i8_e32 v8, v3, v19
	v_dot4c_i32_i8_e32 v9, v3, v20
	;; [unrolled: 1-line block ×4, first 2 shown]
	v_perm_b32 v7, v7, v44, s33
	v_bfe_i32 v18, v29, 0, 8
	v_dot4c_i32_i8_e32 v9, v13, v35
	v_dot4c_i32_i8_e32 v8, v13, v36
	;; [unrolled: 1-line block ×4, first 2 shown]
	v_pk_mul_lo_u16 v3, v18, v26 op_sel_hi:[0,1]
	v_pk_mul_lo_u16 v18, v18, v27 op_sel_hi:[0,1]
	v_dot4c_i32_i8_e32 v8, v7, v37
	v_dot4c_i32_i8_e32 v9, v7, v38
	;; [unrolled: 1-line block ×4, first 2 shown]
	v_add_u32_sdwa v8, v8, sext(v3) dst_sel:DWORD dst_unused:UNUSED_PAD src0_sel:DWORD src1_sel:WORD_0
	v_add_u32_sdwa v9, v9, sext(v3) dst_sel:DWORD dst_unused:UNUSED_PAD src0_sel:DWORD src1_sel:WORD_1
	v_add_u32_sdwa v6, v6, sext(v18) dst_sel:DWORD dst_unused:UNUSED_PAD src0_sel:DWORD src1_sel:WORD_0
	v_add_u32_sdwa v1, v1, sext(v18) dst_sel:DWORD dst_unused:UNUSED_PAD src0_sel:DWORD src1_sel:WORD_1
	s_andn2_b64 exec, exec, s[10:11]
	s_cbranch_execnz .LBB69_33
; %bb.34:
	s_or_b64 exec, exec, s[10:11]
	v_mov_b32_e32 v7, v1
.LBB69_35:
	s_or_b64 exec, exec, s[2:3]
	v_and_b32_e32 v12, 3, v12
	v_mov_b32_e32 v13, 0
	s_mov_b64 s[10:11], 0
	v_cmp_ne_u64_e32 vcc, 0, v[12:13]
	s_and_saveexec_b64 s[2:3], vcc
	s_cbranch_execz .LBB69_39
; %bb.36:
	v_lshl_add_u64 v[10:11], v[10:11], 2, s[8:9]
	v_lshlrev_b32_e32 v12, 2, v12
	s_mov_b32 s16, 0xc0c0400
	s_mov_b32 s17, 0xc0c0100
	;; [unrolled: 1-line block ×6, first 2 shown]
	s_mov_b64 s[8:9], 0x400
	s_mov_b64 s[14:15], 0x100
.LBB69_37:                              ; =>This Inner Loop Header: Depth=1
	global_load_dword v1, v[10:11], off
	global_load_dwordx4 v[14:17], v[4:5], off
	v_lshl_add_u64 v[12:13], v[12:13], 0, -4
	v_cmp_eq_u64_e32 vcc, 0, v[12:13]
	v_lshl_add_u64 v[4:5], v[4:5], 0, s[8:9]
	v_lshl_add_u64 v[10:11], v[10:11], 0, s[14:15]
	s_or_b64 s[10:11], vcc, s[10:11]
	s_waitcnt vmcnt(1)
	v_subrev_u32_e32 v1, s12, v1
	v_lshlrev_b32_e32 v18, 2, v1
	v_ashrrev_i32_e32 v19, 31, v18
	s_waitcnt lgkmcnt(0)
	v_lshl_add_u64 v[18:19], s[4:5], 0, v[18:19]
	global_load_dword v1, v[18:19], off
	s_waitcnt vmcnt(1)
	v_lshrrev_b32_e32 v3, 8, v16
	v_lshrrev_b32_e32 v18, 24, v16
	;; [unrolled: 1-line block ×3, first 2 shown]
	v_perm_b32 v20, v15, v14, s16
	v_perm_b32 v21, v15, v14, s18
	;; [unrolled: 1-line block ×4, first 2 shown]
	v_bfe_i32 v15, v16, 0, 8
	v_bfe_i32 v3, v3, 0, 8
	;; [unrolled: 1-line block ×4, first 2 shown]
	v_perm_b32 v3, v3, v15, s21
	v_perm_b32 v15, v18, v16, s21
	s_waitcnt vmcnt(0)
	v_lshrrev_b32_e32 v16, 16, v1
	v_perm_b32 v18, v1, v1, s17
	v_dot4c_i32_i8_e32 v7, v18, v14
	v_bfe_i32 v14, v16, 0, 8
	v_pk_mul_lo_u16 v3, v14, v3 op_sel_hi:[0,1]
	v_pk_mul_lo_u16 v14, v14, v15 op_sel_hi:[0,1]
	v_mul_i32_i24_sdwa v19, sext(v1), sext(v17) dst_sel:DWORD dst_unused:UNUSED_PAD src0_sel:BYTE_3 src1_sel:BYTE_0
	v_mul_i32_i24_sdwa v23, sext(v1), sext(v17) dst_sel:DWORD dst_unused:UNUSED_PAD src0_sel:BYTE_3 src1_sel:BYTE_1
	v_mul_i32_i24_sdwa v24, sext(v1), sext(v17) dst_sel:DWORD dst_unused:UNUSED_PAD src0_sel:BYTE_3 src1_sel:BYTE_2
	v_mul_i32_i24_sdwa v1, sext(v1), sext(v17) dst_sel:DWORD dst_unused:UNUSED_PAD src0_sel:BYTE_3 src1_sel:BYTE_3
	v_dot4c_i32_i8_e32 v8, v18, v20
	v_dot4c_i32_i8_e32 v9, v18, v21
	;; [unrolled: 1-line block ×3, first 2 shown]
	v_bfe_i32 v15, v3, 0, 16
	v_ashrrev_i32_e32 v3, 16, v3
	v_bfe_i32 v16, v14, 0, 16
	v_ashrrev_i32_e32 v14, 16, v14
	v_add3_u32 v9, v9, v3, v23
	v_add3_u32 v8, v8, v15, v19
	;; [unrolled: 1-line block ×4, first 2 shown]
	s_andn2_b64 exec, exec, s[10:11]
	s_cbranch_execnz .LBB69_37
; %bb.38:
	s_or_b64 exec, exec, s[10:11]
	v_mov_b32_e32 v1, v7
.LBB69_39:
	s_or_b64 exec, exec, s[2:3]
.LBB69_40:
	s_or_b64 exec, exec, s[6:7]
.LBB69_41:
	v_mov_b32_dpp v3, v8 row_shr:1 row_mask:0xf bank_mask:0xf
	v_mov_b32_dpp v4, v9 row_shr:1 row_mask:0xf bank_mask:0xf
	v_add_u32_e32 v4, v4, v9
	v_add_u32_e32 v3, v3, v8
	v_mov_b32_dpp v8, v6 row_shr:1 row_mask:0xf bank_mask:0xf
	v_mov_b32_dpp v9, v1 row_shr:1 row_mask:0xf bank_mask:0xf
	v_add_u32_e32 v1, v9, v1
	v_add_u32_e32 v6, v8, v6
	v_mov_b32_dpp v5, v3 row_shr:2 row_mask:0xf bank_mask:0xf
	v_mov_b32_dpp v7, v4 row_shr:2 row_mask:0xf bank_mask:0xf
	v_mov_b32_dpp v8, v6 row_shr:2 row_mask:0xf bank_mask:0xf
	v_mov_b32_dpp v9, v1 row_shr:2 row_mask:0xf bank_mask:0xf
	v_add_u32_e32 v4, v4, v7
	v_add_u32_e32 v3, v3, v5
	v_add_u32_e32 v1, v1, v9
	v_add_u32_e32 v6, v6, v8
	v_mov_b32_dpp v5, v3 row_shr:4 row_mask:0xf bank_mask:0xe
	v_mov_b32_dpp v7, v4 row_shr:4 row_mask:0xf bank_mask:0xe
	v_mov_b32_dpp v8, v6 row_shr:4 row_mask:0xf bank_mask:0xe
	v_mov_b32_dpp v9, v1 row_shr:4 row_mask:0xf bank_mask:0xe
	v_add_u32_e32 v4, v4, v7
	v_add_u32_e32 v3, v3, v5
	;; [unrolled: 8-line block ×3, first 2 shown]
	v_add_u32_e32 v1, v1, v9
	v_add_u32_e32 v6, v6, v8
	v_mov_b32_dpp v7, v5 row_bcast:15 row_mask:0xa bank_mask:0xf
	v_mov_b32_dpp v3, v4 row_bcast:15 row_mask:0xa bank_mask:0xf
	;; [unrolled: 1-line block ×4, first 2 shown]
	v_add_u32_e32 v3, v4, v3
	v_add_u32_e32 v4, v5, v7
	;; [unrolled: 1-line block ×4, first 2 shown]
	v_mov_b32_dpp v5, v4 row_bcast:31 row_mask:0xc bank_mask:0xf
	v_mov_b32_dpp v7, v3 row_bcast:31 row_mask:0xc bank_mask:0xf
	;; [unrolled: 1-line block ×4, first 2 shown]
	v_cmp_eq_u32_e32 vcc, 63, v0
	s_and_b64 exec, exec, vcc
	s_cbranch_execz .LBB69_14
; %bb.42:
	s_load_dwordx2 s[0:1], s[0:1], 0x50
	v_add_u32_e32 v3, v3, v7
	v_add_u32_e32 v0, v4, v5
	;; [unrolled: 1-line block ×4, first 2 shown]
	s_cmp_eq_u32 s22, 0
	v_lshlrev_b32_e32 v4, 2, v2
	v_mul_lo_u32 v0, v0, s13
	v_mul_lo_u32 v8, v3, s13
	;; [unrolled: 1-line block ×4, first 2 shown]
	s_cbranch_scc1 .LBB69_44
; %bb.43:
	v_ashrrev_i32_e32 v5, 31, v4
	s_waitcnt lgkmcnt(0)
	v_lshl_add_u64 v[14:15], v[4:5], 2, s[0:1]
	global_load_dwordx4 v[10:13], v[14:15], off
	s_waitcnt vmcnt(0)
	v_mad_u64_u32 v[16:17], s[2:3], v11, s22, v[8:9]
	v_mad_u64_u32 v[10:11], s[2:3], v10, s22, v[0:1]
	;; [unrolled: 1-line block ×4, first 2 shown]
	v_mov_b32_e32 v11, v16
	v_mov_b32_e32 v13, v18
	global_store_dwordx4 v[14:15], v[10:13], off
	s_cbranch_execnz .LBB69_14
	s_branch .LBB69_45
.LBB69_44:
.LBB69_45:
	v_ashrrev_i32_e32 v5, 31, v4
	s_waitcnt lgkmcnt(0)
	v_lshl_add_u64 v[4:5], v[4:5], 2, s[0:1]
	v_mov_b32_e32 v1, v8
	v_mov_b32_e32 v3, v6
	global_store_dwordx4 v[4:5], v[0:3], off
	s_endpgm
	.section	.rodata,"a",@progbits
	.p2align	6, 0x0
	.amdhsa_kernel _ZN9rocsparseL18bsrxmvn_4x4_kernelILj128ELj64EiliaaiEEvT3_20rocsparse_direction_NS_24const_host_device_scalarIT1_EES1_PKS1_PKT2_SA_S7_PKT4_PKT5_S5_PT6_21rocsparse_index_base_b
		.amdhsa_group_segment_fixed_size 0
		.amdhsa_private_segment_fixed_size 0
		.amdhsa_kernarg_size 96
		.amdhsa_user_sgpr_count 2
		.amdhsa_user_sgpr_dispatch_ptr 0
		.amdhsa_user_sgpr_queue_ptr 0
		.amdhsa_user_sgpr_kernarg_segment_ptr 1
		.amdhsa_user_sgpr_dispatch_id 0
		.amdhsa_user_sgpr_kernarg_preload_length 0
		.amdhsa_user_sgpr_kernarg_preload_offset 0
		.amdhsa_user_sgpr_private_segment_size 0
		.amdhsa_uses_dynamic_stack 0
		.amdhsa_enable_private_segment 0
		.amdhsa_system_sgpr_workgroup_id_x 1
		.amdhsa_system_sgpr_workgroup_id_y 0
		.amdhsa_system_sgpr_workgroup_id_z 0
		.amdhsa_system_sgpr_workgroup_info 0
		.amdhsa_system_vgpr_workitem_id 0
		.amdhsa_next_free_vgpr 62
		.amdhsa_next_free_sgpr 41
		.amdhsa_accum_offset 64
		.amdhsa_reserve_vcc 1
		.amdhsa_float_round_mode_32 0
		.amdhsa_float_round_mode_16_64 0
		.amdhsa_float_denorm_mode_32 3
		.amdhsa_float_denorm_mode_16_64 3
		.amdhsa_dx10_clamp 1
		.amdhsa_ieee_mode 1
		.amdhsa_fp16_overflow 0
		.amdhsa_tg_split 0
		.amdhsa_exception_fp_ieee_invalid_op 0
		.amdhsa_exception_fp_denorm_src 0
		.amdhsa_exception_fp_ieee_div_zero 0
		.amdhsa_exception_fp_ieee_overflow 0
		.amdhsa_exception_fp_ieee_underflow 0
		.amdhsa_exception_fp_ieee_inexact 0
		.amdhsa_exception_int_div_zero 0
	.end_amdhsa_kernel
	.section	.text._ZN9rocsparseL18bsrxmvn_4x4_kernelILj128ELj64EiliaaiEEvT3_20rocsparse_direction_NS_24const_host_device_scalarIT1_EES1_PKS1_PKT2_SA_S7_PKT4_PKT5_S5_PT6_21rocsparse_index_base_b,"axG",@progbits,_ZN9rocsparseL18bsrxmvn_4x4_kernelILj128ELj64EiliaaiEEvT3_20rocsparse_direction_NS_24const_host_device_scalarIT1_EES1_PKS1_PKT2_SA_S7_PKT4_PKT5_S5_PT6_21rocsparse_index_base_b,comdat
.Lfunc_end69:
	.size	_ZN9rocsparseL18bsrxmvn_4x4_kernelILj128ELj64EiliaaiEEvT3_20rocsparse_direction_NS_24const_host_device_scalarIT1_EES1_PKS1_PKT2_SA_S7_PKT4_PKT5_S5_PT6_21rocsparse_index_base_b, .Lfunc_end69-_ZN9rocsparseL18bsrxmvn_4x4_kernelILj128ELj64EiliaaiEEvT3_20rocsparse_direction_NS_24const_host_device_scalarIT1_EES1_PKS1_PKT2_SA_S7_PKT4_PKT5_S5_PT6_21rocsparse_index_base_b
                                        ; -- End function
	.set _ZN9rocsparseL18bsrxmvn_4x4_kernelILj128ELj64EiliaaiEEvT3_20rocsparse_direction_NS_24const_host_device_scalarIT1_EES1_PKS1_PKT2_SA_S7_PKT4_PKT5_S5_PT6_21rocsparse_index_base_b.num_vgpr, 62
	.set _ZN9rocsparseL18bsrxmvn_4x4_kernelILj128ELj64EiliaaiEEvT3_20rocsparse_direction_NS_24const_host_device_scalarIT1_EES1_PKS1_PKT2_SA_S7_PKT4_PKT5_S5_PT6_21rocsparse_index_base_b.num_agpr, 0
	.set _ZN9rocsparseL18bsrxmvn_4x4_kernelILj128ELj64EiliaaiEEvT3_20rocsparse_direction_NS_24const_host_device_scalarIT1_EES1_PKS1_PKT2_SA_S7_PKT4_PKT5_S5_PT6_21rocsparse_index_base_b.numbered_sgpr, 41
	.set _ZN9rocsparseL18bsrxmvn_4x4_kernelILj128ELj64EiliaaiEEvT3_20rocsparse_direction_NS_24const_host_device_scalarIT1_EES1_PKS1_PKT2_SA_S7_PKT4_PKT5_S5_PT6_21rocsparse_index_base_b.num_named_barrier, 0
	.set _ZN9rocsparseL18bsrxmvn_4x4_kernelILj128ELj64EiliaaiEEvT3_20rocsparse_direction_NS_24const_host_device_scalarIT1_EES1_PKS1_PKT2_SA_S7_PKT4_PKT5_S5_PT6_21rocsparse_index_base_b.private_seg_size, 0
	.set _ZN9rocsparseL18bsrxmvn_4x4_kernelILj128ELj64EiliaaiEEvT3_20rocsparse_direction_NS_24const_host_device_scalarIT1_EES1_PKS1_PKT2_SA_S7_PKT4_PKT5_S5_PT6_21rocsparse_index_base_b.uses_vcc, 1
	.set _ZN9rocsparseL18bsrxmvn_4x4_kernelILj128ELj64EiliaaiEEvT3_20rocsparse_direction_NS_24const_host_device_scalarIT1_EES1_PKS1_PKT2_SA_S7_PKT4_PKT5_S5_PT6_21rocsparse_index_base_b.uses_flat_scratch, 0
	.set _ZN9rocsparseL18bsrxmvn_4x4_kernelILj128ELj64EiliaaiEEvT3_20rocsparse_direction_NS_24const_host_device_scalarIT1_EES1_PKS1_PKT2_SA_S7_PKT4_PKT5_S5_PT6_21rocsparse_index_base_b.has_dyn_sized_stack, 0
	.set _ZN9rocsparseL18bsrxmvn_4x4_kernelILj128ELj64EiliaaiEEvT3_20rocsparse_direction_NS_24const_host_device_scalarIT1_EES1_PKS1_PKT2_SA_S7_PKT4_PKT5_S5_PT6_21rocsparse_index_base_b.has_recursion, 0
	.set _ZN9rocsparseL18bsrxmvn_4x4_kernelILj128ELj64EiliaaiEEvT3_20rocsparse_direction_NS_24const_host_device_scalarIT1_EES1_PKS1_PKT2_SA_S7_PKT4_PKT5_S5_PT6_21rocsparse_index_base_b.has_indirect_call, 0
	.section	.AMDGPU.csdata,"",@progbits
; Kernel info:
; codeLenInByte = 3736
; TotalNumSgprs: 47
; NumVgprs: 62
; NumAgprs: 0
; TotalNumVgprs: 62
; ScratchSize: 0
; MemoryBound: 0
; FloatMode: 240
; IeeeMode: 1
; LDSByteSize: 0 bytes/workgroup (compile time only)
; SGPRBlocks: 5
; VGPRBlocks: 7
; NumSGPRsForWavesPerEU: 47
; NumVGPRsForWavesPerEU: 62
; AccumOffset: 64
; Occupancy: 8
; WaveLimiterHint : 1
; COMPUTE_PGM_RSRC2:SCRATCH_EN: 0
; COMPUTE_PGM_RSRC2:USER_SGPR: 2
; COMPUTE_PGM_RSRC2:TRAP_HANDLER: 0
; COMPUTE_PGM_RSRC2:TGID_X_EN: 1
; COMPUTE_PGM_RSRC2:TGID_Y_EN: 0
; COMPUTE_PGM_RSRC2:TGID_Z_EN: 0
; COMPUTE_PGM_RSRC2:TIDIG_COMP_CNT: 0
; COMPUTE_PGM_RSRC3_GFX90A:ACCUM_OFFSET: 15
; COMPUTE_PGM_RSRC3_GFX90A:TG_SPLIT: 0
	.section	.text._ZN9rocsparseL18bsrxmvn_4x4_kernelILj128ELj4EillaaiEEvT3_20rocsparse_direction_NS_24const_host_device_scalarIT1_EES1_PKS1_PKT2_SA_S7_PKT4_PKT5_S5_PT6_21rocsparse_index_base_b,"axG",@progbits,_ZN9rocsparseL18bsrxmvn_4x4_kernelILj128ELj4EillaaiEEvT3_20rocsparse_direction_NS_24const_host_device_scalarIT1_EES1_PKS1_PKT2_SA_S7_PKT4_PKT5_S5_PT6_21rocsparse_index_base_b,comdat
	.globl	_ZN9rocsparseL18bsrxmvn_4x4_kernelILj128ELj4EillaaiEEvT3_20rocsparse_direction_NS_24const_host_device_scalarIT1_EES1_PKS1_PKT2_SA_S7_PKT4_PKT5_S5_PT6_21rocsparse_index_base_b ; -- Begin function _ZN9rocsparseL18bsrxmvn_4x4_kernelILj128ELj4EillaaiEEvT3_20rocsparse_direction_NS_24const_host_device_scalarIT1_EES1_PKS1_PKT2_SA_S7_PKT4_PKT5_S5_PT6_21rocsparse_index_base_b
	.p2align	8
	.type	_ZN9rocsparseL18bsrxmvn_4x4_kernelILj128ELj4EillaaiEEvT3_20rocsparse_direction_NS_24const_host_device_scalarIT1_EES1_PKS1_PKT2_SA_S7_PKT4_PKT5_S5_PT6_21rocsparse_index_base_b,@function
_ZN9rocsparseL18bsrxmvn_4x4_kernelILj128ELj4EillaaiEEvT3_20rocsparse_direction_NS_24const_host_device_scalarIT1_EES1_PKS1_PKT2_SA_S7_PKT4_PKT5_S5_PT6_21rocsparse_index_base_b: ; @_ZN9rocsparseL18bsrxmvn_4x4_kernelILj128ELj4EillaaiEEvT3_20rocsparse_direction_NS_24const_host_device_scalarIT1_EES1_PKS1_PKT2_SA_S7_PKT4_PKT5_S5_PT6_21rocsparse_index_base_b
; %bb.0:
	s_load_dwordx2 s[8:9], s[0:1], 0x60
	s_load_dwordx4 s[4:7], s[0:1], 0x10
	s_mov_b64 s[14:15], -1
                                        ; implicit-def: $sgpr24
	s_waitcnt lgkmcnt(0)
	s_bitcmp1_b32 s9, 0
	s_cselect_b64 s[10:11], -1, 0
	s_xor_b64 s[12:13], s[10:11], -1
	s_and_b64 vcc, exec, s[12:13]
	s_cbranch_vccnz .LBB70_4
; %bb.1:
	s_load_dwordx2 s[10:11], s[0:1], 0x50
	s_andn2_b64 vcc, exec, s[14:15]
	s_cbranch_vccz .LBB70_5
.LBB70_2:
	s_and_b64 vcc, exec, s[12:13]
	s_cbranch_vccz .LBB70_6
.LBB70_3:
	s_waitcnt lgkmcnt(0)
	s_load_dword s25, s[10:11], 0x0
	s_cbranch_execz .LBB70_7
	s_branch .LBB70_8
.LBB70_4:
	s_load_dword s24, s[4:5], 0x0
	s_load_dwordx2 s[10:11], s[0:1], 0x50
	s_cbranch_execnz .LBB70_2
.LBB70_5:
	s_waitcnt lgkmcnt(0)
	s_mov_b32 s24, s4
	s_and_b64 vcc, exec, s[12:13]
	s_cbranch_vccnz .LBB70_3
.LBB70_6:
                                        ; implicit-def: $sgpr25
.LBB70_7:
	s_waitcnt lgkmcnt(0)
	s_mov_b32 s25, s10
.LBB70_8:
	s_waitcnt lgkmcnt(0)
	s_cmp_lg_u32 s24, 0
	s_cselect_b64 s[4:5], -1, 0
	s_cmp_lg_u32 s25, 1
	s_cselect_b64 s[10:11], -1, 0
	s_or_b64 s[4:5], s[4:5], s[10:11]
	s_andn2_b64 vcc, exec, s[4:5]
	s_cbranch_vccnz .LBB70_14
; %bb.9:
	s_load_dwordx2 s[4:5], s[0:1], 0x20
	v_lshrrev_b32_e32 v1, 2, v0
	v_lshl_or_b32 v6, s2, 5, v1
	v_mov_b32_e32 v7, 0
	s_mov_b64 s[2:3], 0
	s_waitcnt lgkmcnt(0)
	s_cmp_lg_u64 s[4:5], 0
	s_cbranch_scc0 .LBB70_15
; %bb.10:
	v_cmp_gt_i64_e32 vcc, s[6:7], v[6:7]
                                        ; implicit-def: $vgpr2_vgpr3
                                        ; implicit-def: $vgpr4_vgpr5
	s_and_saveexec_b64 s[6:7], vcc
	s_xor_b64 s[6:7], exec, s[6:7]
	s_cbranch_execz .LBB70_12
; %bb.11:
	v_lshl_add_u64 v[2:3], v[6:7], 3, s[4:5]
	global_load_dwordx2 v[2:3], v[2:3], off
	s_mov_b32 s9, 0
	s_mov_b64 s[2:3], exec
	v_mov_b64_e32 v[4:5], s[8:9]
	s_waitcnt vmcnt(0)
	v_subrev_co_u32_e32 v2, vcc, s8, v2
	s_nop 1
	v_subbrev_co_u32_e32 v3, vcc, 0, v3, vcc
.LBB70_12:
	s_or_b64 exec, exec, s[6:7]
.LBB70_13:
	s_and_saveexec_b64 s[4:5], s[2:3]
	s_cbranch_execnz .LBB70_19
.LBB70_14:
	s_endpgm
.LBB70_15:
                                        ; implicit-def: $vgpr2_vgpr3
                                        ; implicit-def: $vgpr4_vgpr5
	s_cbranch_execz .LBB70_13
; %bb.16:
	s_load_dwordx2 s[4:5], s[0:1], 0x0
	s_waitcnt lgkmcnt(0)
	v_cmp_gt_i64_e32 vcc, s[4:5], v[6:7]
	s_and_saveexec_b64 s[4:5], vcc
; %bb.17:
	s_mov_b32 s9, 0
	s_or_b64 s[2:3], s[2:3], exec
; %bb.18:
	s_or_b64 exec, exec, s[4:5]
	v_mov_b64_e32 v[4:5], s[8:9]
	v_mov_b64_e32 v[2:3], v[6:7]
	s_and_saveexec_b64 s[4:5], s[2:3]
	s_cbranch_execz .LBB70_14
.LBB70_19:
	s_load_dwordx8 s[8:15], s[0:1], 0x28
	v_lshlrev_b64 v[6:7], 3, v[2:3]
	s_load_dword s2, s[0:1], 0x8
	v_and_b32_e32 v0, 3, v0
	v_mov_b32_e32 v1, 0
	s_waitcnt lgkmcnt(0)
	v_lshl_add_u64 v[8:9], s[8:9], 0, v[6:7]
	s_cmp_eq_u64 s[10:11], 0
	v_lshl_add_u64 v[6:7], s[10:11], 0, v[6:7]
	global_load_dwordx2 v[14:15], v[8:9], off
	v_lshl_add_u64 v[8:9], v[8:9], 0, 8
	s_cselect_b64 vcc, -1, 0
	v_cndmask_b32_e32 v7, v7, v9, vcc
	v_cndmask_b32_e32 v6, v6, v8, vcc
	global_load_dwordx2 v[6:7], v[6:7], off
	s_load_dwordx2 s[10:11], s[0:1], 0x48
	s_cmp_eq_u32 s2, 1
	s_waitcnt vmcnt(1)
	v_sub_co_u32_e32 v8, vcc, v14, v4
	s_nop 1
	v_subb_co_u32_e32 v9, vcc, v15, v5, vcc
	v_lshl_add_u64 v[10:11], v[8:9], 0, v[0:1]
	s_waitcnt vmcnt(0)
	v_sub_co_u32_e32 v16, vcc, v6, v4
	s_nop 1
	v_subb_co_u32_e32 v17, vcc, v7, v5, vcc
	v_lshl_add_u64 v[6:7], v[10:11], 4, s[14:15]
	v_cmp_lt_i64_e64 s[2:3], v[10:11], v[16:17]
	s_cbranch_scc1 .LBB70_31
; %bb.20:
	v_mov_b32_e32 v8, v1
	v_mov_b32_e32 v13, v1
	;; [unrolled: 1-line block ×3, first 2 shown]
	s_and_saveexec_b64 s[14:15], s[2:3]
	s_cbranch_execz .LBB70_30
; %bb.21:
	v_or_b32_e32 v1, 4, v0
	v_sub_co_u32_e32 v8, vcc, v1, v4
	v_not_b32_e32 v13, v15
	s_nop 0
	v_subb_co_u32_e32 v9, vcc, 0, v5, vcc
	v_lshl_add_u64 v[8:9], v[8:9], 0, v[14:15]
	v_cmp_gt_i64_e32 vcc, v[8:9], v[16:17]
	v_not_b32_e32 v12, v14
	v_mov_b32_e32 v20, 0
	v_cndmask_b32_e32 v9, v17, v9, vcc
	v_cndmask_b32_e32 v8, v16, v8, vcc
	v_sub_co_u32_e32 v18, vcc, v4, v0
	v_mov_b32_e32 v21, v20
	s_nop 0
	v_subbrev_co_u32_e32 v19, vcc, 0, v5, vcc
	v_lshl_add_u64 v[12:13], v[18:19], 0, v[12:13]
	v_lshl_add_u64 v[8:9], v[12:13], 0, v[8:9]
	v_lshrrev_b64 v[12:13], 2, v[8:9]
	v_lshl_add_u64 v[22:23], v[12:13], 0, 1
	v_cmp_lt_u64_e32 vcc, 11, v[8:9]
	v_mov_b64_e32 v[8:9], v[20:21]
	v_mov_b64_e32 v[12:13], v[20:21]
	v_mov_b64_e32 v[24:25], v[10:11]
	v_mov_b64_e32 v[18:19], v[6:7]
	s_and_saveexec_b64 s[16:17], vcc
	s_cbranch_execz .LBB70_25
; %bb.22:
	v_lshl_add_u64 v[8:9], v[10:11], 3, s[12:13]
	v_and_b32_e32 v26, -4, v22
	v_mov_b32_e32 v27, v23
	v_lshl_add_u64 v[28:29], v[8:9], 0, 64
	s_mov_b64 s[18:19], 0
	s_mov_b32 s26, 0xc030201
	s_mov_b32 s27, 0x4030201
	;; [unrolled: 1-line block ×8, first 2 shown]
	s_mov_b64 s[20:21], 0x100
	s_mov_b64 s[22:23], 0x80
	v_mov_b64_e32 v[18:19], v[6:7]
	v_mov_b64_e32 v[24:25], v[10:11]
	v_mov_b32_e32 v8, 0
	v_mov_b32_e32 v13, 0
	v_mov_b32_e32 v12, 0
.LBB70_23:                              ; =>This Inner Loop Header: Depth=1
	global_load_dwordx2 v[46:47], v[28:29], off offset:-64
	global_load_dwordx2 v[48:49], v[28:29], off offset:-32
	global_load_dwordx2 v[50:51], v[28:29], off
	global_load_dwordx2 v[52:53], v[28:29], off offset:32
	global_load_dwordx4 v[30:33], v[18:19], off
	global_load_dwordx4 v[34:37], v[18:19], off offset:64
	global_load_dwordx4 v[38:41], v[18:19], off offset:128
	;; [unrolled: 1-line block ×3, first 2 shown]
	v_lshl_add_u64 v[26:27], v[26:27], 0, -4
	v_lshl_add_u64 v[18:19], v[18:19], 0, s[20:21]
	v_lshl_add_u64 v[24:25], v[24:25], 0, 16
	;; [unrolled: 1-line block ×3, first 2 shown]
	s_waitcnt vmcnt(7)
	v_sub_co_u32_e32 v46, vcc, v46, v4
	s_waitcnt vmcnt(6)
	v_sub_co_u32_e64 v48, s[4:5], v48, v4
	s_waitcnt vmcnt(5)
	v_sub_co_u32_e64 v50, s[6:7], v50, v4
	;; [unrolled: 2-line block ×3, first 2 shown]
	v_subb_co_u32_e32 v47, vcc, v47, v5, vcc
	v_subb_co_u32_e64 v49, vcc, v49, v5, s[4:5]
	v_subb_co_u32_e64 v51, vcc, v51, v5, s[6:7]
	;; [unrolled: 1-line block ×3, first 2 shown]
	s_waitcnt lgkmcnt(0)
	v_lshl_add_u64 v[46:47], v[46:47], 2, s[10:11]
	v_lshl_add_u64 v[48:49], v[48:49], 2, s[10:11]
	;; [unrolled: 1-line block ×4, first 2 shown]
	global_load_dword v1, v[46:47], off
	global_load_dword v9, v[48:49], off
	;; [unrolled: 1-line block ×4, first 2 shown]
	s_waitcnt vmcnt(6)
	v_lshrrev_b16_e32 v46, 8, v37
	v_bfe_i32 v47, v34, 0, 8
	s_waitcnt vmcnt(5)
	v_perm_b32 v51, v41, v33, s30
	v_perm_b32 v34, v34, v34, s26
	;; [unrolled: 1-line block ×3, first 2 shown]
	v_bfe_i32 v48, v38, 0, 8
	v_perm_b32 v53, v41, v33, s33
	v_perm_b32 v33, v41, v33, s34
	s_waitcnt vmcnt(4)
	v_perm_b32 v38, v42, v38, s27
	v_bfe_i32 v50, v45, 8, 8
	v_ashrrev_i32_e32 v49, 24, v42
	v_perm_b32 v42, v42, v42, s28
	v_cmp_eq_u64_e32 vcc, 0, v[26:27]
	v_perm_b32 v43, v43, v43, s29
	s_or_b64 s[18:19], vcc, s[18:19]
	s_waitcnt vmcnt(3)
	v_dot4c_i32_i8_e32 v12, v1, v30
	v_dot4c_i32_i8_e32 v13, v1, v31
	s_waitcnt vmcnt(2)
	v_lshrrev_b16_e32 v30, 8, v9
	v_bfe_i32 v31, v9, 0, 8
	v_mul_i32_i24_sdwa v54, sext(v37), sext(v9) dst_sel:DWORD dst_unused:UNUSED_PAD src0_sel:BYTE_3 src1_sel:BYTE_3
	s_waitcnt vmcnt(1)
	v_perm_b32 v58, v21, v1, s30
	v_dot4c_i32_i8_e32 v8, v1, v32
	v_perm_b32 v32, v9, v9, s26
	v_dot4c_i32_i8_e32 v54, v51, v58
	v_perm_b32 v58, v21, v1, s31
	v_mad_i32_i24 v12, v31, v47, v12
	v_mul_i32_i24_sdwa v30, sext(v46), sext(v30) dst_sel:DWORD dst_unused:UNUSED_PAD src0_sel:BYTE_0 src1_sel:BYTE_0
	v_mul_i32_i24_sdwa v41, sext(v37), sext(v9) dst_sel:DWORD dst_unused:UNUSED_PAD src0_sel:BYTE_2 src1_sel:BYTE_2
	v_bfe_i32 v55, v21, 0, 8
	v_dot4c_i32_i8_e32 v13, v9, v35
	v_mul_i32_i24_sdwa v35, sext(v37), v31 dst_sel:DWORD dst_unused:UNUSED_PAD src0_sel:BYTE_0 src1_sel:DWORD
	v_perm_b32 v31, v21, v1, s33
	v_perm_b32 v1, v21, v1, s34
	v_dot4c_i32_i8_e32 v12, v32, v34
	v_dot4c_i32_i8_e32 v30, v52, v58
	s_waitcnt vmcnt(0)
	v_bfe_i32 v57, v23, 8, 8
	v_dot4c_i32_i8_e32 v8, v9, v36
	v_perm_b32 v9, v23, v21, s27
	v_mul_i32_i24_sdwa v51, sext(v45), sext(v23) dst_sel:DWORD dst_unused:UNUSED_PAD src0_sel:BYTE_2 src1_sel:BYTE_2
	v_dot4c_i32_i8_e32 v41, v53, v31
	v_dot4c_i32_i8_e32 v35, v33, v1
	v_mad_i32_i24 v1, v55, v48, v12
	v_add_u32_e32 v12, v30, v54
	v_ashrrev_i32_e32 v56, 24, v23
	v_perm_b32 v36, v23, v23, s28
	v_mul_i32_i24_sdwa v37, sext(v23), sext(v45) dst_sel:DWORD dst_unused:UNUSED_PAD src0_sel:BYTE_0 src1_sel:BYTE_0
	v_mad_i32_i24 v31, v57, v50, v51
	v_dot4c_i32_i8_e32 v1, v9, v38
	v_add3_u32 v9, v35, v41, v12
	v_mul_i32_i24_sdwa v45, sext(v45), v56 dst_sel:DWORD dst_unused:UNUSED_PAD src0_sel:BYTE_3 src1_sel:DWORD
	v_dot4c_i32_i8_e32 v13, v21, v39
	v_dot4c_i32_i8_e32 v8, v21, v40
	;; [unrolled: 1-line block ×3, first 2 shown]
	v_add3_u32 v9, v9, v37, v31
	v_dot4c_i32_i8_e32 v13, v43, v23
	v_dot4c_i32_i8_e32 v8, v44, v23
	v_mad_i32_i24 v12, v56, v49, v1
	v_add3_u32 v20, v9, v20, v45
	s_andn2_b64 exec, exec, s[18:19]
	s_cbranch_execnz .LBB70_23
; %bb.24:
	s_or_b64 exec, exec, s[18:19]
	v_mov_b32_e32 v9, v20
.LBB70_25:
	s_or_b64 exec, exec, s[16:17]
	v_and_b32_e32 v22, 3, v22
	v_mov_b32_e32 v23, 0
	s_mov_b64 s[6:7], 0
	v_cmp_ne_u64_e32 vcc, 0, v[22:23]
	s_and_saveexec_b64 s[4:5], vcc
	s_cbranch_execz .LBB70_29
; %bb.26:
	v_lshl_add_u64 v[20:21], v[24:25], 3, s[12:13]
	v_lshlrev_b32_e32 v22, 1, v22
.LBB70_27:                              ; =>This Inner Loop Header: Depth=1
	global_load_dwordx2 v[28:29], v[20:21], off
	global_load_dwordx4 v[24:27], v[18:19], off
	v_lshl_add_u64 v[22:23], v[22:23], 0, -2
	v_lshl_add_u64 v[18:19], v[18:19], 0, 64
	v_lshl_add_u64 v[20:21], v[20:21], 0, 32
	s_waitcnt vmcnt(1)
	v_sub_co_u32_e32 v28, vcc, v28, v4
	s_nop 1
	v_subb_co_u32_e32 v29, vcc, v29, v5, vcc
	s_waitcnt lgkmcnt(0)
	v_lshl_add_u64 v[28:29], v[28:29], 2, s[10:11]
	global_load_dword v1, v[28:29], off
	v_cmp_eq_u64_e32 vcc, 0, v[22:23]
	s_or_b64 s[6:7], vcc, s[6:7]
	s_waitcnt vmcnt(0)
	v_dot4c_i32_i8_e32 v13, v1, v25
	v_dot4c_i32_i8_e32 v12, v1, v24
	;; [unrolled: 1-line block ×4, first 2 shown]
	s_andn2_b64 exec, exec, s[6:7]
	s_cbranch_execnz .LBB70_27
; %bb.28:
	s_or_b64 exec, exec, s[6:7]
	v_mov_b32_e32 v20, v9
.LBB70_29:
	s_or_b64 exec, exec, s[4:5]
	v_mov_b32_e32 v1, v20
.LBB70_30:
	s_or_b64 exec, exec, s[14:15]
	s_cbranch_execz .LBB70_32
	s_branch .LBB70_43
.LBB70_31:
                                        ; implicit-def: $vgpr8
                                        ; implicit-def: $vgpr13
.LBB70_32:
	v_mov_b32_e32 v1, 0
	v_mov_b32_e32 v8, 0
	;; [unrolled: 1-line block ×4, first 2 shown]
	s_and_saveexec_b64 s[4:5], s[2:3]
	s_cbranch_execz .LBB70_42
; %bb.33:
	v_or_b32_e32 v1, 4, v0
	v_sub_co_u32_e32 v8, vcc, v1, v4
	v_not_b32_e32 v12, v14
	s_nop 0
	v_subb_co_u32_e32 v9, vcc, 0, v5, vcc
	v_lshl_add_u64 v[8:9], v[8:9], 0, v[14:15]
	v_cmp_gt_i64_e32 vcc, v[8:9], v[16:17]
	v_not_b32_e32 v13, v15
	s_nop 0
	v_cndmask_b32_e32 v9, v17, v9, vcc
	v_cndmask_b32_e32 v8, v16, v8, vcc
	v_sub_co_u32_e32 v14, vcc, v4, v0
	s_nop 1
	v_subbrev_co_u32_e32 v15, vcc, 0, v5, vcc
	v_lshl_add_u64 v[12:13], v[14:15], 0, v[12:13]
	v_lshl_add_u64 v[8:9], v[12:13], 0, v[8:9]
	v_lshrrev_b64 v[12:13], 2, v[8:9]
	v_cmp_lt_u64_e32 vcc, 11, v[8:9]
	v_mov_b32_e32 v8, 0
	v_mov_b32_e32 v9, v8
	v_lshl_add_u64 v[14:15], v[12:13], 0, 1
	v_mov_b64_e32 v[12:13], v[8:9]
	s_and_saveexec_b64 s[2:3], vcc
	s_cbranch_execz .LBB70_37
; %bb.34:
	v_lshl_add_u64 v[12:13], v[10:11], 3, s[12:13]
	v_and_b32_e32 v16, -4, v14
	v_mov_b32_e32 v17, v15
	v_lshl_add_u64 v[18:19], v[12:13], 0, 64
	s_mov_b64 s[6:7], 0
	s_mov_b32 s16, 0xc05010c
	s_mov_b32 s17, 0xc0c0c01
	;; [unrolled: 1-line block ×19, first 2 shown]
	s_mov_b64 s[8:9], 0x100
	s_mov_b64 s[14:15], 0x80
	v_mov_b32_e32 v1, 0
	v_mov_b32_e32 v12, 0
	;; [unrolled: 1-line block ×3, first 2 shown]
.LBB70_35:                              ; =>This Inner Loop Header: Depth=1
	global_load_dwordx2 v[36:37], v[18:19], off offset:-64
	global_load_dwordx2 v[38:39], v[18:19], off offset:-32
	global_load_dwordx2 v[40:41], v[18:19], off
	global_load_dwordx2 v[42:43], v[18:19], off offset:32
	global_load_dwordx4 v[20:23], v[6:7], off
	global_load_dwordx4 v[24:27], v[6:7], off offset:64
	global_load_dwordx4 v[28:31], v[6:7], off offset:128
	global_load_dwordx4 v[32:35], v[6:7], off offset:192
	v_lshl_add_u64 v[16:17], v[16:17], 0, -4
	v_cmp_eq_u64_e32 vcc, 0, v[16:17]
	s_or_b64 s[6:7], vcc, s[6:7]
	v_lshl_add_u64 v[6:7], v[6:7], 0, s[8:9]
	v_lshl_add_u64 v[10:11], v[10:11], 0, 16
	;; [unrolled: 1-line block ×3, first 2 shown]
	s_waitcnt vmcnt(7)
	v_sub_co_u32_e32 v36, vcc, v36, v4
	s_nop 1
	v_subb_co_u32_e32 v37, vcc, v37, v5, vcc
	s_waitcnt vmcnt(6)
	v_sub_co_u32_e32 v38, vcc, v38, v4
	s_waitcnt lgkmcnt(0)
	v_lshl_add_u64 v[36:37], v[36:37], 2, s[10:11]
	v_subb_co_u32_e32 v39, vcc, v39, v5, vcc
	s_waitcnt vmcnt(5)
	v_sub_co_u32_e32 v40, vcc, v40, v4
	v_lshl_add_u64 v[38:39], v[38:39], 2, s[10:11]
	s_nop 0
	v_subb_co_u32_e32 v41, vcc, v41, v5, vcc
	s_waitcnt vmcnt(4)
	v_sub_co_u32_e32 v42, vcc, v42, v4
	v_lshl_add_u64 v[40:41], v[40:41], 2, s[10:11]
	s_nop 0
	v_subb_co_u32_e32 v43, vcc, v43, v5, vcc
	v_lshl_add_u64 v[42:43], v[42:43], 2, s[10:11]
	global_load_dword v44, v[36:37], off
	global_load_dword v45, v[42:43], off
	;; [unrolled: 1-line block ×4, first 2 shown]
	s_waitcnt vmcnt(7)
	v_perm_b32 v9, v22, v21, s16
	v_perm_b32 v36, v22, v21, s19
	v_perm_b32 v38, v22, v21, s21
	v_perm_b32 v21, v22, v21, s23
	s_waitcnt vmcnt(6)
	v_perm_b32 v22, v24, v23, s27
	v_perm_b32 v40, v26, v25, s28
	v_perm_b32 v41, v24, v23, s30
	v_perm_b32 v42, v26, v25, s31
	;; [unrolled: 5-line block ×3, first 2 shown]
	s_waitcnt vmcnt(4)
	v_lshrrev_b32_e32 v52, 24, v35
	v_lshrrev_b32_e32 v53, 16, v35
	v_perm_b32 v54, v32, v31, s27
	v_perm_b32 v55, v34, v33, s28
	;; [unrolled: 1-line block ×20, first 2 shown]
	v_or_b32_e32 v23, v25, v23
	v_or_b32_e32 v25, v28, v26
	;; [unrolled: 1-line block ×5, first 2 shown]
	v_bfe_i32 v30, v53, 0, 8
	v_bfe_i32 v31, v52, 0, 8
	v_lshrrev_b32_e32 v51, 8, v35
	v_bfe_i32 v34, v35, 0, 8
	v_or_b32_e32 v9, v9, v15
	v_or_b32_e32 v15, v36, v37
	;; [unrolled: 1-line block ×4, first 2 shown]
	v_perm_b32 v30, v31, v30, s37
	v_or_b32_e32 v21, v40, v22
	v_or_b32_e32 v22, v42, v41
	;; [unrolled: 1-line block ×3, first 2 shown]
	v_bfe_i32 v29, v51, 0, 8
	v_or_b32_e32 v36, v48, v43
	v_or_b32_e32 v37, v50, v49
	v_perm_b32 v29, v29, v34, s37
	v_or_b32_e32 v38, v55, v54
	v_or_b32_e32 v39, v57, v56
	s_waitcnt vmcnt(3)
	v_perm_b32 v31, v44, v44, s18
	v_dot4c_i32_i8_e32 v13, v31, v9
	s_waitcnt vmcnt(1)
	v_perm_b32 v33, v46, v44, s29
	v_dot4c_i32_i8_e32 v12, v31, v15
	v_dot4c_i32_i8_e32 v1, v31, v35
	;; [unrolled: 1-line block ×3, first 2 shown]
	v_lshrrev_b32_e32 v32, 24, v45
	s_waitcnt vmcnt(0)
	v_perm_b32 v34, v47, v46, s29
	v_dot4c_i32_i8_e32 v12, v33, v21
	v_dot4c_i32_i8_e32 v13, v33, v22
	;; [unrolled: 1-line block ×4, first 2 shown]
	v_perm_b32 v40, v45, v47, s29
	v_bfe_i32 v9, v32, 0, 8
	v_dot4c_i32_i8_e32 v13, v34, v36
	v_dot4c_i32_i8_e32 v12, v34, v37
	;; [unrolled: 1-line block ×4, first 2 shown]
	v_pk_mul_lo_u16 v15, v9, v29 op_sel_hi:[0,1]
	v_pk_mul_lo_u16 v9, v9, v30 op_sel_hi:[0,1]
	v_dot4c_i32_i8_e32 v12, v40, v38
	v_dot4c_i32_i8_e32 v13, v40, v39
	;; [unrolled: 1-line block ×4, first 2 shown]
	v_add_u32_sdwa v12, v12, sext(v15) dst_sel:DWORD dst_unused:UNUSED_PAD src0_sel:DWORD src1_sel:WORD_0
	v_add_u32_sdwa v13, v13, sext(v15) dst_sel:DWORD dst_unused:UNUSED_PAD src0_sel:DWORD src1_sel:WORD_1
	v_add_u32_sdwa v8, v8, sext(v9) dst_sel:DWORD dst_unused:UNUSED_PAD src0_sel:DWORD src1_sel:WORD_0
	v_add_u32_sdwa v1, v1, sext(v9) dst_sel:DWORD dst_unused:UNUSED_PAD src0_sel:DWORD src1_sel:WORD_1
	s_andn2_b64 exec, exec, s[6:7]
	s_cbranch_execnz .LBB70_35
; %bb.36:
	s_or_b64 exec, exec, s[6:7]
	v_mov_b32_e32 v9, v1
.LBB70_37:
	s_or_b64 exec, exec, s[2:3]
	v_and_b32_e32 v14, 3, v14
	v_mov_b32_e32 v15, 0
	s_mov_b64 s[6:7], 0
	v_cmp_ne_u64_e32 vcc, 0, v[14:15]
	s_and_saveexec_b64 s[2:3], vcc
	s_cbranch_execz .LBB70_41
; %bb.38:
	v_lshl_add_u64 v[10:11], v[10:11], 3, s[12:13]
	v_lshlrev_b32_e32 v14, 1, v14
	s_mov_b32 s8, 0xc0c0501
	s_mov_b32 s9, 0x5010c0c
	;; [unrolled: 1-line block ×8, first 2 shown]
.LBB70_39:                              ; =>This Inner Loop Header: Depth=1
	global_load_dwordx2 v[20:21], v[10:11], off
	global_load_dwordx4 v[16:19], v[6:7], off
	v_lshl_add_u64 v[14:15], v[14:15], 0, -2
	v_lshl_add_u64 v[6:7], v[6:7], 0, 64
	v_lshl_add_u64 v[10:11], v[10:11], 0, 32
	s_waitcnt vmcnt(1)
	v_sub_co_u32_e32 v20, vcc, v20, v4
	s_nop 1
	v_subb_co_u32_e32 v21, vcc, v21, v5, vcc
	s_waitcnt lgkmcnt(0)
	v_lshl_add_u64 v[20:21], v[20:21], 2, s[10:11]
	global_load_dword v1, v[20:21], off
	s_waitcnt vmcnt(1)
	v_perm_b32 v20, v17, v16, s8
	v_perm_b32 v21, v19, v18, s9
	;; [unrolled: 1-line block ×8, first 2 shown]
	v_cmp_eq_u64_e32 vcc, 0, v[14:15]
	v_or_b32_e32 v18, v21, v20
	v_or_b32_e32 v19, v23, v22
	;; [unrolled: 1-line block ×4, first 2 shown]
	s_or_b64 s[6:7], vcc, s[6:7]
	s_waitcnt vmcnt(0)
	v_dot4c_i32_i8_e32 v13, v1, v18
	v_dot4c_i32_i8_e32 v12, v1, v19
	;; [unrolled: 1-line block ×4, first 2 shown]
	s_andn2_b64 exec, exec, s[6:7]
	s_cbranch_execnz .LBB70_39
; %bb.40:
	s_or_b64 exec, exec, s[6:7]
	v_mov_b32_e32 v1, v9
.LBB70_41:
	s_or_b64 exec, exec, s[2:3]
.LBB70_42:
	s_or_b64 exec, exec, s[4:5]
.LBB70_43:
	v_mov_b32_dpp v5, v12 row_shr:1 row_mask:0xf bank_mask:0xf
	v_mov_b32_dpp v4, v13 row_shr:1 row_mask:0xf bank_mask:0xf
	;; [unrolled: 1-line block ×4, first 2 shown]
	v_add_u32_e32 v4, v4, v13
	v_add_u32_e32 v5, v5, v12
	;; [unrolled: 1-line block ×4, first 2 shown]
	v_mov_b32_dpp v6, v5 row_shr:2 row_mask:0xf bank_mask:0xf
	v_mov_b32_dpp v7, v4 row_shr:2 row_mask:0xf bank_mask:0xf
	;; [unrolled: 1-line block ×4, first 2 shown]
	v_cmp_eq_u32_e32 vcc, 3, v0
	s_and_b64 exec, exec, vcc
	s_cbranch_execz .LBB70_14
; %bb.44:
	s_load_dwordx2 s[0:1], s[0:1], 0x58
	v_add_u32_e32 v7, v4, v7
	v_add_u32_e32 v0, v5, v6
	v_add_u32_e32 v1, v1, v10
	v_add_u32_e32 v6, v8, v9
	s_cmp_eq_u32 s25, 0
	s_waitcnt lgkmcnt(0)
	v_lshl_add_u64 v[4:5], v[2:3], 4, s[0:1]
	v_mul_lo_u32 v0, v0, s24
	v_mul_lo_u32 v8, v7, s24
	;; [unrolled: 1-line block ×4, first 2 shown]
	s_cbranch_scc1 .LBB70_46
; %bb.45:
	global_load_dwordx4 v[10:13], v[4:5], off
	s_waitcnt vmcnt(0)
	v_mad_u64_u32 v[14:15], s[0:1], v11, s25, v[8:9]
	v_mad_u64_u32 v[10:11], s[0:1], v10, s25, v[0:1]
	;; [unrolled: 1-line block ×4, first 2 shown]
	v_mov_b32_e32 v11, v14
	v_mov_b32_e32 v13, v16
	global_store_dwordx4 v[4:5], v[10:13], off
	s_cbranch_execnz .LBB70_14
	s_branch .LBB70_47
.LBB70_46:
.LBB70_47:
	v_mov_b32_e32 v1, v8
	v_mov_b32_e32 v3, v6
	global_store_dwordx4 v[4:5], v[0:3], off
	s_endpgm
	.section	.rodata,"a",@progbits
	.p2align	6, 0x0
	.amdhsa_kernel _ZN9rocsparseL18bsrxmvn_4x4_kernelILj128ELj4EillaaiEEvT3_20rocsparse_direction_NS_24const_host_device_scalarIT1_EES1_PKS1_PKT2_SA_S7_PKT4_PKT5_S5_PT6_21rocsparse_index_base_b
		.amdhsa_group_segment_fixed_size 0
		.amdhsa_private_segment_fixed_size 0
		.amdhsa_kernarg_size 104
		.amdhsa_user_sgpr_count 2
		.amdhsa_user_sgpr_dispatch_ptr 0
		.amdhsa_user_sgpr_queue_ptr 0
		.amdhsa_user_sgpr_kernarg_segment_ptr 1
		.amdhsa_user_sgpr_dispatch_id 0
		.amdhsa_user_sgpr_kernarg_preload_length 0
		.amdhsa_user_sgpr_kernarg_preload_offset 0
		.amdhsa_user_sgpr_private_segment_size 0
		.amdhsa_uses_dynamic_stack 0
		.amdhsa_enable_private_segment 0
		.amdhsa_system_sgpr_workgroup_id_x 1
		.amdhsa_system_sgpr_workgroup_id_y 0
		.amdhsa_system_sgpr_workgroup_id_z 0
		.amdhsa_system_sgpr_workgroup_info 0
		.amdhsa_system_vgpr_workitem_id 0
		.amdhsa_next_free_vgpr 59
		.amdhsa_next_free_sgpr 38
		.amdhsa_accum_offset 60
		.amdhsa_reserve_vcc 1
		.amdhsa_float_round_mode_32 0
		.amdhsa_float_round_mode_16_64 0
		.amdhsa_float_denorm_mode_32 3
		.amdhsa_float_denorm_mode_16_64 3
		.amdhsa_dx10_clamp 1
		.amdhsa_ieee_mode 1
		.amdhsa_fp16_overflow 0
		.amdhsa_tg_split 0
		.amdhsa_exception_fp_ieee_invalid_op 0
		.amdhsa_exception_fp_denorm_src 0
		.amdhsa_exception_fp_ieee_div_zero 0
		.amdhsa_exception_fp_ieee_overflow 0
		.amdhsa_exception_fp_ieee_underflow 0
		.amdhsa_exception_fp_ieee_inexact 0
		.amdhsa_exception_int_div_zero 0
	.end_amdhsa_kernel
	.section	.text._ZN9rocsparseL18bsrxmvn_4x4_kernelILj128ELj4EillaaiEEvT3_20rocsparse_direction_NS_24const_host_device_scalarIT1_EES1_PKS1_PKT2_SA_S7_PKT4_PKT5_S5_PT6_21rocsparse_index_base_b,"axG",@progbits,_ZN9rocsparseL18bsrxmvn_4x4_kernelILj128ELj4EillaaiEEvT3_20rocsparse_direction_NS_24const_host_device_scalarIT1_EES1_PKS1_PKT2_SA_S7_PKT4_PKT5_S5_PT6_21rocsparse_index_base_b,comdat
.Lfunc_end70:
	.size	_ZN9rocsparseL18bsrxmvn_4x4_kernelILj128ELj4EillaaiEEvT3_20rocsparse_direction_NS_24const_host_device_scalarIT1_EES1_PKS1_PKT2_SA_S7_PKT4_PKT5_S5_PT6_21rocsparse_index_base_b, .Lfunc_end70-_ZN9rocsparseL18bsrxmvn_4x4_kernelILj128ELj4EillaaiEEvT3_20rocsparse_direction_NS_24const_host_device_scalarIT1_EES1_PKS1_PKT2_SA_S7_PKT4_PKT5_S5_PT6_21rocsparse_index_base_b
                                        ; -- End function
	.set _ZN9rocsparseL18bsrxmvn_4x4_kernelILj128ELj4EillaaiEEvT3_20rocsparse_direction_NS_24const_host_device_scalarIT1_EES1_PKS1_PKT2_SA_S7_PKT4_PKT5_S5_PT6_21rocsparse_index_base_b.num_vgpr, 59
	.set _ZN9rocsparseL18bsrxmvn_4x4_kernelILj128ELj4EillaaiEEvT3_20rocsparse_direction_NS_24const_host_device_scalarIT1_EES1_PKS1_PKT2_SA_S7_PKT4_PKT5_S5_PT6_21rocsparse_index_base_b.num_agpr, 0
	.set _ZN9rocsparseL18bsrxmvn_4x4_kernelILj128ELj4EillaaiEEvT3_20rocsparse_direction_NS_24const_host_device_scalarIT1_EES1_PKS1_PKT2_SA_S7_PKT4_PKT5_S5_PT6_21rocsparse_index_base_b.numbered_sgpr, 38
	.set _ZN9rocsparseL18bsrxmvn_4x4_kernelILj128ELj4EillaaiEEvT3_20rocsparse_direction_NS_24const_host_device_scalarIT1_EES1_PKS1_PKT2_SA_S7_PKT4_PKT5_S5_PT6_21rocsparse_index_base_b.num_named_barrier, 0
	.set _ZN9rocsparseL18bsrxmvn_4x4_kernelILj128ELj4EillaaiEEvT3_20rocsparse_direction_NS_24const_host_device_scalarIT1_EES1_PKS1_PKT2_SA_S7_PKT4_PKT5_S5_PT6_21rocsparse_index_base_b.private_seg_size, 0
	.set _ZN9rocsparseL18bsrxmvn_4x4_kernelILj128ELj4EillaaiEEvT3_20rocsparse_direction_NS_24const_host_device_scalarIT1_EES1_PKS1_PKT2_SA_S7_PKT4_PKT5_S5_PT6_21rocsparse_index_base_b.uses_vcc, 1
	.set _ZN9rocsparseL18bsrxmvn_4x4_kernelILj128ELj4EillaaiEEvT3_20rocsparse_direction_NS_24const_host_device_scalarIT1_EES1_PKS1_PKT2_SA_S7_PKT4_PKT5_S5_PT6_21rocsparse_index_base_b.uses_flat_scratch, 0
	.set _ZN9rocsparseL18bsrxmvn_4x4_kernelILj128ELj4EillaaiEEvT3_20rocsparse_direction_NS_24const_host_device_scalarIT1_EES1_PKS1_PKT2_SA_S7_PKT4_PKT5_S5_PT6_21rocsparse_index_base_b.has_dyn_sized_stack, 0
	.set _ZN9rocsparseL18bsrxmvn_4x4_kernelILj128ELj4EillaaiEEvT3_20rocsparse_direction_NS_24const_host_device_scalarIT1_EES1_PKS1_PKT2_SA_S7_PKT4_PKT5_S5_PT6_21rocsparse_index_base_b.has_recursion, 0
	.set _ZN9rocsparseL18bsrxmvn_4x4_kernelILj128ELj4EillaaiEEvT3_20rocsparse_direction_NS_24const_host_device_scalarIT1_EES1_PKS1_PKT2_SA_S7_PKT4_PKT5_S5_PT6_21rocsparse_index_base_b.has_indirect_call, 0
	.section	.AMDGPU.csdata,"",@progbits
; Kernel info:
; codeLenInByte = 3332
; TotalNumSgprs: 44
; NumVgprs: 59
; NumAgprs: 0
; TotalNumVgprs: 59
; ScratchSize: 0
; MemoryBound: 0
; FloatMode: 240
; IeeeMode: 1
; LDSByteSize: 0 bytes/workgroup (compile time only)
; SGPRBlocks: 5
; VGPRBlocks: 7
; NumSGPRsForWavesPerEU: 44
; NumVGPRsForWavesPerEU: 59
; AccumOffset: 60
; Occupancy: 8
; WaveLimiterHint : 1
; COMPUTE_PGM_RSRC2:SCRATCH_EN: 0
; COMPUTE_PGM_RSRC2:USER_SGPR: 2
; COMPUTE_PGM_RSRC2:TRAP_HANDLER: 0
; COMPUTE_PGM_RSRC2:TGID_X_EN: 1
; COMPUTE_PGM_RSRC2:TGID_Y_EN: 0
; COMPUTE_PGM_RSRC2:TGID_Z_EN: 0
; COMPUTE_PGM_RSRC2:TIDIG_COMP_CNT: 0
; COMPUTE_PGM_RSRC3_GFX90A:ACCUM_OFFSET: 14
; COMPUTE_PGM_RSRC3_GFX90A:TG_SPLIT: 0
	.section	.text._ZN9rocsparseL18bsrxmvn_4x4_kernelILj128ELj8EillaaiEEvT3_20rocsparse_direction_NS_24const_host_device_scalarIT1_EES1_PKS1_PKT2_SA_S7_PKT4_PKT5_S5_PT6_21rocsparse_index_base_b,"axG",@progbits,_ZN9rocsparseL18bsrxmvn_4x4_kernelILj128ELj8EillaaiEEvT3_20rocsparse_direction_NS_24const_host_device_scalarIT1_EES1_PKS1_PKT2_SA_S7_PKT4_PKT5_S5_PT6_21rocsparse_index_base_b,comdat
	.globl	_ZN9rocsparseL18bsrxmvn_4x4_kernelILj128ELj8EillaaiEEvT3_20rocsparse_direction_NS_24const_host_device_scalarIT1_EES1_PKS1_PKT2_SA_S7_PKT4_PKT5_S5_PT6_21rocsparse_index_base_b ; -- Begin function _ZN9rocsparseL18bsrxmvn_4x4_kernelILj128ELj8EillaaiEEvT3_20rocsparse_direction_NS_24const_host_device_scalarIT1_EES1_PKS1_PKT2_SA_S7_PKT4_PKT5_S5_PT6_21rocsparse_index_base_b
	.p2align	8
	.type	_ZN9rocsparseL18bsrxmvn_4x4_kernelILj128ELj8EillaaiEEvT3_20rocsparse_direction_NS_24const_host_device_scalarIT1_EES1_PKS1_PKT2_SA_S7_PKT4_PKT5_S5_PT6_21rocsparse_index_base_b,@function
_ZN9rocsparseL18bsrxmvn_4x4_kernelILj128ELj8EillaaiEEvT3_20rocsparse_direction_NS_24const_host_device_scalarIT1_EES1_PKS1_PKT2_SA_S7_PKT4_PKT5_S5_PT6_21rocsparse_index_base_b: ; @_ZN9rocsparseL18bsrxmvn_4x4_kernelILj128ELj8EillaaiEEvT3_20rocsparse_direction_NS_24const_host_device_scalarIT1_EES1_PKS1_PKT2_SA_S7_PKT4_PKT5_S5_PT6_21rocsparse_index_base_b
; %bb.0:
	s_load_dwordx2 s[8:9], s[0:1], 0x60
	s_load_dwordx4 s[4:7], s[0:1], 0x10
	s_mov_b64 s[14:15], -1
                                        ; implicit-def: $sgpr24
	s_waitcnt lgkmcnt(0)
	s_bitcmp1_b32 s9, 0
	s_cselect_b64 s[10:11], -1, 0
	s_xor_b64 s[12:13], s[10:11], -1
	s_and_b64 vcc, exec, s[12:13]
	s_cbranch_vccnz .LBB71_4
; %bb.1:
	s_load_dwordx2 s[10:11], s[0:1], 0x50
	s_andn2_b64 vcc, exec, s[14:15]
	s_cbranch_vccz .LBB71_5
.LBB71_2:
	s_and_b64 vcc, exec, s[12:13]
	s_cbranch_vccz .LBB71_6
.LBB71_3:
	s_waitcnt lgkmcnt(0)
	s_load_dword s25, s[10:11], 0x0
	s_cbranch_execz .LBB71_7
	s_branch .LBB71_8
.LBB71_4:
	s_load_dword s24, s[4:5], 0x0
	s_load_dwordx2 s[10:11], s[0:1], 0x50
	s_cbranch_execnz .LBB71_2
.LBB71_5:
	s_waitcnt lgkmcnt(0)
	s_mov_b32 s24, s4
	s_and_b64 vcc, exec, s[12:13]
	s_cbranch_vccnz .LBB71_3
.LBB71_6:
                                        ; implicit-def: $sgpr25
.LBB71_7:
	s_waitcnt lgkmcnt(0)
	s_mov_b32 s25, s10
.LBB71_8:
	s_waitcnt lgkmcnt(0)
	s_cmp_lg_u32 s24, 0
	s_cselect_b64 s[4:5], -1, 0
	s_cmp_lg_u32 s25, 1
	s_cselect_b64 s[10:11], -1, 0
	s_or_b64 s[4:5], s[4:5], s[10:11]
	s_andn2_b64 vcc, exec, s[4:5]
	s_cbranch_vccnz .LBB71_14
; %bb.9:
	s_load_dwordx2 s[4:5], s[0:1], 0x20
	v_lshrrev_b32_e32 v1, 3, v0
	v_lshl_or_b32 v6, s2, 4, v1
	v_mov_b32_e32 v7, 0
	s_mov_b64 s[2:3], 0
	s_waitcnt lgkmcnt(0)
	s_cmp_lg_u64 s[4:5], 0
	s_cbranch_scc0 .LBB71_15
; %bb.10:
	v_cmp_gt_i64_e32 vcc, s[6:7], v[6:7]
                                        ; implicit-def: $vgpr2_vgpr3
                                        ; implicit-def: $vgpr4_vgpr5
	s_and_saveexec_b64 s[6:7], vcc
	s_xor_b64 s[6:7], exec, s[6:7]
	s_cbranch_execz .LBB71_12
; %bb.11:
	v_lshl_add_u64 v[2:3], v[6:7], 3, s[4:5]
	global_load_dwordx2 v[2:3], v[2:3], off
	s_mov_b32 s9, 0
	s_mov_b64 s[2:3], exec
	v_mov_b64_e32 v[4:5], s[8:9]
	s_waitcnt vmcnt(0)
	v_subrev_co_u32_e32 v2, vcc, s8, v2
	s_nop 1
	v_subbrev_co_u32_e32 v3, vcc, 0, v3, vcc
.LBB71_12:
	s_or_b64 exec, exec, s[6:7]
.LBB71_13:
	s_and_saveexec_b64 s[4:5], s[2:3]
	s_cbranch_execnz .LBB71_19
.LBB71_14:
	s_endpgm
.LBB71_15:
                                        ; implicit-def: $vgpr2_vgpr3
                                        ; implicit-def: $vgpr4_vgpr5
	s_cbranch_execz .LBB71_13
; %bb.16:
	s_load_dwordx2 s[4:5], s[0:1], 0x0
	s_waitcnt lgkmcnt(0)
	v_cmp_gt_i64_e32 vcc, s[4:5], v[6:7]
	s_and_saveexec_b64 s[4:5], vcc
; %bb.17:
	s_mov_b32 s9, 0
	s_or_b64 s[2:3], s[2:3], exec
; %bb.18:
	s_or_b64 exec, exec, s[4:5]
	v_mov_b64_e32 v[4:5], s[8:9]
	v_mov_b64_e32 v[2:3], v[6:7]
	s_and_saveexec_b64 s[4:5], s[2:3]
	s_cbranch_execz .LBB71_14
.LBB71_19:
	s_load_dwordx8 s[8:15], s[0:1], 0x28
	v_lshlrev_b64 v[6:7], 3, v[2:3]
	s_load_dword s2, s[0:1], 0x8
	v_and_b32_e32 v0, 7, v0
	v_mov_b32_e32 v1, 0
	s_waitcnt lgkmcnt(0)
	v_lshl_add_u64 v[8:9], s[8:9], 0, v[6:7]
	s_cmp_eq_u64 s[10:11], 0
	v_lshl_add_u64 v[6:7], s[10:11], 0, v[6:7]
	global_load_dwordx2 v[14:15], v[8:9], off
	v_lshl_add_u64 v[8:9], v[8:9], 0, 8
	s_cselect_b64 vcc, -1, 0
	v_cndmask_b32_e32 v7, v7, v9, vcc
	v_cndmask_b32_e32 v6, v6, v8, vcc
	global_load_dwordx2 v[6:7], v[6:7], off
	s_load_dwordx2 s[10:11], s[0:1], 0x48
	s_cmp_eq_u32 s2, 1
	s_waitcnt vmcnt(1)
	v_sub_co_u32_e32 v8, vcc, v14, v4
	s_nop 1
	v_subb_co_u32_e32 v9, vcc, v15, v5, vcc
	v_lshl_add_u64 v[10:11], v[8:9], 0, v[0:1]
	s_waitcnt vmcnt(0)
	v_sub_co_u32_e32 v16, vcc, v6, v4
	s_nop 1
	v_subb_co_u32_e32 v17, vcc, v7, v5, vcc
	v_lshl_add_u64 v[6:7], v[10:11], 4, s[14:15]
	v_cmp_lt_i64_e64 s[2:3], v[10:11], v[16:17]
	s_cbranch_scc1 .LBB71_31
; %bb.20:
	v_mov_b32_e32 v8, v1
	v_mov_b32_e32 v13, v1
	;; [unrolled: 1-line block ×3, first 2 shown]
	s_and_saveexec_b64 s[14:15], s[2:3]
	s_cbranch_execz .LBB71_30
; %bb.21:
	v_or_b32_e32 v1, 8, v0
	v_sub_co_u32_e32 v8, vcc, v1, v4
	v_not_b32_e32 v13, v15
	s_nop 0
	v_subb_co_u32_e32 v9, vcc, 0, v5, vcc
	v_lshl_add_u64 v[8:9], v[8:9], 0, v[14:15]
	v_cmp_gt_i64_e32 vcc, v[8:9], v[16:17]
	v_not_b32_e32 v12, v14
	v_mov_b32_e32 v20, 0
	v_cndmask_b32_e32 v9, v17, v9, vcc
	v_cndmask_b32_e32 v8, v16, v8, vcc
	v_sub_co_u32_e32 v18, vcc, v4, v0
	v_mov_b32_e32 v21, v20
	s_nop 0
	v_subbrev_co_u32_e32 v19, vcc, 0, v5, vcc
	v_lshl_add_u64 v[12:13], v[18:19], 0, v[12:13]
	v_lshl_add_u64 v[8:9], v[12:13], 0, v[8:9]
	v_lshrrev_b64 v[12:13], 3, v[8:9]
	v_lshl_add_u64 v[22:23], v[12:13], 0, 1
	v_cmp_lt_u64_e32 vcc, 23, v[8:9]
	v_mov_b64_e32 v[8:9], v[20:21]
	v_mov_b64_e32 v[12:13], v[20:21]
	;; [unrolled: 1-line block ×4, first 2 shown]
	s_and_saveexec_b64 s[16:17], vcc
	s_cbranch_execz .LBB71_25
; %bb.22:
	v_lshl_add_u64 v[8:9], v[10:11], 3, s[12:13]
	s_mov_b64 s[4:5], 0x80
	v_and_b32_e32 v26, -4, v22
	v_mov_b32_e32 v27, v23
	v_lshl_add_u64 v[28:29], v[8:9], 0, s[4:5]
	s_mov_b64 s[18:19], 0
	s_mov_b32 s26, 0xc030201
	s_mov_b32 s27, 0x4030201
	s_mov_b32 s28, 0xc0c0201
	s_mov_b32 s29, 0x7060100
	s_mov_b64 s[20:21], 0x200
	s_mov_b64 s[22:23], 0x100
	v_mov_b64_e32 v[18:19], v[6:7]
	v_mov_b64_e32 v[24:25], v[10:11]
	v_mov_b32_e32 v8, 0
	v_mov_b32_e32 v13, 0
	v_mov_b32_e32 v12, 0
.LBB71_23:                              ; =>This Inner Loop Header: Depth=1
	global_load_dwordx2 v[46:47], v[28:29], off offset:-128
	global_load_dwordx2 v[48:49], v[28:29], off offset:-64
	global_load_dwordx2 v[50:51], v[28:29], off
	global_load_dwordx2 v[52:53], v[28:29], off offset:64
	global_load_dwordx4 v[30:33], v[18:19], off
	global_load_dwordx4 v[34:37], v[18:19], off offset:128
	global_load_dwordx4 v[38:41], v[18:19], off offset:256
	;; [unrolled: 1-line block ×3, first 2 shown]
	v_lshl_add_u64 v[26:27], v[26:27], 0, -4
	v_lshl_add_u64 v[18:19], v[18:19], 0, s[20:21]
	v_lshl_add_u64 v[24:25], v[24:25], 0, 32
	;; [unrolled: 1-line block ×3, first 2 shown]
	s_waitcnt vmcnt(7)
	v_sub_co_u32_e32 v46, vcc, v46, v4
	s_waitcnt vmcnt(6)
	v_sub_co_u32_e64 v48, s[4:5], v48, v4
	s_waitcnt vmcnt(5)
	v_sub_co_u32_e64 v50, s[6:7], v50, v4
	;; [unrolled: 2-line block ×3, first 2 shown]
	v_subb_co_u32_e32 v47, vcc, v47, v5, vcc
	v_subb_co_u32_e64 v49, vcc, v49, v5, s[4:5]
	v_subb_co_u32_e64 v51, vcc, v51, v5, s[6:7]
	;; [unrolled: 1-line block ×3, first 2 shown]
	s_waitcnt lgkmcnt(0)
	v_lshl_add_u64 v[46:47], v[46:47], 2, s[10:11]
	v_lshl_add_u64 v[48:49], v[48:49], 2, s[10:11]
	;; [unrolled: 1-line block ×4, first 2 shown]
	global_load_dword v1, v[46:47], off
	global_load_dword v9, v[48:49], off
	global_load_dword v21, v[50:51], off
	global_load_dword v23, v[52:53], off
	s_waitcnt vmcnt(7)
	v_bfe_i32 v47, v30, 0, 8
	v_lshrrev_b16_e32 v46, 8, v33
	v_perm_b32 v30, v30, v30, s26
	v_ashrrev_i32_e32 v48, 24, v33
	s_waitcnt vmcnt(6)
	v_lshrrev_b16_e32 v50, 8, v37
	v_bfe_i32 v49, v33, 0, 8
	v_bfe_i32 v33, v33, 16, 8
	;; [unrolled: 1-line block ×3, first 2 shown]
	s_waitcnt vmcnt(5)
	v_perm_b32 v34, v38, v34, s27
	v_bfe_i32 v53, v41, 8, 8
	v_ashrrev_i32_e32 v52, 24, v38
	v_perm_b32 v38, v38, v38, s28
	v_perm_b32 v39, v39, v39, s29
	v_cmp_eq_u64_e32 vcc, 0, v[26:27]
	s_or_b64 s[18:19], vcc, s[18:19]
	s_waitcnt vmcnt(3)
	v_bfe_i32 v57, v1, 0, 8
	v_lshrrev_b16_e32 v54, 8, v1
	v_ashrrev_i32_e32 v55, 24, v1
	v_bfe_i32 v56, v1, 16, 8
	v_dot4c_i32_i8_e32 v13, v1, v31
	v_dot4c_i32_i8_e32 v8, v1, v32
	v_perm_b32 v1, v1, v1, s26
	s_waitcnt vmcnt(2)
	v_lshrrev_b16_e32 v31, 8, v9
	v_bfe_i32 v32, v9, 0, 8
	v_mul_i32_i24_sdwa v59, sext(v37), sext(v9) dst_sel:DWORD dst_unused:UNUSED_PAD src0_sel:BYTE_3 src1_sel:BYTE_3
	v_mad_i32_i24 v12, v57, v47, v12
	v_mul_i32_i24_sdwa v58, sext(v37), sext(v9) dst_sel:DWORD dst_unused:UNUSED_PAD src0_sel:BYTE_2 src1_sel:BYTE_2
	v_dot4c_i32_i8_e32 v13, v9, v35
	v_mul_i32_i24_sdwa v35, sext(v37), v32 dst_sel:DWORD dst_unused:UNUSED_PAD src0_sel:BYTE_0 src1_sel:DWORD
	v_mul_i32_i24_sdwa v46, sext(v46), sext(v54) dst_sel:DWORD dst_unused:UNUSED_PAD src0_sel:BYTE_0 src1_sel:BYTE_0
	v_mul_i32_i24_sdwa v31, sext(v50), sext(v31) dst_sel:DWORD dst_unused:UNUSED_PAD src0_sel:BYTE_0 src1_sel:BYTE_0
	v_mad_i32_i24 v47, v48, v55, v59
	v_dot4c_i32_i8_e32 v12, v1, v30
	v_dot4c_i32_i8_e32 v8, v9, v36
	s_waitcnt vmcnt(1)
	v_bfe_i32 v37, v21, 8, 8
	v_perm_b32 v9, v21, v9, s27
	v_mul_i32_i24_sdwa v50, sext(v41), sext(v21) dst_sel:DWORD dst_unused:UNUSED_PAD src0_sel:BYTE_2 src1_sel:BYTE_2
	v_mad_i32_i24 v33, v33, v56, v58
	v_mad_i32_i24 v1, v49, v57, v35
	v_add3_u32 v30, v46, v31, v47
	v_mad_i32_i24 v12, v32, v51, v12
	v_ashrrev_i32_e32 v36, 24, v21
	v_perm_b32 v60, v21, v21, s28
	v_mul_i32_i24_sdwa v54, sext(v21), sext(v41) dst_sel:DWORD dst_unused:UNUSED_PAD src0_sel:BYTE_0 src1_sel:BYTE_0
	v_mad_i32_i24 v37, v37, v53, v50
	v_add3_u32 v1, v1, v33, v30
	v_dot4c_i32_i8_e32 v12, v9, v34
	v_mul_i32_i24_sdwa v41, sext(v41), v36 dst_sel:DWORD dst_unused:UNUSED_PAD src0_sel:BYTE_3 src1_sel:DWORD
	v_add3_u32 v1, v1, v54, v37
	v_dot4c_i32_i8_e32 v12, v60, v38
	v_dot4c_i32_i8_e32 v13, v39, v21
	;; [unrolled: 1-line block ×3, first 2 shown]
	v_add3_u32 v20, v1, v20, v41
	v_mad_i32_i24 v12, v36, v52, v12
	s_waitcnt vmcnt(0)
	v_dot4c_i32_i8_e32 v13, v23, v43
	v_dot4c_i32_i8_e32 v8, v23, v44
	;; [unrolled: 1-line block ×4, first 2 shown]
	s_andn2_b64 exec, exec, s[18:19]
	s_cbranch_execnz .LBB71_23
; %bb.24:
	s_or_b64 exec, exec, s[18:19]
	v_mov_b32_e32 v9, v20
.LBB71_25:
	s_or_b64 exec, exec, s[16:17]
	v_and_b32_e32 v22, 3, v22
	v_mov_b32_e32 v23, 0
	s_mov_b64 s[6:7], 0
	v_cmp_ne_u64_e32 vcc, 0, v[22:23]
	s_and_saveexec_b64 s[4:5], vcc
	s_cbranch_execz .LBB71_29
; %bb.26:
	v_lshl_add_u64 v[20:21], v[24:25], 3, s[12:13]
	v_lshlrev_b32_e32 v22, 1, v22
	s_mov_b64 s[8:9], 0x80
.LBB71_27:                              ; =>This Inner Loop Header: Depth=1
	global_load_dwordx2 v[28:29], v[20:21], off
	global_load_dwordx4 v[24:27], v[18:19], off
	v_lshl_add_u64 v[22:23], v[22:23], 0, -2
	v_lshl_add_u64 v[18:19], v[18:19], 0, s[8:9]
	v_lshl_add_u64 v[20:21], v[20:21], 0, 64
	s_waitcnt vmcnt(1)
	v_sub_co_u32_e32 v28, vcc, v28, v4
	s_nop 1
	v_subb_co_u32_e32 v29, vcc, v29, v5, vcc
	s_waitcnt lgkmcnt(0)
	v_lshl_add_u64 v[28:29], v[28:29], 2, s[10:11]
	global_load_dword v1, v[28:29], off
	v_cmp_eq_u64_e32 vcc, 0, v[22:23]
	s_or_b64 s[6:7], vcc, s[6:7]
	s_waitcnt vmcnt(0)
	v_dot4c_i32_i8_e32 v13, v1, v25
	v_dot4c_i32_i8_e32 v12, v1, v24
	;; [unrolled: 1-line block ×4, first 2 shown]
	s_andn2_b64 exec, exec, s[6:7]
	s_cbranch_execnz .LBB71_27
; %bb.28:
	s_or_b64 exec, exec, s[6:7]
	v_mov_b32_e32 v20, v9
.LBB71_29:
	s_or_b64 exec, exec, s[4:5]
	v_mov_b32_e32 v1, v20
.LBB71_30:
	s_or_b64 exec, exec, s[14:15]
	v_mov_b32_e32 v18, v1
	s_cbranch_execz .LBB71_32
	s_branch .LBB71_43
.LBB71_31:
                                        ; implicit-def: $vgpr18
                                        ; implicit-def: $vgpr8
                                        ; implicit-def: $vgpr13
.LBB71_32:
	v_mov_b32_e32 v18, 0
	v_mov_b32_e32 v8, 0
	;; [unrolled: 1-line block ×4, first 2 shown]
	s_and_saveexec_b64 s[4:5], s[2:3]
	s_cbranch_execz .LBB71_42
; %bb.33:
	v_or_b32_e32 v1, 8, v0
	v_sub_co_u32_e32 v8, vcc, v1, v4
	v_not_b32_e32 v12, v14
	s_nop 0
	v_subb_co_u32_e32 v9, vcc, 0, v5, vcc
	v_lshl_add_u64 v[8:9], v[8:9], 0, v[14:15]
	v_cmp_gt_i64_e32 vcc, v[8:9], v[16:17]
	v_not_b32_e32 v13, v15
	v_mov_b32_e32 v18, 0
	v_cndmask_b32_e32 v9, v17, v9, vcc
	v_cndmask_b32_e32 v8, v16, v8, vcc
	v_sub_co_u32_e32 v14, vcc, v4, v0
	v_mov_b32_e32 v19, v18
	s_nop 0
	v_subbrev_co_u32_e32 v15, vcc, 0, v5, vcc
	v_lshl_add_u64 v[12:13], v[14:15], 0, v[12:13]
	v_lshl_add_u64 v[8:9], v[12:13], 0, v[8:9]
	v_lshrrev_b64 v[12:13], 3, v[8:9]
	v_lshl_add_u64 v[14:15], v[12:13], 0, 1
	v_cmp_lt_u64_e32 vcc, 23, v[8:9]
	v_mov_b64_e32 v[8:9], v[18:19]
	v_mov_b64_e32 v[12:13], v[18:19]
	s_and_saveexec_b64 s[2:3], vcc
	s_cbranch_execz .LBB71_37
; %bb.34:
	v_lshl_add_u64 v[8:9], v[10:11], 3, s[12:13]
	s_mov_b64 s[6:7], 0x80
	v_and_b32_e32 v16, -4, v14
	v_mov_b32_e32 v17, v15
	v_lshl_add_u64 v[20:21], v[8:9], 0, s[6:7]
	s_mov_b64 s[6:7], 0
	s_mov_b32 s16, 0xc05010c
	s_mov_b32 s17, 0xc0c0c01
	;; [unrolled: 1-line block ×19, first 2 shown]
	s_mov_b64 s[8:9], 0x200
	s_mov_b64 s[14:15], 0x100
	v_mov_b32_e32 v8, 0
	v_mov_b32_e32 v13, 0
	;; [unrolled: 1-line block ×3, first 2 shown]
.LBB71_35:                              ; =>This Inner Loop Header: Depth=1
	global_load_dwordx2 v[38:39], v[20:21], off offset:-128
	global_load_dwordx2 v[40:41], v[20:21], off offset:-64
	global_load_dwordx2 v[42:43], v[20:21], off
	global_load_dwordx2 v[44:45], v[20:21], off offset:64
	global_load_dwordx4 v[22:25], v[6:7], off
	global_load_dwordx4 v[26:29], v[6:7], off offset:128
	global_load_dwordx4 v[30:33], v[6:7], off offset:256
	;; [unrolled: 1-line block ×3, first 2 shown]
	v_lshl_add_u64 v[16:17], v[16:17], 0, -4
	v_cmp_eq_u64_e32 vcc, 0, v[16:17]
	s_or_b64 s[6:7], vcc, s[6:7]
	v_lshl_add_u64 v[6:7], v[6:7], 0, s[8:9]
	v_lshl_add_u64 v[10:11], v[10:11], 0, 32
	;; [unrolled: 1-line block ×3, first 2 shown]
	s_waitcnt vmcnt(7)
	v_sub_co_u32_e32 v38, vcc, v38, v4
	s_nop 1
	v_subb_co_u32_e32 v39, vcc, v39, v5, vcc
	s_waitcnt vmcnt(6)
	v_sub_co_u32_e32 v40, vcc, v40, v4
	s_waitcnt lgkmcnt(0)
	v_lshl_add_u64 v[38:39], v[38:39], 2, s[10:11]
	v_subb_co_u32_e32 v41, vcc, v41, v5, vcc
	s_waitcnt vmcnt(5)
	v_sub_co_u32_e32 v42, vcc, v42, v4
	v_lshl_add_u64 v[40:41], v[40:41], 2, s[10:11]
	s_nop 0
	v_subb_co_u32_e32 v43, vcc, v43, v5, vcc
	s_waitcnt vmcnt(4)
	v_sub_co_u32_e32 v44, vcc, v44, v4
	v_lshl_add_u64 v[42:43], v[42:43], 2, s[10:11]
	s_nop 0
	v_subb_co_u32_e32 v45, vcc, v45, v5, vcc
	v_lshl_add_u64 v[44:45], v[44:45], 2, s[10:11]
	global_load_dword v46, v[42:43], off
	global_load_dword v47, v[38:39], off
	;; [unrolled: 1-line block ×4, first 2 shown]
	s_waitcnt vmcnt(7)
	v_perm_b32 v1, v24, v23, s16
	v_perm_b32 v9, v22, v22, s17
	;; [unrolled: 1-line block ×4, first 2 shown]
	s_waitcnt vmcnt(6)
	v_perm_b32 v38, v26, v25, s21
	v_perm_b32 v39, v28, v27, s22
	;; [unrolled: 1-line block ×4, first 2 shown]
	s_waitcnt vmcnt(5)
	v_lshrrev_b32_e32 v42, 8, v33
	v_perm_b32 v53, v24, v23, s28
	v_perm_b32 v54, v22, v22, s29
	;; [unrolled: 1-line block ×10, first 2 shown]
	v_lshrrev_b32_e32 v43, 24, v33
	v_lshrrev_b32_e32 v44, 16, v33
	v_perm_b32 v45, v30, v29, s26
	v_perm_b32 v50, v32, v31, s27
	;; [unrolled: 1-line block ×6, first 2 shown]
	v_bfe_i32 v31, v33, 0, 8
	v_or_b32_e32 v22, v23, v22
	v_or_b32_e32 v23, v55, v24
	;; [unrolled: 1-line block ×4, first 2 shown]
	v_bfe_i32 v27, v42, 0, 8
	s_waitcnt vmcnt(4)
	v_perm_b32 v32, v35, v34, s26
	v_perm_b32 v56, v35, v34, s21
	;; [unrolled: 1-line block ×5, first 2 shown]
	v_or_b32_e32 v1, v1, v9
	v_or_b32_e32 v9, v15, v19
	v_or_b32_e32 v15, v39, v38
	v_or_b32_e32 v38, v53, v54
	v_or_b32_e32 v26, v30, v29
	v_bfe_i32 v28, v44, 0, 8
	v_bfe_i32 v29, v43, 0, 8
	v_perm_b32 v27, v27, v31, s37
	v_or_b32_e32 v19, v41, v40
	v_or_b32_e32 v34, v35, v34
	v_perm_b32 v28, v29, v28, s37
	v_perm_b32 v33, v37, v36, s27
	;; [unrolled: 1-line block ×4, first 2 shown]
	v_or_b32_e32 v36, v50, v45
	v_or_b32_e32 v37, v52, v51
	;; [unrolled: 1-line block ×5, first 2 shown]
	s_waitcnt vmcnt(3)
	v_lshrrev_b32_e32 v29, 24, v46
	s_waitcnt vmcnt(2)
	v_perm_b32 v31, v47, v47, s18
	s_waitcnt vmcnt(1)
	v_perm_b32 v35, v48, v47, s23
	v_dot4c_i32_i8_e32 v13, v31, v1
	v_dot4c_i32_i8_e32 v12, v31, v9
	;; [unrolled: 1-line block ×4, first 2 shown]
	v_perm_b32 v39, v46, v48, s23
	v_bfe_i32 v1, v29, 0, 8
	v_dot4c_i32_i8_e32 v12, v35, v15
	v_dot4c_i32_i8_e32 v13, v35, v19
	;; [unrolled: 1-line block ×4, first 2 shown]
	v_pk_mul_lo_u16 v9, v1, v27 op_sel_hi:[0,1]
	v_pk_mul_lo_u16 v1, v1, v28 op_sel_hi:[0,1]
	v_dot4c_i32_i8_e32 v13, v39, v36
	v_dot4c_i32_i8_e32 v12, v39, v37
	;; [unrolled: 1-line block ×4, first 2 shown]
	v_add_u32_sdwa v13, v13, sext(v9) dst_sel:DWORD dst_unused:UNUSED_PAD src0_sel:DWORD src1_sel:WORD_1
	v_add_u32_sdwa v12, v12, sext(v9) dst_sel:DWORD dst_unused:UNUSED_PAD src0_sel:DWORD src1_sel:WORD_0
	v_add_u32_sdwa v18, v18, sext(v1) dst_sel:DWORD dst_unused:UNUSED_PAD src0_sel:DWORD src1_sel:WORD_1
	v_add_u32_sdwa v8, v8, sext(v1) dst_sel:DWORD dst_unused:UNUSED_PAD src0_sel:DWORD src1_sel:WORD_0
	s_waitcnt vmcnt(0)
	v_dot4c_i32_i8_e32 v13, v49, v30
	v_dot4c_i32_i8_e32 v12, v49, v32
	;; [unrolled: 1-line block ×4, first 2 shown]
	s_andn2_b64 exec, exec, s[6:7]
	s_cbranch_execnz .LBB71_35
; %bb.36:
	s_or_b64 exec, exec, s[6:7]
	v_mov_b32_e32 v9, v18
.LBB71_37:
	s_or_b64 exec, exec, s[2:3]
	v_and_b32_e32 v14, 3, v14
	v_mov_b32_e32 v15, 0
	s_mov_b64 s[6:7], 0
	v_cmp_ne_u64_e32 vcc, 0, v[14:15]
	s_and_saveexec_b64 s[2:3], vcc
	s_cbranch_execz .LBB71_41
; %bb.38:
	v_lshl_add_u64 v[10:11], v[10:11], 3, s[12:13]
	v_lshlrev_b32_e32 v14, 1, v14
	s_mov_b32 s12, 0xc0c0501
	s_mov_b32 s13, 0x5010c0c
	;; [unrolled: 1-line block ×8, first 2 shown]
	s_mov_b64 s[8:9], 0x80
.LBB71_39:                              ; =>This Inner Loop Header: Depth=1
	global_load_dwordx2 v[20:21], v[10:11], off
	global_load_dwordx4 v[16:19], v[6:7], off
	v_lshl_add_u64 v[14:15], v[14:15], 0, -2
	v_lshl_add_u64 v[6:7], v[6:7], 0, s[8:9]
	v_lshl_add_u64 v[10:11], v[10:11], 0, 64
	s_waitcnt vmcnt(1)
	v_sub_co_u32_e32 v20, vcc, v20, v4
	s_nop 1
	v_subb_co_u32_e32 v21, vcc, v21, v5, vcc
	s_waitcnt lgkmcnt(0)
	v_lshl_add_u64 v[20:21], v[20:21], 2, s[10:11]
	global_load_dword v1, v[20:21], off
	s_waitcnt vmcnt(1)
	v_perm_b32 v20, v17, v16, s12
	v_perm_b32 v21, v19, v18, s13
	;; [unrolled: 1-line block ×8, first 2 shown]
	v_cmp_eq_u64_e32 vcc, 0, v[14:15]
	v_or_b32_e32 v18, v21, v20
	v_or_b32_e32 v19, v23, v22
	;; [unrolled: 1-line block ×4, first 2 shown]
	s_or_b64 s[6:7], vcc, s[6:7]
	s_waitcnt vmcnt(0)
	v_dot4c_i32_i8_e32 v13, v1, v18
	v_dot4c_i32_i8_e32 v12, v1, v19
	;; [unrolled: 1-line block ×4, first 2 shown]
	s_andn2_b64 exec, exec, s[6:7]
	s_cbranch_execnz .LBB71_39
; %bb.40:
	s_or_b64 exec, exec, s[6:7]
	v_mov_b32_e32 v18, v9
.LBB71_41:
	s_or_b64 exec, exec, s[2:3]
.LBB71_42:
	s_or_b64 exec, exec, s[4:5]
.LBB71_43:
	v_mov_b32_dpp v1, v12 row_shr:1 row_mask:0xf bank_mask:0xf
	v_mov_b32_dpp v4, v13 row_shr:1 row_mask:0xf bank_mask:0xf
	;; [unrolled: 1-line block ×4, first 2 shown]
	v_add_u32_e32 v4, v4, v13
	v_add_u32_e32 v5, v1, v12
	;; [unrolled: 1-line block ×4, first 2 shown]
	v_mov_b32_dpp v6, v5 row_shr:2 row_mask:0xf bank_mask:0xf
	v_mov_b32_dpp v1, v4 row_shr:2 row_mask:0xf bank_mask:0xf
	v_mov_b32_dpp v10, v8 row_shr:2 row_mask:0xf bank_mask:0xf
	v_mov_b32_dpp v7, v9 row_shr:2 row_mask:0xf bank_mask:0xf
	v_add_u32_e32 v1, v4, v1
	v_add_u32_e32 v4, v5, v6
	;; [unrolled: 1-line block ×4, first 2 shown]
	v_mov_b32_dpp v5, v4 row_shr:4 row_mask:0xf bank_mask:0xe
	v_mov_b32_dpp v6, v1 row_shr:4 row_mask:0xf bank_mask:0xe
	;; [unrolled: 1-line block ×4, first 2 shown]
	v_cmp_eq_u32_e32 vcc, 7, v0
	s_and_b64 exec, exec, vcc
	s_cbranch_execz .LBB71_14
; %bb.44:
	s_load_dwordx2 s[0:1], s[0:1], 0x58
	v_add_u32_e32 v1, v1, v6
	v_add_u32_e32 v0, v4, v5
	;; [unrolled: 1-line block ×4, first 2 shown]
	s_cmp_eq_u32 s25, 0
	s_waitcnt lgkmcnt(0)
	v_lshl_add_u64 v[4:5], v[2:3], 4, s[0:1]
	v_mul_lo_u32 v0, v0, s24
	v_mul_lo_u32 v8, v1, s24
	;; [unrolled: 1-line block ×4, first 2 shown]
	s_cbranch_scc1 .LBB71_46
; %bb.45:
	global_load_dwordx4 v[10:13], v[4:5], off
	s_waitcnt vmcnt(0)
	v_mad_u64_u32 v[14:15], s[0:1], v11, s25, v[8:9]
	v_mad_u64_u32 v[10:11], s[0:1], v10, s25, v[0:1]
	;; [unrolled: 1-line block ×4, first 2 shown]
	v_mov_b32_e32 v11, v14
	v_mov_b32_e32 v13, v16
	global_store_dwordx4 v[4:5], v[10:13], off
	s_cbranch_execnz .LBB71_14
	s_branch .LBB71_47
.LBB71_46:
.LBB71_47:
	v_mov_b32_e32 v1, v8
	v_mov_b32_e32 v3, v6
	global_store_dwordx4 v[4:5], v[0:3], off
	s_endpgm
	.section	.rodata,"a",@progbits
	.p2align	6, 0x0
	.amdhsa_kernel _ZN9rocsparseL18bsrxmvn_4x4_kernelILj128ELj8EillaaiEEvT3_20rocsparse_direction_NS_24const_host_device_scalarIT1_EES1_PKS1_PKT2_SA_S7_PKT4_PKT5_S5_PT6_21rocsparse_index_base_b
		.amdhsa_group_segment_fixed_size 0
		.amdhsa_private_segment_fixed_size 0
		.amdhsa_kernarg_size 104
		.amdhsa_user_sgpr_count 2
		.amdhsa_user_sgpr_dispatch_ptr 0
		.amdhsa_user_sgpr_queue_ptr 0
		.amdhsa_user_sgpr_kernarg_segment_ptr 1
		.amdhsa_user_sgpr_dispatch_id 0
		.amdhsa_user_sgpr_kernarg_preload_length 0
		.amdhsa_user_sgpr_kernarg_preload_offset 0
		.amdhsa_user_sgpr_private_segment_size 0
		.amdhsa_uses_dynamic_stack 0
		.amdhsa_enable_private_segment 0
		.amdhsa_system_sgpr_workgroup_id_x 1
		.amdhsa_system_sgpr_workgroup_id_y 0
		.amdhsa_system_sgpr_workgroup_id_z 0
		.amdhsa_system_sgpr_workgroup_info 0
		.amdhsa_system_vgpr_workitem_id 0
		.amdhsa_next_free_vgpr 61
		.amdhsa_next_free_sgpr 38
		.amdhsa_accum_offset 64
		.amdhsa_reserve_vcc 1
		.amdhsa_float_round_mode_32 0
		.amdhsa_float_round_mode_16_64 0
		.amdhsa_float_denorm_mode_32 3
		.amdhsa_float_denorm_mode_16_64 3
		.amdhsa_dx10_clamp 1
		.amdhsa_ieee_mode 1
		.amdhsa_fp16_overflow 0
		.amdhsa_tg_split 0
		.amdhsa_exception_fp_ieee_invalid_op 0
		.amdhsa_exception_fp_denorm_src 0
		.amdhsa_exception_fp_ieee_div_zero 0
		.amdhsa_exception_fp_ieee_overflow 0
		.amdhsa_exception_fp_ieee_underflow 0
		.amdhsa_exception_fp_ieee_inexact 0
		.amdhsa_exception_int_div_zero 0
	.end_amdhsa_kernel
	.section	.text._ZN9rocsparseL18bsrxmvn_4x4_kernelILj128ELj8EillaaiEEvT3_20rocsparse_direction_NS_24const_host_device_scalarIT1_EES1_PKS1_PKT2_SA_S7_PKT4_PKT5_S5_PT6_21rocsparse_index_base_b,"axG",@progbits,_ZN9rocsparseL18bsrxmvn_4x4_kernelILj128ELj8EillaaiEEvT3_20rocsparse_direction_NS_24const_host_device_scalarIT1_EES1_PKS1_PKT2_SA_S7_PKT4_PKT5_S5_PT6_21rocsparse_index_base_b,comdat
.Lfunc_end71:
	.size	_ZN9rocsparseL18bsrxmvn_4x4_kernelILj128ELj8EillaaiEEvT3_20rocsparse_direction_NS_24const_host_device_scalarIT1_EES1_PKS1_PKT2_SA_S7_PKT4_PKT5_S5_PT6_21rocsparse_index_base_b, .Lfunc_end71-_ZN9rocsparseL18bsrxmvn_4x4_kernelILj128ELj8EillaaiEEvT3_20rocsparse_direction_NS_24const_host_device_scalarIT1_EES1_PKS1_PKT2_SA_S7_PKT4_PKT5_S5_PT6_21rocsparse_index_base_b
                                        ; -- End function
	.set _ZN9rocsparseL18bsrxmvn_4x4_kernelILj128ELj8EillaaiEEvT3_20rocsparse_direction_NS_24const_host_device_scalarIT1_EES1_PKS1_PKT2_SA_S7_PKT4_PKT5_S5_PT6_21rocsparse_index_base_b.num_vgpr, 61
	.set _ZN9rocsparseL18bsrxmvn_4x4_kernelILj128ELj8EillaaiEEvT3_20rocsparse_direction_NS_24const_host_device_scalarIT1_EES1_PKS1_PKT2_SA_S7_PKT4_PKT5_S5_PT6_21rocsparse_index_base_b.num_agpr, 0
	.set _ZN9rocsparseL18bsrxmvn_4x4_kernelILj128ELj8EillaaiEEvT3_20rocsparse_direction_NS_24const_host_device_scalarIT1_EES1_PKS1_PKT2_SA_S7_PKT4_PKT5_S5_PT6_21rocsparse_index_base_b.numbered_sgpr, 38
	.set _ZN9rocsparseL18bsrxmvn_4x4_kernelILj128ELj8EillaaiEEvT3_20rocsparse_direction_NS_24const_host_device_scalarIT1_EES1_PKS1_PKT2_SA_S7_PKT4_PKT5_S5_PT6_21rocsparse_index_base_b.num_named_barrier, 0
	.set _ZN9rocsparseL18bsrxmvn_4x4_kernelILj128ELj8EillaaiEEvT3_20rocsparse_direction_NS_24const_host_device_scalarIT1_EES1_PKS1_PKT2_SA_S7_PKT4_PKT5_S5_PT6_21rocsparse_index_base_b.private_seg_size, 0
	.set _ZN9rocsparseL18bsrxmvn_4x4_kernelILj128ELj8EillaaiEEvT3_20rocsparse_direction_NS_24const_host_device_scalarIT1_EES1_PKS1_PKT2_SA_S7_PKT4_PKT5_S5_PT6_21rocsparse_index_base_b.uses_vcc, 1
	.set _ZN9rocsparseL18bsrxmvn_4x4_kernelILj128ELj8EillaaiEEvT3_20rocsparse_direction_NS_24const_host_device_scalarIT1_EES1_PKS1_PKT2_SA_S7_PKT4_PKT5_S5_PT6_21rocsparse_index_base_b.uses_flat_scratch, 0
	.set _ZN9rocsparseL18bsrxmvn_4x4_kernelILj128ELj8EillaaiEEvT3_20rocsparse_direction_NS_24const_host_device_scalarIT1_EES1_PKS1_PKT2_SA_S7_PKT4_PKT5_S5_PT6_21rocsparse_index_base_b.has_dyn_sized_stack, 0
	.set _ZN9rocsparseL18bsrxmvn_4x4_kernelILj128ELj8EillaaiEEvT3_20rocsparse_direction_NS_24const_host_device_scalarIT1_EES1_PKS1_PKT2_SA_S7_PKT4_PKT5_S5_PT6_21rocsparse_index_base_b.has_recursion, 0
	.set _ZN9rocsparseL18bsrxmvn_4x4_kernelILj128ELj8EillaaiEEvT3_20rocsparse_direction_NS_24const_host_device_scalarIT1_EES1_PKS1_PKT2_SA_S7_PKT4_PKT5_S5_PT6_21rocsparse_index_base_b.has_indirect_call, 0
	.section	.AMDGPU.csdata,"",@progbits
; Kernel info:
; codeLenInByte = 3380
; TotalNumSgprs: 44
; NumVgprs: 61
; NumAgprs: 0
; TotalNumVgprs: 61
; ScratchSize: 0
; MemoryBound: 0
; FloatMode: 240
; IeeeMode: 1
; LDSByteSize: 0 bytes/workgroup (compile time only)
; SGPRBlocks: 5
; VGPRBlocks: 7
; NumSGPRsForWavesPerEU: 44
; NumVGPRsForWavesPerEU: 61
; AccumOffset: 64
; Occupancy: 8
; WaveLimiterHint : 1
; COMPUTE_PGM_RSRC2:SCRATCH_EN: 0
; COMPUTE_PGM_RSRC2:USER_SGPR: 2
; COMPUTE_PGM_RSRC2:TRAP_HANDLER: 0
; COMPUTE_PGM_RSRC2:TGID_X_EN: 1
; COMPUTE_PGM_RSRC2:TGID_Y_EN: 0
; COMPUTE_PGM_RSRC2:TGID_Z_EN: 0
; COMPUTE_PGM_RSRC2:TIDIG_COMP_CNT: 0
; COMPUTE_PGM_RSRC3_GFX90A:ACCUM_OFFSET: 15
; COMPUTE_PGM_RSRC3_GFX90A:TG_SPLIT: 0
	.section	.text._ZN9rocsparseL18bsrxmvn_4x4_kernelILj128ELj16EillaaiEEvT3_20rocsparse_direction_NS_24const_host_device_scalarIT1_EES1_PKS1_PKT2_SA_S7_PKT4_PKT5_S5_PT6_21rocsparse_index_base_b,"axG",@progbits,_ZN9rocsparseL18bsrxmvn_4x4_kernelILj128ELj16EillaaiEEvT3_20rocsparse_direction_NS_24const_host_device_scalarIT1_EES1_PKS1_PKT2_SA_S7_PKT4_PKT5_S5_PT6_21rocsparse_index_base_b,comdat
	.globl	_ZN9rocsparseL18bsrxmvn_4x4_kernelILj128ELj16EillaaiEEvT3_20rocsparse_direction_NS_24const_host_device_scalarIT1_EES1_PKS1_PKT2_SA_S7_PKT4_PKT5_S5_PT6_21rocsparse_index_base_b ; -- Begin function _ZN9rocsparseL18bsrxmvn_4x4_kernelILj128ELj16EillaaiEEvT3_20rocsparse_direction_NS_24const_host_device_scalarIT1_EES1_PKS1_PKT2_SA_S7_PKT4_PKT5_S5_PT6_21rocsparse_index_base_b
	.p2align	8
	.type	_ZN9rocsparseL18bsrxmvn_4x4_kernelILj128ELj16EillaaiEEvT3_20rocsparse_direction_NS_24const_host_device_scalarIT1_EES1_PKS1_PKT2_SA_S7_PKT4_PKT5_S5_PT6_21rocsparse_index_base_b,@function
_ZN9rocsparseL18bsrxmvn_4x4_kernelILj128ELj16EillaaiEEvT3_20rocsparse_direction_NS_24const_host_device_scalarIT1_EES1_PKS1_PKT2_SA_S7_PKT4_PKT5_S5_PT6_21rocsparse_index_base_b: ; @_ZN9rocsparseL18bsrxmvn_4x4_kernelILj128ELj16EillaaiEEvT3_20rocsparse_direction_NS_24const_host_device_scalarIT1_EES1_PKS1_PKT2_SA_S7_PKT4_PKT5_S5_PT6_21rocsparse_index_base_b
; %bb.0:
	s_load_dwordx2 s[8:9], s[0:1], 0x60
	s_load_dwordx4 s[4:7], s[0:1], 0x10
	s_mov_b64 s[14:15], -1
                                        ; implicit-def: $sgpr18
	s_waitcnt lgkmcnt(0)
	s_bitcmp1_b32 s9, 0
	s_cselect_b64 s[10:11], -1, 0
	s_xor_b64 s[12:13], s[10:11], -1
	s_and_b64 vcc, exec, s[12:13]
	s_cbranch_vccnz .LBB72_4
; %bb.1:
	s_load_dwordx2 s[10:11], s[0:1], 0x50
	s_andn2_b64 vcc, exec, s[14:15]
	s_cbranch_vccz .LBB72_5
.LBB72_2:
	s_and_b64 vcc, exec, s[12:13]
	s_cbranch_vccz .LBB72_6
.LBB72_3:
	s_waitcnt lgkmcnt(0)
	s_load_dword s19, s[10:11], 0x0
	s_cbranch_execz .LBB72_7
	s_branch .LBB72_8
.LBB72_4:
	s_load_dword s18, s[4:5], 0x0
	s_load_dwordx2 s[10:11], s[0:1], 0x50
	s_cbranch_execnz .LBB72_2
.LBB72_5:
	s_waitcnt lgkmcnt(0)
	s_mov_b32 s18, s4
	s_and_b64 vcc, exec, s[12:13]
	s_cbranch_vccnz .LBB72_3
.LBB72_6:
                                        ; implicit-def: $sgpr19
.LBB72_7:
	s_waitcnt lgkmcnt(0)
	s_mov_b32 s19, s10
.LBB72_8:
	s_waitcnt lgkmcnt(0)
	s_cmp_lg_u32 s18, 0
	s_cselect_b64 s[4:5], -1, 0
	s_cmp_lg_u32 s19, 1
	s_cselect_b64 s[10:11], -1, 0
	s_or_b64 s[4:5], s[4:5], s[10:11]
	s_andn2_b64 vcc, exec, s[4:5]
	s_cbranch_vccnz .LBB72_14
; %bb.9:
	s_load_dwordx2 s[4:5], s[0:1], 0x20
	v_lshrrev_b32_e32 v1, 4, v0
	v_lshl_or_b32 v6, s2, 3, v1
	v_mov_b32_e32 v7, 0
	s_mov_b64 s[2:3], 0
	s_waitcnt lgkmcnt(0)
	s_cmp_lg_u64 s[4:5], 0
	s_cbranch_scc0 .LBB72_15
; %bb.10:
	v_cmp_gt_i64_e32 vcc, s[6:7], v[6:7]
                                        ; implicit-def: $vgpr2_vgpr3
                                        ; implicit-def: $vgpr4_vgpr5
	s_and_saveexec_b64 s[6:7], vcc
	s_xor_b64 s[6:7], exec, s[6:7]
	s_cbranch_execz .LBB72_12
; %bb.11:
	v_lshl_add_u64 v[2:3], v[6:7], 3, s[4:5]
	global_load_dwordx2 v[2:3], v[2:3], off
	s_mov_b32 s9, 0
	s_mov_b64 s[2:3], exec
	v_mov_b64_e32 v[4:5], s[8:9]
	s_waitcnt vmcnt(0)
	v_subrev_co_u32_e32 v2, vcc, s8, v2
	s_nop 1
	v_subbrev_co_u32_e32 v3, vcc, 0, v3, vcc
.LBB72_12:
	s_or_b64 exec, exec, s[6:7]
.LBB72_13:
	s_and_saveexec_b64 s[4:5], s[2:3]
	s_cbranch_execnz .LBB72_19
.LBB72_14:
	s_endpgm
.LBB72_15:
                                        ; implicit-def: $vgpr2_vgpr3
                                        ; implicit-def: $vgpr4_vgpr5
	s_cbranch_execz .LBB72_13
; %bb.16:
	s_load_dwordx2 s[4:5], s[0:1], 0x0
	s_waitcnt lgkmcnt(0)
	v_cmp_gt_i64_e32 vcc, s[4:5], v[6:7]
	s_and_saveexec_b64 s[4:5], vcc
; %bb.17:
	s_mov_b32 s9, 0
	s_or_b64 s[2:3], s[2:3], exec
; %bb.18:
	s_or_b64 exec, exec, s[4:5]
	v_mov_b64_e32 v[4:5], s[8:9]
	v_mov_b64_e32 v[2:3], v[6:7]
	s_and_saveexec_b64 s[4:5], s[2:3]
	s_cbranch_execz .LBB72_14
.LBB72_19:
	s_load_dwordx8 s[4:11], s[0:1], 0x28
	v_lshlrev_b64 v[6:7], 3, v[2:3]
	s_load_dword s2, s[0:1], 0x8
	v_and_b32_e32 v0, 15, v0
	v_mov_b32_e32 v1, 0
	s_waitcnt lgkmcnt(0)
	v_lshl_add_u64 v[8:9], s[4:5], 0, v[6:7]
	s_cmp_eq_u64 s[6:7], 0
	v_lshl_add_u64 v[6:7], s[6:7], 0, v[6:7]
	global_load_dwordx2 v[10:11], v[8:9], off
	v_lshl_add_u64 v[8:9], v[8:9], 0, 8
	s_cselect_b64 vcc, -1, 0
	v_cndmask_b32_e32 v7, v7, v9, vcc
	v_cndmask_b32_e32 v6, v6, v8, vcc
	global_load_dwordx2 v[6:7], v[6:7], off
	s_load_dwordx2 s[4:5], s[0:1], 0x48
	s_cmp_eq_u32 s2, 1
	s_waitcnt vmcnt(1)
	v_sub_co_u32_e32 v8, vcc, v10, v4
	s_nop 1
	v_subb_co_u32_e32 v9, vcc, v11, v5, vcc
	v_lshl_add_u64 v[8:9], v[8:9], 0, v[0:1]
	s_waitcnt vmcnt(0)
	v_sub_co_u32_e32 v12, vcc, v6, v4
	s_nop 1
	v_subb_co_u32_e32 v13, vcc, v7, v5, vcc
	v_lshl_add_u64 v[6:7], v[8:9], 4, s[10:11]
	v_cmp_lt_i64_e64 s[2:3], v[8:9], v[12:13]
	s_cbranch_scc1 .LBB72_31
; %bb.20:
	v_mov_b32_e32 v26, v1
	v_mov_b32_e32 v25, v1
	;; [unrolled: 1-line block ×3, first 2 shown]
	s_and_saveexec_b64 s[6:7], s[2:3]
	s_cbranch_execz .LBB72_30
; %bb.21:
	v_or_b32_e32 v1, 16, v0
	v_sub_co_u32_e32 v14, vcc, v1, v4
	v_not_b32_e32 v17, v11
	s_nop 0
	v_subb_co_u32_e32 v15, vcc, 0, v5, vcc
	v_lshl_add_u64 v[14:15], v[14:15], 0, v[10:11]
	v_cmp_gt_i64_e32 vcc, v[14:15], v[12:13]
	v_not_b32_e32 v16, v10
	v_mov_b32_e32 v24, 0
	v_cndmask_b32_e32 v15, v13, v15, vcc
	v_cndmask_b32_e32 v14, v12, v14, vcc
	v_sub_co_u32_e32 v18, vcc, v4, v0
	v_mov_b32_e32 v25, 0
	s_nop 0
	v_subbrev_co_u32_e32 v19, vcc, 0, v5, vcc
	v_lshl_add_u64 v[16:17], v[18:19], 0, v[16:17]
	v_lshl_add_u64 v[14:15], v[16:17], 0, v[14:15]
	v_lshrrev_b64 v[16:17], 4, v[14:15]
	v_lshl_add_u64 v[16:17], v[16:17], 0, 1
	v_cmp_lt_u64_e32 vcc, 47, v[14:15]
	v_mov_b32_e32 v26, 0
	v_mov_b32_e32 v1, 0
	v_mov_b64_e32 v[18:19], v[8:9]
	v_mov_b64_e32 v[14:15], v[6:7]
	s_and_saveexec_b64 s[10:11], vcc
	s_cbranch_execz .LBB72_25
; %bb.22:
	v_lshl_add_u64 v[14:15], v[8:9], 3, s[8:9]
	s_mov_b64 s[12:13], 0x100
	v_mov_b32_e32 v1, 0
	v_and_b32_e32 v20, -4, v16
	v_mov_b32_e32 v21, v17
	v_lshl_add_u64 v[22:23], v[14:15], 0, s[12:13]
	s_mov_b64 s[12:13], 0
	s_mov_b32 s20, 0xc0c0100
	s_mov_b32 s21, 0xc0c0302
	;; [unrolled: 1-line block ×3, first 2 shown]
	s_mov_b64 s[14:15], 0x400
	s_mov_b64 s[16:17], 0x200
	v_mov_b64_e32 v[14:15], v[6:7]
	v_mov_b64_e32 v[18:19], v[8:9]
	v_mov_b32_e32 v26, v1
	v_mov_b32_e32 v25, v1
	;; [unrolled: 1-line block ×3, first 2 shown]
.LBB72_23:                              ; =>This Inner Loop Header: Depth=1
	global_load_dwordx2 v[44:45], v[22:23], off offset:-256
	global_load_dwordx2 v[46:47], v[22:23], off offset:-128
	global_load_dwordx2 v[48:49], v[22:23], off
	global_load_dwordx2 v[50:51], v[22:23], off offset:128
	global_load_dwordx4 v[28:31], v[14:15], off
	global_load_dwordx4 v[32:35], v[14:15], off offset:256
	global_load_dwordx4 v[36:39], v[14:15], off offset:512
	;; [unrolled: 1-line block ×3, first 2 shown]
	v_lshl_add_u64 v[20:21], v[20:21], 0, -4
	v_lshl_add_u64 v[14:15], v[14:15], 0, s[14:15]
	v_lshl_add_u64 v[18:19], v[18:19], 0, 64
	;; [unrolled: 1-line block ×3, first 2 shown]
	s_waitcnt vmcnt(7)
	v_sub_co_u32_e32 v44, vcc, v44, v4
	s_nop 1
	v_subb_co_u32_e32 v45, vcc, v45, v5, vcc
	s_waitcnt vmcnt(6)
	v_sub_co_u32_e32 v46, vcc, v46, v4
	s_waitcnt lgkmcnt(0)
	v_lshl_add_u64 v[44:45], v[44:45], 2, s[4:5]
	v_subb_co_u32_e32 v47, vcc, v47, v5, vcc
	s_waitcnt vmcnt(5)
	v_sub_co_u32_e32 v48, vcc, v48, v4
	v_lshl_add_u64 v[46:47], v[46:47], 2, s[4:5]
	s_nop 0
	v_subb_co_u32_e32 v49, vcc, v49, v5, vcc
	s_waitcnt vmcnt(4)
	v_sub_co_u32_e32 v50, vcc, v50, v4
	v_lshl_add_u64 v[48:49], v[48:49], 2, s[4:5]
	s_nop 0
	v_subb_co_u32_e32 v51, vcc, v51, v5, vcc
	v_lshl_add_u64 v[50:51], v[50:51], 2, s[4:5]
	global_load_dword v17, v[44:45], off
	global_load_dword v27, v[50:51], off
	;; [unrolled: 1-line block ×4, first 2 shown]
	s_waitcnt vmcnt(7)
	v_perm_b32 v44, v31, v31, s20
	v_perm_b32 v45, v30, v30, s20
	;; [unrolled: 1-line block ×8, first 2 shown]
	s_waitcnt vmcnt(4)
	v_bfe_i32 v48, v40, 0, 8
	v_bfe_i32 v49, v41, 0, 8
	;; [unrolled: 1-line block ×4, first 2 shown]
	v_cmp_eq_u64_e32 vcc, 0, v[20:21]
	v_perm_b32 v40, v40, v40, s22
	v_perm_b32 v41, v41, v41, s22
	;; [unrolled: 1-line block ×4, first 2 shown]
	s_or_b64 s[12:13], vcc, s[12:13]
	s_waitcnt vmcnt(3)
	v_perm_b32 v54, v17, v17, s20
	v_perm_b32 v17, v17, v17, s21
	v_dot4c_i32_i8_e32 v1, v44, v54
	v_dot4c_i32_i8_e32 v26, v45, v54
	;; [unrolled: 1-line block ×8, first 2 shown]
	s_waitcnt vmcnt(1)
	v_dot4c_i32_i8_e32 v1, v52, v35
	v_dot4c_i32_i8_e32 v26, v52, v34
	;; [unrolled: 1-line block ×4, first 2 shown]
	v_bfe_i32 v55, v27, 0, 8
	s_waitcnt vmcnt(0)
	v_dot4c_i32_i8_e32 v24, v53, v36
	v_dot4c_i32_i8_e32 v25, v53, v37
	;; [unrolled: 1-line block ×4, first 2 shown]
	v_perm_b32 v27, v27, v27, s22
	v_mad_i32_i24 v25, v49, v55, v25
	v_mad_i32_i24 v26, v50, v55, v26
	;; [unrolled: 1-line block ×4, first 2 shown]
	v_dot4c_i32_i8_e32 v24, v27, v40
	v_dot4c_i32_i8_e32 v25, v27, v41
	;; [unrolled: 1-line block ×4, first 2 shown]
	s_andn2_b64 exec, exec, s[12:13]
	s_cbranch_execnz .LBB72_23
; %bb.24:
	s_or_b64 exec, exec, s[12:13]
.LBB72_25:
	s_or_b64 exec, exec, s[10:11]
	v_and_b32_e32 v16, 3, v16
	v_mov_b32_e32 v17, 0
	s_mov_b64 s[12:13], 0
	v_cmp_ne_u64_e32 vcc, 0, v[16:17]
	s_and_saveexec_b64 s[10:11], vcc
	s_cbranch_execz .LBB72_29
; %bb.26:
	v_lshl_add_u64 v[18:19], v[18:19], 3, s[8:9]
	v_lshlrev_b32_e32 v16, 1, v16
	s_mov_b64 s[14:15], 0x100
	s_mov_b64 s[16:17], 0x80
.LBB72_27:                              ; =>This Inner Loop Header: Depth=1
	global_load_dwordx2 v[28:29], v[18:19], off
	global_load_dwordx4 v[20:23], v[14:15], off
	v_lshl_add_u64 v[16:17], v[16:17], 0, -2
	v_lshl_add_u64 v[14:15], v[14:15], 0, s[14:15]
	v_lshl_add_u64 v[18:19], v[18:19], 0, s[16:17]
	s_waitcnt vmcnt(1)
	v_sub_co_u32_e32 v28, vcc, v28, v4
	s_nop 1
	v_subb_co_u32_e32 v29, vcc, v29, v5, vcc
	s_waitcnt lgkmcnt(0)
	v_lshl_add_u64 v[28:29], v[28:29], 2, s[4:5]
	global_load_dword v27, v[28:29], off
	v_cmp_eq_u64_e32 vcc, 0, v[16:17]
	s_or_b64 s[12:13], vcc, s[12:13]
	s_waitcnt vmcnt(0)
	v_dot4c_i32_i8_e32 v24, v27, v20
	v_dot4c_i32_i8_e32 v25, v27, v21
	;; [unrolled: 1-line block ×4, first 2 shown]
	s_andn2_b64 exec, exec, s[12:13]
	s_cbranch_execnz .LBB72_27
; %bb.28:
	s_or_b64 exec, exec, s[12:13]
.LBB72_29:
	s_or_b64 exec, exec, s[10:11]
.LBB72_30:
	s_or_b64 exec, exec, s[6:7]
	s_cbranch_execz .LBB72_32
	s_branch .LBB72_43
.LBB72_31:
                                        ; implicit-def: $vgpr26
                                        ; implicit-def: $vgpr25
                                        ; implicit-def: $vgpr24
.LBB72_32:
	v_mov_b32_e32 v1, 0
	v_mov_b32_e32 v26, 0
	;; [unrolled: 1-line block ×4, first 2 shown]
	s_and_saveexec_b64 s[6:7], s[2:3]
	s_cbranch_execz .LBB72_42
; %bb.33:
	v_or_b32_e32 v1, 16, v0
	v_sub_co_u32_e32 v14, vcc, v1, v4
	v_mov_b32_e32 v24, 0
	s_nop 0
	v_subb_co_u32_e32 v15, vcc, 0, v5, vcc
	v_lshl_add_u64 v[14:15], v[14:15], 0, v[10:11]
	v_cmp_gt_i64_e32 vcc, v[14:15], v[12:13]
	v_not_b32_e32 v11, v11
	v_not_b32_e32 v10, v10
	v_cndmask_b32_e32 v13, v13, v15, vcc
	v_cndmask_b32_e32 v12, v12, v14, vcc
	v_sub_co_u32_e32 v14, vcc, v4, v0
	v_mov_b32_e32 v25, 0
	s_nop 0
	v_subbrev_co_u32_e32 v15, vcc, 0, v5, vcc
	v_lshl_add_u64 v[10:11], v[14:15], 0, v[10:11]
	v_lshl_add_u64 v[12:13], v[10:11], 0, v[12:13]
	v_lshrrev_b64 v[10:11], 4, v[12:13]
	v_lshl_add_u64 v[10:11], v[10:11], 0, 1
	v_cmp_lt_u64_e32 vcc, 47, v[12:13]
	v_mov_b32_e32 v26, 0
	v_mov_b32_e32 v1, 0
	s_and_saveexec_b64 s[2:3], vcc
	s_cbranch_execz .LBB72_37
; %bb.34:
	v_lshl_add_u64 v[14:15], v[8:9], 3, s[8:9]
	s_mov_b64 s[10:11], 0x100
	v_and_b32_e32 v12, -4, v10
	v_mov_b32_e32 v13, v11
	v_lshl_add_u64 v[14:15], v[14:15], 0, s[10:11]
	v_mov_b32_e32 v24, 0
	s_mov_b64 s[10:11], 0
	s_mov_b32 s16, 0x5040100
	s_mov_b32 s17, 0xc0c0703
	;; [unrolled: 1-line block ×19, first 2 shown]
	s_mov_b64 s[12:13], 0x400
	s_mov_b64 s[14:15], 0x200
	v_mov_b32_e32 v25, 0
	v_mov_b32_e32 v26, 0
	;; [unrolled: 1-line block ×3, first 2 shown]
.LBB72_35:                              ; =>This Inner Loop Header: Depth=1
	global_load_dwordx2 v[36:37], v[14:15], off offset:-256
	global_load_dwordx4 v[16:19], v[6:7], off
	global_load_dwordx2 v[38:39], v[14:15], off offset:-128
	global_load_dwordx2 v[40:41], v[14:15], off
	global_load_dwordx2 v[42:43], v[14:15], off offset:128
	global_load_dwordx4 v[20:23], v[6:7], off offset:256
	global_load_dwordx4 v[28:31], v[6:7], off offset:512
	;; [unrolled: 1-line block ×3, first 2 shown]
	v_lshl_add_u64 v[12:13], v[12:13], 0, -4
	v_cmp_eq_u64_e32 vcc, 0, v[12:13]
	s_or_b64 s[10:11], vcc, s[10:11]
	v_lshl_add_u64 v[6:7], v[6:7], 0, s[12:13]
	v_lshl_add_u64 v[8:9], v[8:9], 0, 64
	;; [unrolled: 1-line block ×3, first 2 shown]
	s_waitcnt vmcnt(7)
	v_sub_co_u32_e32 v36, vcc, v36, v4
	s_nop 1
	v_subb_co_u32_e32 v37, vcc, v37, v5, vcc
	s_waitcnt vmcnt(5)
	v_sub_co_u32_e32 v38, vcc, v38, v4
	v_perm_b32 v44, v19, v18, s17
	s_nop 0
	v_subb_co_u32_e32 v39, vcc, v39, v5, vcc
	s_waitcnt vmcnt(4)
	v_sub_co_u32_e32 v40, vcc, v40, v4
	v_perm_b32 v45, v19, v18, s21
	s_nop 0
	v_subb_co_u32_e32 v41, vcc, v41, v5, vcc
	v_perm_b32 v46, v19, v18, s22
	v_perm_b32 v47, v19, v18, s23
	s_waitcnt vmcnt(3)
	v_sub_co_u32_e32 v18, vcc, v42, v4
	s_waitcnt lgkmcnt(0)
	v_lshl_add_u64 v[36:37], v[36:37], 2, s[4:5]
	v_subb_co_u32_e32 v19, vcc, v43, v5, vcc
	v_lshl_add_u64 v[38:39], v[38:39], 2, s[4:5]
	v_lshl_add_u64 v[40:41], v[40:41], 2, s[4:5]
	;; [unrolled: 1-line block ×3, first 2 shown]
	global_load_dword v42, v[36:37], off
	global_load_dword v43, v[18:19], off
	;; [unrolled: 1-line block ×4, first 2 shown]
	s_waitcnt vmcnt(6)
	v_perm_b32 v48, v21, v20, s23
	v_perm_b32 v49, v23, v22, s24
	;; [unrolled: 1-line block ×8, first 2 shown]
	s_waitcnt vmcnt(5)
	v_perm_b32 v21, v29, v28, s17
	v_perm_b32 v22, v31, v30, s27
	;; [unrolled: 1-line block ×8, first 2 shown]
	s_waitcnt vmcnt(4)
	v_lshrrev_b32_e32 v30, 16, v32
	v_lshrrev_b32_e32 v11, 16, v17
	v_or_b32_e32 v19, v20, v19
	v_or_b32_e32 v20, v22, v21
	;; [unrolled: 1-line block ×4, first 2 shown]
	v_ashrrev_i16_e32 v28, 8, v30
	v_bfe_i32 v29, v30, 0, 8
	v_ashrrev_i16_e32 v27, 8, v17
	v_bfe_i32 v17, v17, 0, 8
	v_perm_b32 v39, v35, v34, s28
	v_perm_b32 v41, v35, v34, s31
	;; [unrolled: 1-line block ×4, first 2 shown]
	v_ashrrev_i16_e32 v35, 8, v11
	v_bfe_i32 v11, v11, 0, 8
	v_perm_b32 v28, v28, v29, s16
	v_ashrrev_i16_e32 v31, 8, v32
	v_bfe_i32 v32, v32, 0, 8
	v_perm_b32 v40, v33, v33, s29
	v_perm_b32 v17, v27, v17, s16
	;; [unrolled: 1-line block ×7, first 2 shown]
	v_or_b32_e32 v31, v39, v40
	v_or_b32_e32 v22, v38, v37
	;; [unrolled: 1-line block ×8, first 2 shown]
	s_waitcnt vmcnt(3)
	v_lshrrev_b32_e32 v29, 8, v42
	v_bfe_i32 v29, v29, 0, 8
	s_waitcnt vmcnt(2)
	v_bfe_i32 v39, v43, 0, 8
	v_pk_mul_lo_u16 v17, v29, v17 op_sel_hi:[0,1]
	v_pk_mul_lo_u16 v11, v29, v11 op_sel_hi:[0,1]
	v_mul_i32_i24_sdwa v34, sext(v42), sext(v16) dst_sel:DWORD dst_unused:UNUSED_PAD src0_sel:BYTE_0 src1_sel:BYTE_1
	v_mul_i32_i24_sdwa v35, sext(v42), sext(v16) dst_sel:DWORD dst_unused:UNUSED_PAD src0_sel:BYTE_0 src1_sel:BYTE_0
	v_mul_i32_i24_sdwa v37, sext(v42), sext(v16) dst_sel:DWORD dst_unused:UNUSED_PAD src0_sel:BYTE_0 src1_sel:BYTE_3
	v_mul_i32_i24_sdwa v16, sext(v42), sext(v16) dst_sel:DWORD dst_unused:UNUSED_PAD src0_sel:BYTE_0 src1_sel:BYTE_2
	v_pk_mul_lo_u16 v30, v39, v30 op_sel_hi:[0,1]
	v_pk_mul_lo_u16 v28, v39, v28 op_sel_hi:[0,1]
	v_bfe_i32 v29, v11, 0, 16
	v_ashrrev_i32_e32 v39, 16, v17
	v_bfe_i32 v17, v17, 0, 16
	v_ashrrev_i32_e32 v11, 16, v11
	v_perm_b32 v38, v42, v42, s20
	v_add3_u32 v1, v37, v1, v11
	v_add3_u32 v11, v35, v24, v17
	;; [unrolled: 1-line block ×4, first 2 shown]
	v_dot4c_i32_i8_e32 v1, v38, v44
	v_dot4c_i32_i8_e32 v16, v38, v45
	;; [unrolled: 1-line block ×4, first 2 shown]
	s_waitcnt vmcnt(1)
	v_dot4c_i32_i8_e32 v11, v53, v27
	v_dot4c_i32_i8_e32 v17, v53, v48
	v_dot4c_i32_i8_e32 v16, v53, v18
	v_dot4c_i32_i8_e32 v1, v53, v19
	s_waitcnt vmcnt(0)
	v_dot4c_i32_i8_e32 v1, v54, v20
	v_dot4c_i32_i8_e32 v16, v54, v21
	;; [unrolled: 1-line block ×4, first 2 shown]
	v_perm_b32 v40, v43, v43, s30
	v_add_u32_sdwa v26, v16, sext(v28) dst_sel:DWORD dst_unused:UNUSED_PAD src0_sel:DWORD src1_sel:WORD_0
	v_add_u32_sdwa v25, v17, sext(v30) dst_sel:DWORD dst_unused:UNUSED_PAD src0_sel:DWORD src1_sel:WORD_1
	v_add_u32_sdwa v24, v11, sext(v30) dst_sel:DWORD dst_unused:UNUSED_PAD src0_sel:DWORD src1_sel:WORD_0
	v_add_u32_sdwa v1, v1, sext(v28) dst_sel:DWORD dst_unused:UNUSED_PAD src0_sel:DWORD src1_sel:WORD_1
	v_dot4c_i32_i8_e32 v1, v40, v31
	v_dot4c_i32_i8_e32 v26, v40, v32
	;; [unrolled: 1-line block ×4, first 2 shown]
	s_andn2_b64 exec, exec, s[10:11]
	s_cbranch_execnz .LBB72_35
; %bb.36:
	s_or_b64 exec, exec, s[10:11]
.LBB72_37:
	s_or_b64 exec, exec, s[2:3]
	v_and_b32_e32 v10, 3, v10
	v_mov_b32_e32 v11, 0
	s_mov_b64 s[10:11], 0
	v_cmp_ne_u64_e32 vcc, 0, v[10:11]
	s_and_saveexec_b64 s[2:3], vcc
	s_cbranch_execz .LBB72_41
; %bb.38:
	v_lshl_add_u64 v[8:9], v[8:9], 3, s[8:9]
	v_lshlrev_b32_e32 v10, 1, v10
	s_mov_b32 s14, 0xc0c0400
	s_mov_b32 s15, 0x4000c0c
	;; [unrolled: 1-line block ×8, first 2 shown]
	s_mov_b64 s[8:9], 0x80
	s_mov_b64 s[12:13], 0x100
.LBB72_39:                              ; =>This Inner Loop Header: Depth=1
	global_load_dwordx2 v[16:17], v[8:9], off
	global_load_dwordx4 v[12:15], v[6:7], off
	v_lshl_add_u64 v[10:11], v[10:11], 0, -2
	v_lshl_add_u64 v[8:9], v[8:9], 0, s[8:9]
	v_lshl_add_u64 v[6:7], v[6:7], 0, s[12:13]
	s_waitcnt vmcnt(1)
	v_sub_co_u32_e32 v16, vcc, v16, v4
	s_nop 1
	v_subb_co_u32_e32 v17, vcc, v17, v5, vcc
	s_waitcnt lgkmcnt(0)
	v_lshl_add_u64 v[16:17], v[16:17], 2, s[4:5]
	global_load_dword v16, v[16:17], off
	s_waitcnt vmcnt(1)
	v_perm_b32 v17, v13, v12, s14
	v_perm_b32 v18, v15, v14, s15
	;; [unrolled: 1-line block ×8, first 2 shown]
	v_cmp_eq_u64_e32 vcc, 0, v[10:11]
	v_or_b32_e32 v14, v18, v17
	v_or_b32_e32 v15, v20, v19
	;; [unrolled: 1-line block ×4, first 2 shown]
	s_or_b64 s[10:11], vcc, s[10:11]
	s_waitcnt vmcnt(0)
	v_dot4c_i32_i8_e32 v24, v16, v14
	v_dot4c_i32_i8_e32 v25, v16, v15
	;; [unrolled: 1-line block ×4, first 2 shown]
	s_andn2_b64 exec, exec, s[10:11]
	s_cbranch_execnz .LBB72_39
; %bb.40:
	s_or_b64 exec, exec, s[10:11]
.LBB72_41:
	s_or_b64 exec, exec, s[2:3]
.LBB72_42:
	s_or_b64 exec, exec, s[6:7]
.LBB72_43:
	v_mov_b32_dpp v4, v24 row_shr:1 row_mask:0xf bank_mask:0xf
	v_mov_b32_dpp v5, v25 row_shr:1 row_mask:0xf bank_mask:0xf
	v_mov_b32_dpp v6, v26 row_shr:1 row_mask:0xf bank_mask:0xf
	v_mov_b32_dpp v7, v1 row_shr:1 row_mask:0xf bank_mask:0xf
	v_add_u32_e32 v1, v7, v1
	v_add_u32_e32 v6, v6, v26
	v_add_u32_e32 v5, v5, v25
	v_add_u32_e32 v4, v4, v24
	v_mov_b32_dpp v9, v6 row_shr:2 row_mask:0xf bank_mask:0xf
	v_mov_b32_dpp v8, v5 row_shr:2 row_mask:0xf bank_mask:0xf
	v_mov_b32_dpp v7, v4 row_shr:2 row_mask:0xf bank_mask:0xf
	v_mov_b32_dpp v10, v1 row_shr:2 row_mask:0xf bank_mask:0xf
	v_add_u32_e32 v1, v1, v10
	v_add_u32_e32 v6, v6, v9
	v_add_u32_e32 v5, v5, v8
	v_add_u32_e32 v7, v4, v7
	;; [unrolled: 8-line block ×3, first 2 shown]
	v_mov_b32_dpp v9, v4 row_shr:8 row_mask:0xf bank_mask:0xc
	v_mov_b32_dpp v8, v5 row_shr:8 row_mask:0xf bank_mask:0xc
	;; [unrolled: 1-line block ×4, first 2 shown]
	v_cmp_eq_u32_e32 vcc, 15, v0
	s_and_b64 exec, exec, vcc
	s_cbranch_execz .LBB72_14
; %bb.44:
	s_load_dwordx2 s[0:1], s[0:1], 0x58
	v_add_u32_e32 v1, v1, v10
	v_add_u32_e32 v9, v4, v9
	v_add_u32_e32 v8, v5, v8
	v_add_u32_e32 v0, v6, v7
	s_cmp_eq_u32 s19, 0
	s_waitcnt lgkmcnt(0)
	v_lshl_add_u64 v[4:5], v[2:3], 4, s[0:1]
	v_mul_lo_u32 v0, v0, s18
	v_mul_lo_u32 v8, v8, s18
	;; [unrolled: 1-line block ×4, first 2 shown]
	s_cbranch_scc1 .LBB72_46
; %bb.45:
	global_load_dwordx4 v[10:13], v[4:5], off
	s_waitcnt vmcnt(0)
	v_mad_u64_u32 v[14:15], s[0:1], v11, s19, v[8:9]
	v_mad_u64_u32 v[10:11], s[0:1], v10, s19, v[0:1]
	v_mad_u64_u32 v[16:17], s[0:1], v13, s19, v[6:7]
	v_mad_u64_u32 v[12:13], s[0:1], v12, s19, v[2:3]
	v_mov_b32_e32 v11, v14
	v_mov_b32_e32 v13, v16
	global_store_dwordx4 v[4:5], v[10:13], off
	s_cbranch_execnz .LBB72_14
	s_branch .LBB72_47
.LBB72_46:
.LBB72_47:
	v_mov_b32_e32 v1, v8
	v_mov_b32_e32 v3, v6
	global_store_dwordx4 v[4:5], v[0:3], off
	s_endpgm
	.section	.rodata,"a",@progbits
	.p2align	6, 0x0
	.amdhsa_kernel _ZN9rocsparseL18bsrxmvn_4x4_kernelILj128ELj16EillaaiEEvT3_20rocsparse_direction_NS_24const_host_device_scalarIT1_EES1_PKS1_PKT2_SA_S7_PKT4_PKT5_S5_PT6_21rocsparse_index_base_b
		.amdhsa_group_segment_fixed_size 0
		.amdhsa_private_segment_fixed_size 0
		.amdhsa_kernarg_size 104
		.amdhsa_user_sgpr_count 2
		.amdhsa_user_sgpr_dispatch_ptr 0
		.amdhsa_user_sgpr_queue_ptr 0
		.amdhsa_user_sgpr_kernarg_segment_ptr 1
		.amdhsa_user_sgpr_dispatch_id 0
		.amdhsa_user_sgpr_kernarg_preload_length 0
		.amdhsa_user_sgpr_kernarg_preload_offset 0
		.amdhsa_user_sgpr_private_segment_size 0
		.amdhsa_uses_dynamic_stack 0
		.amdhsa_enable_private_segment 0
		.amdhsa_system_sgpr_workgroup_id_x 1
		.amdhsa_system_sgpr_workgroup_id_y 0
		.amdhsa_system_sgpr_workgroup_id_z 0
		.amdhsa_system_sgpr_workgroup_info 0
		.amdhsa_system_vgpr_workitem_id 0
		.amdhsa_next_free_vgpr 58
		.amdhsa_next_free_sgpr 38
		.amdhsa_accum_offset 60
		.amdhsa_reserve_vcc 1
		.amdhsa_float_round_mode_32 0
		.amdhsa_float_round_mode_16_64 0
		.amdhsa_float_denorm_mode_32 3
		.amdhsa_float_denorm_mode_16_64 3
		.amdhsa_dx10_clamp 1
		.amdhsa_ieee_mode 1
		.amdhsa_fp16_overflow 0
		.amdhsa_tg_split 0
		.amdhsa_exception_fp_ieee_invalid_op 0
		.amdhsa_exception_fp_denorm_src 0
		.amdhsa_exception_fp_ieee_div_zero 0
		.amdhsa_exception_fp_ieee_overflow 0
		.amdhsa_exception_fp_ieee_underflow 0
		.amdhsa_exception_fp_ieee_inexact 0
		.amdhsa_exception_int_div_zero 0
	.end_amdhsa_kernel
	.section	.text._ZN9rocsparseL18bsrxmvn_4x4_kernelILj128ELj16EillaaiEEvT3_20rocsparse_direction_NS_24const_host_device_scalarIT1_EES1_PKS1_PKT2_SA_S7_PKT4_PKT5_S5_PT6_21rocsparse_index_base_b,"axG",@progbits,_ZN9rocsparseL18bsrxmvn_4x4_kernelILj128ELj16EillaaiEEvT3_20rocsparse_direction_NS_24const_host_device_scalarIT1_EES1_PKS1_PKT2_SA_S7_PKT4_PKT5_S5_PT6_21rocsparse_index_base_b,comdat
.Lfunc_end72:
	.size	_ZN9rocsparseL18bsrxmvn_4x4_kernelILj128ELj16EillaaiEEvT3_20rocsparse_direction_NS_24const_host_device_scalarIT1_EES1_PKS1_PKT2_SA_S7_PKT4_PKT5_S5_PT6_21rocsparse_index_base_b, .Lfunc_end72-_ZN9rocsparseL18bsrxmvn_4x4_kernelILj128ELj16EillaaiEEvT3_20rocsparse_direction_NS_24const_host_device_scalarIT1_EES1_PKS1_PKT2_SA_S7_PKT4_PKT5_S5_PT6_21rocsparse_index_base_b
                                        ; -- End function
	.set _ZN9rocsparseL18bsrxmvn_4x4_kernelILj128ELj16EillaaiEEvT3_20rocsparse_direction_NS_24const_host_device_scalarIT1_EES1_PKS1_PKT2_SA_S7_PKT4_PKT5_S5_PT6_21rocsparse_index_base_b.num_vgpr, 58
	.set _ZN9rocsparseL18bsrxmvn_4x4_kernelILj128ELj16EillaaiEEvT3_20rocsparse_direction_NS_24const_host_device_scalarIT1_EES1_PKS1_PKT2_SA_S7_PKT4_PKT5_S5_PT6_21rocsparse_index_base_b.num_agpr, 0
	.set _ZN9rocsparseL18bsrxmvn_4x4_kernelILj128ELj16EillaaiEEvT3_20rocsparse_direction_NS_24const_host_device_scalarIT1_EES1_PKS1_PKT2_SA_S7_PKT4_PKT5_S5_PT6_21rocsparse_index_base_b.numbered_sgpr, 38
	.set _ZN9rocsparseL18bsrxmvn_4x4_kernelILj128ELj16EillaaiEEvT3_20rocsparse_direction_NS_24const_host_device_scalarIT1_EES1_PKS1_PKT2_SA_S7_PKT4_PKT5_S5_PT6_21rocsparse_index_base_b.num_named_barrier, 0
	.set _ZN9rocsparseL18bsrxmvn_4x4_kernelILj128ELj16EillaaiEEvT3_20rocsparse_direction_NS_24const_host_device_scalarIT1_EES1_PKS1_PKT2_SA_S7_PKT4_PKT5_S5_PT6_21rocsparse_index_base_b.private_seg_size, 0
	.set _ZN9rocsparseL18bsrxmvn_4x4_kernelILj128ELj16EillaaiEEvT3_20rocsparse_direction_NS_24const_host_device_scalarIT1_EES1_PKS1_PKT2_SA_S7_PKT4_PKT5_S5_PT6_21rocsparse_index_base_b.uses_vcc, 1
	.set _ZN9rocsparseL18bsrxmvn_4x4_kernelILj128ELj16EillaaiEEvT3_20rocsparse_direction_NS_24const_host_device_scalarIT1_EES1_PKS1_PKT2_SA_S7_PKT4_PKT5_S5_PT6_21rocsparse_index_base_b.uses_flat_scratch, 0
	.set _ZN9rocsparseL18bsrxmvn_4x4_kernelILj128ELj16EillaaiEEvT3_20rocsparse_direction_NS_24const_host_device_scalarIT1_EES1_PKS1_PKT2_SA_S7_PKT4_PKT5_S5_PT6_21rocsparse_index_base_b.has_dyn_sized_stack, 0
	.set _ZN9rocsparseL18bsrxmvn_4x4_kernelILj128ELj16EillaaiEEvT3_20rocsparse_direction_NS_24const_host_device_scalarIT1_EES1_PKS1_PKT2_SA_S7_PKT4_PKT5_S5_PT6_21rocsparse_index_base_b.has_recursion, 0
	.set _ZN9rocsparseL18bsrxmvn_4x4_kernelILj128ELj16EillaaiEEvT3_20rocsparse_direction_NS_24const_host_device_scalarIT1_EES1_PKS1_PKT2_SA_S7_PKT4_PKT5_S5_PT6_21rocsparse_index_base_b.has_indirect_call, 0
	.section	.AMDGPU.csdata,"",@progbits
; Kernel info:
; codeLenInByte = 3388
; TotalNumSgprs: 44
; NumVgprs: 58
; NumAgprs: 0
; TotalNumVgprs: 58
; ScratchSize: 0
; MemoryBound: 0
; FloatMode: 240
; IeeeMode: 1
; LDSByteSize: 0 bytes/workgroup (compile time only)
; SGPRBlocks: 5
; VGPRBlocks: 7
; NumSGPRsForWavesPerEU: 44
; NumVGPRsForWavesPerEU: 58
; AccumOffset: 60
; Occupancy: 8
; WaveLimiterHint : 1
; COMPUTE_PGM_RSRC2:SCRATCH_EN: 0
; COMPUTE_PGM_RSRC2:USER_SGPR: 2
; COMPUTE_PGM_RSRC2:TRAP_HANDLER: 0
; COMPUTE_PGM_RSRC2:TGID_X_EN: 1
; COMPUTE_PGM_RSRC2:TGID_Y_EN: 0
; COMPUTE_PGM_RSRC2:TGID_Z_EN: 0
; COMPUTE_PGM_RSRC2:TIDIG_COMP_CNT: 0
; COMPUTE_PGM_RSRC3_GFX90A:ACCUM_OFFSET: 14
; COMPUTE_PGM_RSRC3_GFX90A:TG_SPLIT: 0
	.section	.text._ZN9rocsparseL18bsrxmvn_4x4_kernelILj128ELj32EillaaiEEvT3_20rocsparse_direction_NS_24const_host_device_scalarIT1_EES1_PKS1_PKT2_SA_S7_PKT4_PKT5_S5_PT6_21rocsparse_index_base_b,"axG",@progbits,_ZN9rocsparseL18bsrxmvn_4x4_kernelILj128ELj32EillaaiEEvT3_20rocsparse_direction_NS_24const_host_device_scalarIT1_EES1_PKS1_PKT2_SA_S7_PKT4_PKT5_S5_PT6_21rocsparse_index_base_b,comdat
	.globl	_ZN9rocsparseL18bsrxmvn_4x4_kernelILj128ELj32EillaaiEEvT3_20rocsparse_direction_NS_24const_host_device_scalarIT1_EES1_PKS1_PKT2_SA_S7_PKT4_PKT5_S5_PT6_21rocsparse_index_base_b ; -- Begin function _ZN9rocsparseL18bsrxmvn_4x4_kernelILj128ELj32EillaaiEEvT3_20rocsparse_direction_NS_24const_host_device_scalarIT1_EES1_PKS1_PKT2_SA_S7_PKT4_PKT5_S5_PT6_21rocsparse_index_base_b
	.p2align	8
	.type	_ZN9rocsparseL18bsrxmvn_4x4_kernelILj128ELj32EillaaiEEvT3_20rocsparse_direction_NS_24const_host_device_scalarIT1_EES1_PKS1_PKT2_SA_S7_PKT4_PKT5_S5_PT6_21rocsparse_index_base_b,@function
_ZN9rocsparseL18bsrxmvn_4x4_kernelILj128ELj32EillaaiEEvT3_20rocsparse_direction_NS_24const_host_device_scalarIT1_EES1_PKS1_PKT2_SA_S7_PKT4_PKT5_S5_PT6_21rocsparse_index_base_b: ; @_ZN9rocsparseL18bsrxmvn_4x4_kernelILj128ELj32EillaaiEEvT3_20rocsparse_direction_NS_24const_host_device_scalarIT1_EES1_PKS1_PKT2_SA_S7_PKT4_PKT5_S5_PT6_21rocsparse_index_base_b
; %bb.0:
	s_load_dwordx2 s[8:9], s[0:1], 0x60
	s_load_dwordx4 s[4:7], s[0:1], 0x10
	s_mov_b64 s[14:15], -1
                                        ; implicit-def: $sgpr20
	s_waitcnt lgkmcnt(0)
	s_bitcmp1_b32 s9, 0
	s_cselect_b64 s[10:11], -1, 0
	s_xor_b64 s[12:13], s[10:11], -1
	s_and_b64 vcc, exec, s[12:13]
	s_cbranch_vccnz .LBB73_4
; %bb.1:
	s_load_dwordx2 s[10:11], s[0:1], 0x50
	s_andn2_b64 vcc, exec, s[14:15]
	s_cbranch_vccz .LBB73_5
.LBB73_2:
	s_and_b64 vcc, exec, s[12:13]
	s_cbranch_vccz .LBB73_6
.LBB73_3:
	s_waitcnt lgkmcnt(0)
	s_load_dword s21, s[10:11], 0x0
	s_cbranch_execz .LBB73_7
	s_branch .LBB73_8
.LBB73_4:
	s_load_dword s20, s[4:5], 0x0
	s_load_dwordx2 s[10:11], s[0:1], 0x50
	s_cbranch_execnz .LBB73_2
.LBB73_5:
	s_waitcnt lgkmcnt(0)
	s_mov_b32 s20, s4
	s_and_b64 vcc, exec, s[12:13]
	s_cbranch_vccnz .LBB73_3
.LBB73_6:
                                        ; implicit-def: $sgpr21
.LBB73_7:
	s_waitcnt lgkmcnt(0)
	s_mov_b32 s21, s10
.LBB73_8:
	s_waitcnt lgkmcnt(0)
	s_cmp_lg_u32 s20, 0
	s_cselect_b64 s[4:5], -1, 0
	s_cmp_lg_u32 s21, 1
	s_cselect_b64 s[10:11], -1, 0
	s_or_b64 s[4:5], s[4:5], s[10:11]
	s_andn2_b64 vcc, exec, s[4:5]
	s_cbranch_vccnz .LBB73_14
; %bb.9:
	s_load_dwordx2 s[4:5], s[0:1], 0x20
	v_lshrrev_b32_e32 v1, 5, v0
	v_lshl_or_b32 v6, s2, 2, v1
	v_mov_b32_e32 v7, 0
	s_mov_b64 s[2:3], 0
	s_waitcnt lgkmcnt(0)
	s_cmp_lg_u64 s[4:5], 0
	s_cbranch_scc0 .LBB73_15
; %bb.10:
	v_cmp_gt_i64_e32 vcc, s[6:7], v[6:7]
                                        ; implicit-def: $vgpr2_vgpr3
                                        ; implicit-def: $vgpr4_vgpr5
	s_and_saveexec_b64 s[6:7], vcc
	s_xor_b64 s[6:7], exec, s[6:7]
	s_cbranch_execz .LBB73_12
; %bb.11:
	v_lshl_add_u64 v[2:3], v[6:7], 3, s[4:5]
	global_load_dwordx2 v[2:3], v[2:3], off
	s_mov_b32 s9, 0
	s_mov_b64 s[2:3], exec
	v_mov_b64_e32 v[4:5], s[8:9]
	s_waitcnt vmcnt(0)
	v_subrev_co_u32_e32 v2, vcc, s8, v2
	s_nop 1
	v_subbrev_co_u32_e32 v3, vcc, 0, v3, vcc
.LBB73_12:
	s_or_b64 exec, exec, s[6:7]
.LBB73_13:
	s_and_saveexec_b64 s[4:5], s[2:3]
	s_cbranch_execnz .LBB73_19
.LBB73_14:
	s_endpgm
.LBB73_15:
                                        ; implicit-def: $vgpr2_vgpr3
                                        ; implicit-def: $vgpr4_vgpr5
	s_cbranch_execz .LBB73_13
; %bb.16:
	s_load_dwordx2 s[4:5], s[0:1], 0x0
	s_waitcnt lgkmcnt(0)
	v_cmp_gt_i64_e32 vcc, s[4:5], v[6:7]
	s_and_saveexec_b64 s[4:5], vcc
; %bb.17:
	s_mov_b32 s9, 0
	s_or_b64 s[2:3], s[2:3], exec
; %bb.18:
	s_or_b64 exec, exec, s[4:5]
	v_mov_b64_e32 v[4:5], s[8:9]
	v_mov_b64_e32 v[2:3], v[6:7]
	s_and_saveexec_b64 s[4:5], s[2:3]
	s_cbranch_execz .LBB73_14
.LBB73_19:
	s_load_dwordx8 s[4:11], s[0:1], 0x28
	v_lshlrev_b64 v[6:7], 3, v[2:3]
	s_load_dword s2, s[0:1], 0x8
	v_and_b32_e32 v0, 31, v0
	v_mov_b32_e32 v1, 0
	s_waitcnt lgkmcnt(0)
	v_lshl_add_u64 v[8:9], s[4:5], 0, v[6:7]
	s_cmp_eq_u64 s[6:7], 0
	v_lshl_add_u64 v[6:7], s[6:7], 0, v[6:7]
	global_load_dwordx2 v[10:11], v[8:9], off
	v_lshl_add_u64 v[8:9], v[8:9], 0, 8
	s_cselect_b64 vcc, -1, 0
	v_cndmask_b32_e32 v7, v7, v9, vcc
	v_cndmask_b32_e32 v6, v6, v8, vcc
	global_load_dwordx2 v[6:7], v[6:7], off
	s_load_dwordx2 s[4:5], s[0:1], 0x48
	s_cmp_eq_u32 s2, 1
	s_waitcnt vmcnt(1)
	v_sub_co_u32_e32 v8, vcc, v10, v4
	s_nop 1
	v_subb_co_u32_e32 v9, vcc, v11, v5, vcc
	v_lshl_add_u64 v[8:9], v[8:9], 0, v[0:1]
	s_waitcnt vmcnt(0)
	v_sub_co_u32_e32 v12, vcc, v6, v4
	s_nop 1
	v_subb_co_u32_e32 v13, vcc, v7, v5, vcc
	v_lshl_add_u64 v[6:7], v[8:9], 4, s[10:11]
	v_cmp_lt_i64_e64 s[2:3], v[8:9], v[12:13]
	s_cbranch_scc1 .LBB73_31
; %bb.20:
	v_mov_b32_e32 v25, v1
	v_mov_b32_e32 v26, v1
	;; [unrolled: 1-line block ×3, first 2 shown]
	s_and_saveexec_b64 s[6:7], s[2:3]
	s_cbranch_execz .LBB73_30
; %bb.21:
	v_or_b32_e32 v1, 32, v0
	v_sub_co_u32_e32 v14, vcc, v1, v4
	v_not_b32_e32 v17, v11
	s_nop 0
	v_subb_co_u32_e32 v15, vcc, 0, v5, vcc
	v_lshl_add_u64 v[14:15], v[14:15], 0, v[10:11]
	v_cmp_gt_i64_e32 vcc, v[14:15], v[12:13]
	v_not_b32_e32 v16, v10
	s_mov_b64 s[10:11], 0x5f
	v_cndmask_b32_e32 v15, v13, v15, vcc
	v_cndmask_b32_e32 v14, v12, v14, vcc
	v_sub_co_u32_e32 v18, vcc, v4, v0
	v_mov_b32_e32 v24, 0
	s_nop 0
	v_subbrev_co_u32_e32 v19, vcc, 0, v5, vcc
	v_lshl_add_u64 v[16:17], v[18:19], 0, v[16:17]
	v_lshl_add_u64 v[14:15], v[16:17], 0, v[14:15]
	v_lshrrev_b64 v[16:17], 5, v[14:15]
	v_lshl_add_u64 v[16:17], v[16:17], 0, 1
	v_cmp_lt_u64_e32 vcc, s[10:11], v[14:15]
	v_mov_b32_e32 v26, 0
	v_mov_b32_e32 v25, 0
	;; [unrolled: 1-line block ×3, first 2 shown]
	v_mov_b64_e32 v[18:19], v[8:9]
	v_mov_b64_e32 v[14:15], v[6:7]
	s_and_saveexec_b64 s[10:11], vcc
	s_cbranch_execz .LBB73_25
; %bb.22:
	v_lshl_add_u64 v[14:15], v[8:9], 3, s[8:9]
	s_mov_b64 s[12:13], 0x200
	v_mov_b32_e32 v1, 0
	v_and_b32_e32 v20, -4, v16
	v_mov_b32_e32 v21, v17
	v_lshl_add_u64 v[22:23], v[14:15], 0, s[12:13]
	s_mov_b64 s[12:13], 0
	s_mov_b32 s22, 0x7060100
	s_mov_b32 s23, 0xc0c0100
	;; [unrolled: 1-line block ×9, first 2 shown]
	s_mov_b64 s[14:15], 0x800
	s_mov_b64 s[16:17], 0x80
	;; [unrolled: 1-line block ×3, first 2 shown]
	v_mov_b64_e32 v[14:15], v[6:7]
	v_mov_b64_e32 v[18:19], v[8:9]
	v_mov_b32_e32 v25, v1
	v_mov_b32_e32 v26, v1
	v_mov_b32_e32 v24, v1
.LBB73_23:                              ; =>This Inner Loop Header: Depth=1
	global_load_dwordx2 v[44:45], v[22:23], off offset:-512
	global_load_dwordx2 v[46:47], v[22:23], off offset:-256
	global_load_dwordx2 v[48:49], v[22:23], off
	global_load_dwordx2 v[50:51], v[22:23], off offset:256
	global_load_dwordx4 v[28:31], v[14:15], off
	global_load_dwordx4 v[32:35], v[14:15], off offset:512
	global_load_dwordx4 v[36:39], v[14:15], off offset:1024
	;; [unrolled: 1-line block ×3, first 2 shown]
	v_lshl_add_u64 v[20:21], v[20:21], 0, -4
	v_lshl_add_u64 v[14:15], v[14:15], 0, s[14:15]
	v_lshl_add_u64 v[18:19], v[18:19], 0, s[16:17]
	;; [unrolled: 1-line block ×3, first 2 shown]
	s_waitcnt vmcnt(7)
	v_sub_co_u32_e32 v44, vcc, v44, v4
	s_nop 1
	v_subb_co_u32_e32 v45, vcc, v45, v5, vcc
	s_waitcnt vmcnt(6)
	v_sub_co_u32_e32 v46, vcc, v46, v4
	s_waitcnt lgkmcnt(0)
	v_lshl_add_u64 v[44:45], v[44:45], 2, s[4:5]
	v_subb_co_u32_e32 v47, vcc, v47, v5, vcc
	s_waitcnt vmcnt(5)
	v_sub_co_u32_e32 v48, vcc, v48, v4
	v_lshl_add_u64 v[46:47], v[46:47], 2, s[4:5]
	s_nop 0
	v_subb_co_u32_e32 v49, vcc, v49, v5, vcc
	s_waitcnt vmcnt(4)
	v_sub_co_u32_e32 v50, vcc, v50, v4
	v_lshl_add_u64 v[48:49], v[48:49], 2, s[4:5]
	s_nop 0
	v_subb_co_u32_e32 v51, vcc, v51, v5, vcc
	v_lshl_add_u64 v[50:51], v[50:51], 2, s[4:5]
	global_load_dword v17, v[44:45], off
	global_load_dword v27, v[46:47], off
	;; [unrolled: 1-line block ×4, first 2 shown]
	s_waitcnt vmcnt(7)
	v_perm_b32 v28, v28, v28, s22
	v_perm_b32 v44, v29, v29, s23
	;; [unrolled: 1-line block ×3, first 2 shown]
	s_waitcnt vmcnt(6)
	v_lshrrev_b16_e32 v46, 8, v35
	v_bfe_i32 v47, v32, 0, 8
	v_perm_b32 v29, v33, v29, s25
	v_perm_b32 v30, v34, v30, s25
	s_waitcnt vmcnt(5)
	v_perm_b32 v48, v39, v31, s26
	v_perm_b32 v49, v39, v31, s27
	;; [unrolled: 1-line block ×7, first 2 shown]
	s_waitcnt vmcnt(4)
	v_perm_b32 v39, v40, v36, s25
	v_perm_b32 v51, v43, v43, s30
	;; [unrolled: 1-line block ×4, first 2 shown]
	v_cmp_eq_u64_e32 vcc, 0, v[20:21]
	v_perm_b32 v40, v40, v40, s30
	s_or_b64 s[12:13], vcc, s[12:13]
	s_waitcnt vmcnt(3)
	v_dot4c_i32_i8_e32 v24, v17, v28
	v_perm_b32 v28, v17, v17, s23
	s_waitcnt vmcnt(2)
	v_bfe_i32 v59, v27, 0, 8
	v_lshrrev_b16_e32 v62, 8, v27
	v_mul_i32_i24_sdwa v60, sext(v35), sext(v27) dst_sel:DWORD dst_unused:UNUSED_PAD src0_sel:BYTE_2 src1_sel:BYTE_2
	v_mul_i32_i24_sdwa v61, sext(v35), sext(v27) dst_sel:DWORD dst_unused:UNUSED_PAD src0_sel:BYTE_3 src1_sel:BYTE_3
	v_perm_b32 v64, v27, v17, s25
	s_waitcnt vmcnt(1)
	v_perm_b32 v65, v52, v17, s26
	v_perm_b32 v66, v52, v17, s27
	;; [unrolled: 1-line block ×4, first 2 shown]
	v_mul_i32_i24_sdwa v35, sext(v35), v59 dst_sel:DWORD dst_unused:UNUSED_PAD src0_sel:BYTE_0 src1_sel:DWORD
	v_dot4c_i32_i8_e32 v26, v28, v44
	v_dot4c_i32_i8_e32 v25, v28, v45
	v_mul_i32_i24_sdwa v28, sext(v46), sext(v62) dst_sel:DWORD dst_unused:UNUSED_PAD src0_sel:BYTE_0 src1_sel:BYTE_0
	v_lshrrev_b16_e32 v57, 8, v52
	v_perm_b32 v63, v27, v27, s24
	v_perm_b32 v27, v52, v27, s25
	v_mad_i32_i24 v24, v59, v47, v24
	v_dot4c_i32_i8_e32 v61, v48, v65
	v_dot4c_i32_i8_e32 v60, v50, v67
	;; [unrolled: 1-line block ×6, first 2 shown]
	s_waitcnt vmcnt(0)
	v_mul_i32_i24_sdwa v56, sext(v43), sext(v53) dst_sel:DWORD dst_unused:UNUSED_PAD src0_sel:BYTE_0 src1_sel:BYTE_0
	v_mul_i32_i24_sdwa v58, sext(v52), sext(v36) dst_sel:DWORD dst_unused:UNUSED_PAD src0_sel:BYTE_0 src1_sel:BYTE_0
	v_mul_i32_i24_sdwa v36, sext(v57), sext(v36) dst_sel:DWORD dst_unused:UNUSED_PAD src0_sel:BYTE_0 src1_sel:BYTE_1
	v_dot4c_i32_i8_e32 v24, v63, v32
	v_dot4c_i32_i8_e32 v26, v27, v33
	;; [unrolled: 1-line block ×3, first 2 shown]
	v_add_u32_e32 v17, v28, v61
	v_add_u32_e32 v27, v35, v60
	v_mul_i32_i24_sdwa v43, sext(v43), sext(v53) dst_sel:DWORD dst_unused:UNUSED_PAD src0_sel:BYTE_1 src1_sel:BYTE_1
	v_perm_b32 v42, v42, v52, s25
	v_perm_b32 v41, v41, v52, s25
	;; [unrolled: 1-line block ×5, first 2 shown]
	v_add3_u32 v24, v24, v58, v36
	v_add3_u32 v17, v27, v17, v56
	v_perm_b32 v53, v53, v53, s30
	v_dot4c_i32_i8_e32 v25, v42, v38
	v_dot4c_i32_i8_e32 v26, v41, v37
	;; [unrolled: 1-line block ×3, first 2 shown]
	v_add3_u32 v1, v17, v1, v43
	v_dot4c_i32_i8_e32 v24, v53, v40
	v_dot4c_i32_i8_e32 v26, v53, v54
	;; [unrolled: 1-line block ×4, first 2 shown]
	s_andn2_b64 exec, exec, s[12:13]
	s_cbranch_execnz .LBB73_23
; %bb.24:
	s_or_b64 exec, exec, s[12:13]
.LBB73_25:
	s_or_b64 exec, exec, s[10:11]
	v_and_b32_e32 v16, 3, v16
	v_mov_b32_e32 v17, 0
	s_mov_b64 s[12:13], 0
	v_cmp_ne_u64_e32 vcc, 0, v[16:17]
	s_and_saveexec_b64 s[10:11], vcc
	s_cbranch_execz .LBB73_29
; %bb.26:
	v_lshl_add_u64 v[18:19], v[18:19], 3, s[8:9]
	v_lshlrev_b32_e32 v16, 1, v16
	s_mov_b32 s18, 0xc030201
	s_mov_b64 s[14:15], 0x100
	s_mov_b64 s[16:17], 0x200
.LBB73_27:                              ; =>This Inner Loop Header: Depth=1
	global_load_dwordx2 v[28:29], v[18:19], off
	global_load_dwordx4 v[20:23], v[14:15], off
	v_lshl_add_u64 v[16:17], v[16:17], 0, -2
	v_lshl_add_u64 v[18:19], v[18:19], 0, s[14:15]
	v_lshl_add_u64 v[14:15], v[14:15], 0, s[16:17]
	s_waitcnt vmcnt(1)
	v_sub_co_u32_e32 v28, vcc, v28, v4
	s_nop 1
	v_subb_co_u32_e32 v29, vcc, v29, v5, vcc
	s_waitcnt lgkmcnt(0)
	v_lshl_add_u64 v[28:29], v[28:29], 2, s[4:5]
	global_load_dword v27, v[28:29], off
	s_waitcnt vmcnt(1)
	v_bfe_i32 v28, v20, 0, 8
	v_bfe_i32 v29, v21, 0, 8
	;; [unrolled: 1-line block ×4, first 2 shown]
	v_cmp_eq_u64_e32 vcc, 0, v[16:17]
	v_perm_b32 v20, v20, v20, s18
	v_perm_b32 v21, v21, v21, s18
	v_perm_b32 v22, v22, v22, s18
	v_perm_b32 v23, v23, v23, s18
	s_or_b64 s[12:13], vcc, s[12:13]
	s_waitcnt vmcnt(0)
	v_bfe_i32 v32, v27, 0, 8
	v_perm_b32 v27, v27, v27, s18
	v_mad_i32_i24 v1, v31, v32, v1
	v_mad_i32_i24 v25, v30, v32, v25
	;; [unrolled: 1-line block ×4, first 2 shown]
	v_dot4c_i32_i8_e32 v24, v27, v20
	v_dot4c_i32_i8_e32 v26, v27, v21
	;; [unrolled: 1-line block ×4, first 2 shown]
	s_andn2_b64 exec, exec, s[12:13]
	s_cbranch_execnz .LBB73_27
; %bb.28:
	s_or_b64 exec, exec, s[12:13]
.LBB73_29:
	s_or_b64 exec, exec, s[10:11]
.LBB73_30:
	s_or_b64 exec, exec, s[6:7]
	s_cbranch_execz .LBB73_32
	s_branch .LBB73_43
.LBB73_31:
                                        ; implicit-def: $vgpr25
                                        ; implicit-def: $vgpr26
                                        ; implicit-def: $vgpr24
.LBB73_32:
	v_mov_b32_e32 v1, 0
	v_mov_b32_e32 v25, 0
	;; [unrolled: 1-line block ×4, first 2 shown]
	s_and_saveexec_b64 s[6:7], s[2:3]
	s_cbranch_execz .LBB73_42
; %bb.33:
	v_or_b32_e32 v1, 32, v0
	v_sub_co_u32_e32 v14, vcc, v1, v4
	s_mov_b64 s[2:3], 0x5f
	s_nop 0
	v_subb_co_u32_e32 v15, vcc, 0, v5, vcc
	v_lshl_add_u64 v[14:15], v[14:15], 0, v[10:11]
	v_cmp_gt_i64_e32 vcc, v[14:15], v[12:13]
	v_not_b32_e32 v11, v11
	v_not_b32_e32 v10, v10
	v_cndmask_b32_e32 v13, v13, v15, vcc
	v_cndmask_b32_e32 v12, v12, v14, vcc
	v_sub_co_u32_e32 v14, vcc, v4, v0
	v_mov_b32_e32 v24, 0
	s_nop 0
	v_subbrev_co_u32_e32 v15, vcc, 0, v5, vcc
	v_lshl_add_u64 v[10:11], v[14:15], 0, v[10:11]
	v_lshl_add_u64 v[12:13], v[10:11], 0, v[12:13]
	v_lshrrev_b64 v[10:11], 5, v[12:13]
	v_lshl_add_u64 v[10:11], v[10:11], 0, 1
	v_cmp_lt_u64_e32 vcc, s[2:3], v[12:13]
	v_mov_b32_e32 v26, 0
	v_mov_b32_e32 v25, 0
	;; [unrolled: 1-line block ×3, first 2 shown]
	s_and_saveexec_b64 s[2:3], vcc
	s_cbranch_execz .LBB73_37
; %bb.34:
	v_lshl_add_u64 v[14:15], v[8:9], 3, s[8:9]
	s_mov_b64 s[10:11], 0x200
	v_and_b32_e32 v12, -4, v10
	v_mov_b32_e32 v13, v11
	v_lshl_add_u64 v[14:15], v[14:15], 0, s[10:11]
	v_mov_b32_e32 v24, 0
	s_mov_b64 s[10:11], 0
	s_mov_b32 s18, 0xc0c0501
	s_mov_b32 s19, 0xc0c0100
	;; [unrolled: 1-line block ×13, first 2 shown]
	s_mov_b64 s[12:13], 0x800
	s_mov_b64 s[14:15], 0x80
	;; [unrolled: 1-line block ×3, first 2 shown]
	v_mov_b32_e32 v26, 0
	v_mov_b32_e32 v25, 0
	;; [unrolled: 1-line block ×3, first 2 shown]
.LBB73_35:                              ; =>This Inner Loop Header: Depth=1
	global_load_dwordx2 v[36:37], v[14:15], off offset:-512
	global_load_dwordx2 v[38:39], v[14:15], off offset:-256
	global_load_dwordx2 v[40:41], v[14:15], off
	global_load_dwordx2 v[42:43], v[14:15], off offset:256
	global_load_dwordx4 v[16:19], v[6:7], off
	global_load_dwordx4 v[20:23], v[6:7], off offset:512
	global_load_dwordx4 v[28:31], v[6:7], off offset:1024
	;; [unrolled: 1-line block ×3, first 2 shown]
	v_lshl_add_u64 v[12:13], v[12:13], 0, -4
	v_cmp_eq_u64_e32 vcc, 0, v[12:13]
	s_or_b64 s[10:11], vcc, s[10:11]
	v_lshl_add_u64 v[6:7], v[6:7], 0, s[12:13]
	v_lshl_add_u64 v[8:9], v[8:9], 0, s[14:15]
	;; [unrolled: 1-line block ×3, first 2 shown]
	s_waitcnt vmcnt(7)
	v_sub_co_u32_e32 v36, vcc, v36, v4
	s_nop 1
	v_subb_co_u32_e32 v37, vcc, v37, v5, vcc
	s_waitcnt vmcnt(3)
	v_perm_b32 v27, v17, v16, s18
	v_perm_b32 v44, v17, v16, s22
	;; [unrolled: 1-line block ×4, first 2 shown]
	v_sub_co_u32_e32 v16, vcc, v38, v4
	s_waitcnt lgkmcnt(0)
	v_lshl_add_u64 v[36:37], v[36:37], 2, s[4:5]
	v_subb_co_u32_e32 v17, vcc, v39, v5, vcc
	v_sub_co_u32_e32 v38, vcc, v40, v4
	v_lshl_add_u64 v[16:17], v[16:17], 2, s[4:5]
	s_nop 0
	v_subb_co_u32_e32 v39, vcc, v41, v5, vcc
	v_sub_co_u32_e32 v40, vcc, v42, v4
	v_lshl_add_u64 v[38:39], v[38:39], 2, s[4:5]
	s_nop 0
	v_subb_co_u32_e32 v41, vcc, v43, v5, vcc
	v_lshl_add_u64 v[40:41], v[40:41], 2, s[4:5]
	global_load_dword v42, v[36:37], off
	global_load_dword v43, v[40:41], off
	;; [unrolled: 1-line block ×4, first 2 shown]
	s_waitcnt vmcnt(6)
	v_perm_b32 v16, v20, v19, s23
	v_perm_b32 v17, v20, v19, s24
	;; [unrolled: 1-line block ×5, first 2 shown]
	s_waitcnt vmcnt(5)
	v_perm_b32 v37, v28, v23, s27
	v_perm_b32 v38, v22, v21, s18
	;; [unrolled: 1-line block ×7, first 2 shown]
	s_waitcnt vmcnt(4)
	v_lshrrev_b32_e32 v23, 16, v33
	v_perm_b32 v28, v30, v29, s23
	v_perm_b32 v51, v30, v29, s24
	;; [unrolled: 1-line block ×5, first 2 shown]
	v_lshrrev_b32_e32 v11, 16, v18
	v_perm_b32 v50, v32, v31, s31
	v_perm_b32 v52, v32, v31, s30
	v_perm_b32 v54, v32, v31, s29
	v_ashrrev_i16_e32 v31, 8, v33
	v_bfe_i32 v32, v33, 0, 8
	v_or_b32_e32 v29, v30, v29
	v_ashrrev_i16_e32 v30, 8, v23
	v_bfe_i32 v23, v23, 0, 8
	v_ashrrev_i16_e32 v47, 8, v18
	v_bfe_i32 v18, v18, 0, 8
	v_perm_b32 v33, v35, v34, s23
	v_perm_b32 v55, v35, v34, s24
	v_perm_b32 v56, v35, v34, s18
	v_perm_b32 v34, v35, v34, s22
	v_ashrrev_i16_e32 v35, 8, v11
	v_bfe_i32 v11, v11, 0, 8
	v_perm_b32 v31, v31, v32, s25
	v_perm_b32 v23, v30, v23, s25
	;; [unrolled: 1-line block ×4, first 2 shown]
	v_or_b32_e32 v20, v37, v20
	v_or_b32_e32 v37, v39, v38
	;; [unrolled: 1-line block ×7, first 2 shown]
	s_waitcnt vmcnt(3)
	v_lshrrev_b32_e32 v30, 16, v42
	v_perm_b32 v32, v42, v42, s19
	v_dot4c_i32_i8_e32 v26, v32, v27
	v_bfe_i32 v27, v30, 0, 8
	v_dot4c_i32_i8_e32 v24, v32, v44
	v_dot4c_i32_i8_e32 v1, v32, v45
	;; [unrolled: 1-line block ×3, first 2 shown]
	v_pk_mul_lo_u16 v18, v27, v18 op_sel_hi:[0,1]
	v_pk_mul_lo_u16 v11, v27, v11 op_sel_hi:[0,1]
	s_waitcnt vmcnt(1)
	v_perm_b32 v40, v48, v42, s26
	v_add_u32_sdwa v24, v24, sext(v18) dst_sel:DWORD dst_unused:UNUSED_PAD src0_sel:DWORD src1_sel:WORD_0
	v_add_u32_sdwa v18, v26, sext(v18) dst_sel:DWORD dst_unused:UNUSED_PAD src0_sel:DWORD src1_sel:WORD_1
	v_add_u32_sdwa v25, v25, sext(v11) dst_sel:DWORD dst_unused:UNUSED_PAD src0_sel:DWORD src1_sel:WORD_0
	v_add_u32_sdwa v1, v1, sext(v11) dst_sel:DWORD dst_unused:UNUSED_PAD src0_sel:DWORD src1_sel:WORD_1
	v_lshrrev_b32_e32 v35, 8, v43
	s_waitcnt vmcnt(0)
	v_perm_b32 v41, v49, v48, s28
	v_dot4c_i32_i8_e32 v1, v40, v16
	v_dot4c_i32_i8_e32 v25, v40, v17
	;; [unrolled: 1-line block ×4, first 2 shown]
	v_perm_b32 v42, v43, v49, s28
	v_bfe_i32 v30, v35, 0, 8
	v_dot4c_i32_i8_e32 v24, v41, v20
	v_dot4c_i32_i8_e32 v18, v41, v37
	;; [unrolled: 1-line block ×4, first 2 shown]
	v_pk_mul_lo_u16 v27, v30, v31 op_sel_hi:[0,1]
	v_pk_mul_lo_u16 v23, v30, v23 op_sel_hi:[0,1]
	v_dot4c_i32_i8_e32 v1, v42, v22
	v_dot4c_i32_i8_e32 v25, v42, v28
	;; [unrolled: 1-line block ×4, first 2 shown]
	v_perm_b32 v43, v43, v43, s33
	v_add_u32_sdwa v25, v25, sext(v23) dst_sel:DWORD dst_unused:UNUSED_PAD src0_sel:DWORD src1_sel:WORD_0
	v_add_u32_sdwa v26, v18, sext(v27) dst_sel:DWORD dst_unused:UNUSED_PAD src0_sel:DWORD src1_sel:WORD_1
	v_add_u32_sdwa v24, v24, sext(v27) dst_sel:DWORD dst_unused:UNUSED_PAD src0_sel:DWORD src1_sel:WORD_0
	v_add_u32_sdwa v1, v1, sext(v23) dst_sel:DWORD dst_unused:UNUSED_PAD src0_sel:DWORD src1_sel:WORD_1
	v_dot4c_i32_i8_e32 v1, v43, v33
	v_dot4c_i32_i8_e32 v25, v43, v55
	;; [unrolled: 1-line block ×4, first 2 shown]
	s_andn2_b64 exec, exec, s[10:11]
	s_cbranch_execnz .LBB73_35
; %bb.36:
	s_or_b64 exec, exec, s[10:11]
.LBB73_37:
	s_or_b64 exec, exec, s[2:3]
	v_and_b32_e32 v10, 3, v10
	v_mov_b32_e32 v11, 0
	s_mov_b64 s[10:11], 0
	v_cmp_ne_u64_e32 vcc, 0, v[10:11]
	s_and_saveexec_b64 s[2:3], vcc
	s_cbranch_execz .LBB73_41
; %bb.38:
	v_lshl_add_u64 v[8:9], v[8:9], 3, s[8:9]
	v_lshlrev_b32_e32 v10, 1, v10
	s_mov_b32 s14, 0x5040100
	s_mov_b32 s15, 0xc04000c
	;; [unrolled: 1-line block ×10, first 2 shown]
	s_mov_b64 s[8:9], 0x100
	s_mov_b64 s[12:13], 0x200
.LBB73_39:                              ; =>This Inner Loop Header: Depth=1
	global_load_dwordx2 v[16:17], v[8:9], off
	global_load_dwordx4 v[12:15], v[6:7], off
	v_lshl_add_u64 v[10:11], v[10:11], 0, -2
	v_lshl_add_u64 v[8:9], v[8:9], 0, s[8:9]
	v_lshl_add_u64 v[6:7], v[6:7], 0, s[12:13]
	s_waitcnt vmcnt(1)
	v_sub_co_u32_e32 v16, vcc, v16, v4
	s_nop 1
	v_subb_co_u32_e32 v17, vcc, v17, v5, vcc
	s_waitcnt lgkmcnt(0)
	v_lshl_add_u64 v[16:17], v[16:17], 2, s[4:5]
	global_load_dword v16, v[16:17], off
	s_waitcnt vmcnt(1)
	v_lshrrev_b32_e32 v17, 16, v12
	v_ashrrev_i16_e32 v18, 8, v12
	v_ashrrev_i32_e32 v19, 24, v12
	v_bfe_i32 v12, v12, 0, 8
	v_perm_b32 v20, v15, v14, s15
	v_perm_b32 v21, v13, v13, s16
	;; [unrolled: 1-line block ×8, first 2 shown]
	v_bfe_i32 v15, v17, 0, 8
	v_perm_b32 v12, v18, v12, s14
	v_or_b32_e32 v13, v14, v13
	v_perm_b32 v14, v19, v15, s14
	v_cmp_eq_u64_e32 vcc, 0, v[10:11]
	v_or_b32_e32 v17, v20, v21
	v_or_b32_e32 v18, v22, v23
	v_or_b32_e32 v20, v27, v28
	s_or_b64 s[10:11], vcc, s[10:11]
	s_waitcnt vmcnt(0)
	v_bfe_i32 v15, v16, 0, 8
	v_pk_mul_lo_u16 v14, v15, v14 op_sel_hi:[0,1]
	v_pk_mul_lo_u16 v12, v15, v12 op_sel_hi:[0,1]
	v_perm_b32 v16, v16, v16, s17
	v_add_u32_sdwa v1, v1, sext(v14) dst_sel:DWORD dst_unused:UNUSED_PAD src0_sel:DWORD src1_sel:WORD_1
	v_add_u32_sdwa v25, v25, sext(v14) dst_sel:DWORD dst_unused:UNUSED_PAD src0_sel:DWORD src1_sel:WORD_0
	v_add_u32_sdwa v26, v26, sext(v12) dst_sel:DWORD dst_unused:UNUSED_PAD src0_sel:DWORD src1_sel:WORD_1
	v_add_u32_sdwa v24, v24, sext(v12) dst_sel:DWORD dst_unused:UNUSED_PAD src0_sel:DWORD src1_sel:WORD_0
	v_dot4c_i32_i8_e32 v24, v16, v17
	v_dot4c_i32_i8_e32 v26, v16, v18
	;; [unrolled: 1-line block ×4, first 2 shown]
	s_andn2_b64 exec, exec, s[10:11]
	s_cbranch_execnz .LBB73_39
; %bb.40:
	s_or_b64 exec, exec, s[10:11]
.LBB73_41:
	s_or_b64 exec, exec, s[2:3]
.LBB73_42:
	s_or_b64 exec, exec, s[6:7]
.LBB73_43:
	v_mov_b32_dpp v4, v24 row_shr:1 row_mask:0xf bank_mask:0xf
	v_mov_b32_dpp v5, v26 row_shr:1 row_mask:0xf bank_mask:0xf
	v_mov_b32_dpp v6, v25 row_shr:1 row_mask:0xf bank_mask:0xf
	v_mov_b32_dpp v7, v1 row_shr:1 row_mask:0xf bank_mask:0xf
	v_add_u32_e32 v1, v7, v1
	v_add_u32_e32 v6, v6, v25
	v_add_u32_e32 v5, v5, v26
	v_add_u32_e32 v4, v4, v24
	v_mov_b32_dpp v9, v6 row_shr:2 row_mask:0xf bank_mask:0xf
	v_mov_b32_dpp v8, v5 row_shr:2 row_mask:0xf bank_mask:0xf
	v_mov_b32_dpp v7, v4 row_shr:2 row_mask:0xf bank_mask:0xf
	v_mov_b32_dpp v10, v1 row_shr:2 row_mask:0xf bank_mask:0xf
	v_add_u32_e32 v1, v1, v10
	v_add_u32_e32 v6, v6, v9
	v_add_u32_e32 v5, v5, v8
	v_add_u32_e32 v4, v4, v7
	;; [unrolled: 8-line block ×4, first 2 shown]
	v_mov_b32_dpp v9, v4 row_bcast:15 row_mask:0xa bank_mask:0xf
	v_mov_b32_dpp v8, v5 row_bcast:15 row_mask:0xa bank_mask:0xf
	;; [unrolled: 1-line block ×4, first 2 shown]
	v_cmp_eq_u32_e32 vcc, 31, v0
	s_and_b64 exec, exec, vcc
	s_cbranch_execz .LBB73_14
; %bb.44:
	s_load_dwordx2 s[0:1], s[0:1], 0x58
	v_add_u32_e32 v1, v1, v10
	v_add_u32_e32 v9, v4, v9
	;; [unrolled: 1-line block ×4, first 2 shown]
	s_cmp_eq_u32 s21, 0
	s_waitcnt lgkmcnt(0)
	v_lshl_add_u64 v[4:5], v[2:3], 4, s[0:1]
	v_mul_lo_u32 v0, v0, s20
	v_mul_lo_u32 v8, v8, s20
	;; [unrolled: 1-line block ×4, first 2 shown]
	s_cbranch_scc1 .LBB73_46
; %bb.45:
	global_load_dwordx4 v[10:13], v[4:5], off
	s_waitcnt vmcnt(0)
	v_mad_u64_u32 v[14:15], s[0:1], v11, s21, v[8:9]
	v_mad_u64_u32 v[10:11], s[0:1], v10, s21, v[0:1]
	;; [unrolled: 1-line block ×4, first 2 shown]
	v_mov_b32_e32 v11, v14
	v_mov_b32_e32 v13, v16
	global_store_dwordx4 v[4:5], v[10:13], off
	s_cbranch_execnz .LBB73_14
	s_branch .LBB73_47
.LBB73_46:
.LBB73_47:
	v_mov_b32_e32 v1, v8
	v_mov_b32_e32 v3, v6
	global_store_dwordx4 v[4:5], v[0:3], off
	s_endpgm
	.section	.rodata,"a",@progbits
	.p2align	6, 0x0
	.amdhsa_kernel _ZN9rocsparseL18bsrxmvn_4x4_kernelILj128ELj32EillaaiEEvT3_20rocsparse_direction_NS_24const_host_device_scalarIT1_EES1_PKS1_PKT2_SA_S7_PKT4_PKT5_S5_PT6_21rocsparse_index_base_b
		.amdhsa_group_segment_fixed_size 0
		.amdhsa_private_segment_fixed_size 0
		.amdhsa_kernarg_size 104
		.amdhsa_user_sgpr_count 2
		.amdhsa_user_sgpr_dispatch_ptr 0
		.amdhsa_user_sgpr_queue_ptr 0
		.amdhsa_user_sgpr_kernarg_segment_ptr 1
		.amdhsa_user_sgpr_dispatch_id 0
		.amdhsa_user_sgpr_kernarg_preload_length 0
		.amdhsa_user_sgpr_kernarg_preload_offset 0
		.amdhsa_user_sgpr_private_segment_size 0
		.amdhsa_uses_dynamic_stack 0
		.amdhsa_enable_private_segment 0
		.amdhsa_system_sgpr_workgroup_id_x 1
		.amdhsa_system_sgpr_workgroup_id_y 0
		.amdhsa_system_sgpr_workgroup_id_z 0
		.amdhsa_system_sgpr_workgroup_info 0
		.amdhsa_system_vgpr_workitem_id 0
		.amdhsa_next_free_vgpr 68
		.amdhsa_next_free_sgpr 34
		.amdhsa_accum_offset 68
		.amdhsa_reserve_vcc 1
		.amdhsa_float_round_mode_32 0
		.amdhsa_float_round_mode_16_64 0
		.amdhsa_float_denorm_mode_32 3
		.amdhsa_float_denorm_mode_16_64 3
		.amdhsa_dx10_clamp 1
		.amdhsa_ieee_mode 1
		.amdhsa_fp16_overflow 0
		.amdhsa_tg_split 0
		.amdhsa_exception_fp_ieee_invalid_op 0
		.amdhsa_exception_fp_denorm_src 0
		.amdhsa_exception_fp_ieee_div_zero 0
		.amdhsa_exception_fp_ieee_overflow 0
		.amdhsa_exception_fp_ieee_underflow 0
		.amdhsa_exception_fp_ieee_inexact 0
		.amdhsa_exception_int_div_zero 0
	.end_amdhsa_kernel
	.section	.text._ZN9rocsparseL18bsrxmvn_4x4_kernelILj128ELj32EillaaiEEvT3_20rocsparse_direction_NS_24const_host_device_scalarIT1_EES1_PKS1_PKT2_SA_S7_PKT4_PKT5_S5_PT6_21rocsparse_index_base_b,"axG",@progbits,_ZN9rocsparseL18bsrxmvn_4x4_kernelILj128ELj32EillaaiEEvT3_20rocsparse_direction_NS_24const_host_device_scalarIT1_EES1_PKS1_PKT2_SA_S7_PKT4_PKT5_S5_PT6_21rocsparse_index_base_b,comdat
.Lfunc_end73:
	.size	_ZN9rocsparseL18bsrxmvn_4x4_kernelILj128ELj32EillaaiEEvT3_20rocsparse_direction_NS_24const_host_device_scalarIT1_EES1_PKS1_PKT2_SA_S7_PKT4_PKT5_S5_PT6_21rocsparse_index_base_b, .Lfunc_end73-_ZN9rocsparseL18bsrxmvn_4x4_kernelILj128ELj32EillaaiEEvT3_20rocsparse_direction_NS_24const_host_device_scalarIT1_EES1_PKS1_PKT2_SA_S7_PKT4_PKT5_S5_PT6_21rocsparse_index_base_b
                                        ; -- End function
	.set _ZN9rocsparseL18bsrxmvn_4x4_kernelILj128ELj32EillaaiEEvT3_20rocsparse_direction_NS_24const_host_device_scalarIT1_EES1_PKS1_PKT2_SA_S7_PKT4_PKT5_S5_PT6_21rocsparse_index_base_b.num_vgpr, 68
	.set _ZN9rocsparseL18bsrxmvn_4x4_kernelILj128ELj32EillaaiEEvT3_20rocsparse_direction_NS_24const_host_device_scalarIT1_EES1_PKS1_PKT2_SA_S7_PKT4_PKT5_S5_PT6_21rocsparse_index_base_b.num_agpr, 0
	.set _ZN9rocsparseL18bsrxmvn_4x4_kernelILj128ELj32EillaaiEEvT3_20rocsparse_direction_NS_24const_host_device_scalarIT1_EES1_PKS1_PKT2_SA_S7_PKT4_PKT5_S5_PT6_21rocsparse_index_base_b.numbered_sgpr, 34
	.set _ZN9rocsparseL18bsrxmvn_4x4_kernelILj128ELj32EillaaiEEvT3_20rocsparse_direction_NS_24const_host_device_scalarIT1_EES1_PKS1_PKT2_SA_S7_PKT4_PKT5_S5_PT6_21rocsparse_index_base_b.num_named_barrier, 0
	.set _ZN9rocsparseL18bsrxmvn_4x4_kernelILj128ELj32EillaaiEEvT3_20rocsparse_direction_NS_24const_host_device_scalarIT1_EES1_PKS1_PKT2_SA_S7_PKT4_PKT5_S5_PT6_21rocsparse_index_base_b.private_seg_size, 0
	.set _ZN9rocsparseL18bsrxmvn_4x4_kernelILj128ELj32EillaaiEEvT3_20rocsparse_direction_NS_24const_host_device_scalarIT1_EES1_PKS1_PKT2_SA_S7_PKT4_PKT5_S5_PT6_21rocsparse_index_base_b.uses_vcc, 1
	.set _ZN9rocsparseL18bsrxmvn_4x4_kernelILj128ELj32EillaaiEEvT3_20rocsparse_direction_NS_24const_host_device_scalarIT1_EES1_PKS1_PKT2_SA_S7_PKT4_PKT5_S5_PT6_21rocsparse_index_base_b.uses_flat_scratch, 0
	.set _ZN9rocsparseL18bsrxmvn_4x4_kernelILj128ELj32EillaaiEEvT3_20rocsparse_direction_NS_24const_host_device_scalarIT1_EES1_PKS1_PKT2_SA_S7_PKT4_PKT5_S5_PT6_21rocsparse_index_base_b.has_dyn_sized_stack, 0
	.set _ZN9rocsparseL18bsrxmvn_4x4_kernelILj128ELj32EillaaiEEvT3_20rocsparse_direction_NS_24const_host_device_scalarIT1_EES1_PKS1_PKT2_SA_S7_PKT4_PKT5_S5_PT6_21rocsparse_index_base_b.has_recursion, 0
	.set _ZN9rocsparseL18bsrxmvn_4x4_kernelILj128ELj32EillaaiEEvT3_20rocsparse_direction_NS_24const_host_device_scalarIT1_EES1_PKS1_PKT2_SA_S7_PKT4_PKT5_S5_PT6_21rocsparse_index_base_b.has_indirect_call, 0
	.section	.AMDGPU.csdata,"",@progbits
; Kernel info:
; codeLenInByte = 3872
; TotalNumSgprs: 40
; NumVgprs: 68
; NumAgprs: 0
; TotalNumVgprs: 68
; ScratchSize: 0
; MemoryBound: 0
; FloatMode: 240
; IeeeMode: 1
; LDSByteSize: 0 bytes/workgroup (compile time only)
; SGPRBlocks: 4
; VGPRBlocks: 8
; NumSGPRsForWavesPerEU: 40
; NumVGPRsForWavesPerEU: 68
; AccumOffset: 68
; Occupancy: 7
; WaveLimiterHint : 1
; COMPUTE_PGM_RSRC2:SCRATCH_EN: 0
; COMPUTE_PGM_RSRC2:USER_SGPR: 2
; COMPUTE_PGM_RSRC2:TRAP_HANDLER: 0
; COMPUTE_PGM_RSRC2:TGID_X_EN: 1
; COMPUTE_PGM_RSRC2:TGID_Y_EN: 0
; COMPUTE_PGM_RSRC2:TGID_Z_EN: 0
; COMPUTE_PGM_RSRC2:TIDIG_COMP_CNT: 0
; COMPUTE_PGM_RSRC3_GFX90A:ACCUM_OFFSET: 16
; COMPUTE_PGM_RSRC3_GFX90A:TG_SPLIT: 0
	.section	.text._ZN9rocsparseL18bsrxmvn_4x4_kernelILj128ELj64EillaaiEEvT3_20rocsparse_direction_NS_24const_host_device_scalarIT1_EES1_PKS1_PKT2_SA_S7_PKT4_PKT5_S5_PT6_21rocsparse_index_base_b,"axG",@progbits,_ZN9rocsparseL18bsrxmvn_4x4_kernelILj128ELj64EillaaiEEvT3_20rocsparse_direction_NS_24const_host_device_scalarIT1_EES1_PKS1_PKT2_SA_S7_PKT4_PKT5_S5_PT6_21rocsparse_index_base_b,comdat
	.globl	_ZN9rocsparseL18bsrxmvn_4x4_kernelILj128ELj64EillaaiEEvT3_20rocsparse_direction_NS_24const_host_device_scalarIT1_EES1_PKS1_PKT2_SA_S7_PKT4_PKT5_S5_PT6_21rocsparse_index_base_b ; -- Begin function _ZN9rocsparseL18bsrxmvn_4x4_kernelILj128ELj64EillaaiEEvT3_20rocsparse_direction_NS_24const_host_device_scalarIT1_EES1_PKS1_PKT2_SA_S7_PKT4_PKT5_S5_PT6_21rocsparse_index_base_b
	.p2align	8
	.type	_ZN9rocsparseL18bsrxmvn_4x4_kernelILj128ELj64EillaaiEEvT3_20rocsparse_direction_NS_24const_host_device_scalarIT1_EES1_PKS1_PKT2_SA_S7_PKT4_PKT5_S5_PT6_21rocsparse_index_base_b,@function
_ZN9rocsparseL18bsrxmvn_4x4_kernelILj128ELj64EillaaiEEvT3_20rocsparse_direction_NS_24const_host_device_scalarIT1_EES1_PKS1_PKT2_SA_S7_PKT4_PKT5_S5_PT6_21rocsparse_index_base_b: ; @_ZN9rocsparseL18bsrxmvn_4x4_kernelILj128ELj64EillaaiEEvT3_20rocsparse_direction_NS_24const_host_device_scalarIT1_EES1_PKS1_PKT2_SA_S7_PKT4_PKT5_S5_PT6_21rocsparse_index_base_b
; %bb.0:
	s_load_dwordx2 s[8:9], s[0:1], 0x60
	s_load_dwordx4 s[4:7], s[0:1], 0x10
	s_mov_b64 s[14:15], -1
                                        ; implicit-def: $sgpr26
	s_waitcnt lgkmcnt(0)
	s_bitcmp1_b32 s9, 0
	s_cselect_b64 s[10:11], -1, 0
	s_xor_b64 s[12:13], s[10:11], -1
	s_and_b64 vcc, exec, s[12:13]
	s_cbranch_vccnz .LBB74_4
; %bb.1:
	s_load_dwordx2 s[10:11], s[0:1], 0x50
	s_andn2_b64 vcc, exec, s[14:15]
	s_cbranch_vccz .LBB74_5
.LBB74_2:
	s_and_b64 vcc, exec, s[12:13]
	s_cbranch_vccz .LBB74_6
.LBB74_3:
	s_waitcnt lgkmcnt(0)
	s_load_dword s27, s[10:11], 0x0
	s_cbranch_execz .LBB74_7
	s_branch .LBB74_8
.LBB74_4:
	s_load_dword s26, s[4:5], 0x0
	s_load_dwordx2 s[10:11], s[0:1], 0x50
	s_cbranch_execnz .LBB74_2
.LBB74_5:
	s_waitcnt lgkmcnt(0)
	s_mov_b32 s26, s4
	s_and_b64 vcc, exec, s[12:13]
	s_cbranch_vccnz .LBB74_3
.LBB74_6:
                                        ; implicit-def: $sgpr27
.LBB74_7:
	s_waitcnt lgkmcnt(0)
	s_mov_b32 s27, s10
.LBB74_8:
	s_waitcnt lgkmcnt(0)
	s_cmp_lg_u32 s26, 0
	s_cselect_b64 s[4:5], -1, 0
	s_cmp_lg_u32 s27, 1
	s_cselect_b64 s[10:11], -1, 0
	s_or_b64 s[4:5], s[4:5], s[10:11]
	s_andn2_b64 vcc, exec, s[4:5]
	s_cbranch_vccnz .LBB74_14
; %bb.9:
	s_load_dwordx2 s[4:5], s[0:1], 0x20
	v_lshrrev_b32_e32 v1, 6, v0
	v_lshl_or_b32 v6, s2, 1, v1
	v_mov_b32_e32 v7, 0
	s_mov_b64 s[2:3], 0
	s_waitcnt lgkmcnt(0)
	s_cmp_lg_u64 s[4:5], 0
	s_cbranch_scc0 .LBB74_15
; %bb.10:
	v_cmp_gt_i64_e32 vcc, s[6:7], v[6:7]
                                        ; implicit-def: $vgpr2_vgpr3
                                        ; implicit-def: $vgpr4_vgpr5
	s_and_saveexec_b64 s[6:7], vcc
	s_xor_b64 s[6:7], exec, s[6:7]
	s_cbranch_execz .LBB74_12
; %bb.11:
	v_lshl_add_u64 v[2:3], v[6:7], 3, s[4:5]
	global_load_dwordx2 v[2:3], v[2:3], off
	s_mov_b32 s9, 0
	s_mov_b64 s[2:3], exec
	v_mov_b64_e32 v[4:5], s[8:9]
	s_waitcnt vmcnt(0)
	v_subrev_co_u32_e32 v2, vcc, s8, v2
	s_nop 1
	v_subbrev_co_u32_e32 v3, vcc, 0, v3, vcc
.LBB74_12:
	s_or_b64 exec, exec, s[6:7]
.LBB74_13:
	s_and_saveexec_b64 s[4:5], s[2:3]
	s_cbranch_execnz .LBB74_19
.LBB74_14:
	s_endpgm
.LBB74_15:
                                        ; implicit-def: $vgpr2_vgpr3
                                        ; implicit-def: $vgpr4_vgpr5
	s_cbranch_execz .LBB74_13
; %bb.16:
	s_load_dwordx2 s[4:5], s[0:1], 0x0
	s_waitcnt lgkmcnt(0)
	v_cmp_gt_i64_e32 vcc, s[4:5], v[6:7]
	s_and_saveexec_b64 s[4:5], vcc
; %bb.17:
	s_mov_b32 s9, 0
	s_or_b64 s[2:3], s[2:3], exec
; %bb.18:
	s_or_b64 exec, exec, s[4:5]
	v_mov_b64_e32 v[4:5], s[8:9]
	v_mov_b64_e32 v[2:3], v[6:7]
	s_and_saveexec_b64 s[4:5], s[2:3]
	s_cbranch_execz .LBB74_14
.LBB74_19:
	s_load_dwordx8 s[8:15], s[0:1], 0x28
	v_lshlrev_b64 v[6:7], 3, v[2:3]
	s_load_dword s2, s[0:1], 0x8
	v_and_b32_e32 v0, 63, v0
	v_mov_b32_e32 v1, 0
	s_waitcnt lgkmcnt(0)
	v_lshl_add_u64 v[8:9], s[8:9], 0, v[6:7]
	s_cmp_eq_u64 s[10:11], 0
	v_lshl_add_u64 v[6:7], s[10:11], 0, v[6:7]
	global_load_dwordx2 v[14:15], v[8:9], off
	v_lshl_add_u64 v[8:9], v[8:9], 0, 8
	s_cselect_b64 vcc, -1, 0
	v_cndmask_b32_e32 v7, v7, v9, vcc
	v_cndmask_b32_e32 v6, v6, v8, vcc
	global_load_dwordx2 v[6:7], v[6:7], off
	s_load_dwordx2 s[10:11], s[0:1], 0x48
	s_cmp_eq_u32 s2, 1
	s_waitcnt vmcnt(1)
	v_sub_co_u32_e32 v8, vcc, v14, v4
	s_nop 1
	v_subb_co_u32_e32 v9, vcc, v15, v5, vcc
	v_lshl_add_u64 v[12:13], v[8:9], 0, v[0:1]
	s_waitcnt vmcnt(0)
	v_sub_co_u32_e32 v16, vcc, v6, v4
	s_nop 1
	v_subb_co_u32_e32 v17, vcc, v7, v5, vcc
	v_lshl_add_u64 v[6:7], v[12:13], 4, s[14:15]
	v_cmp_lt_i64_e64 s[2:3], v[12:13], v[16:17]
	s_cbranch_scc1 .LBB74_31
; %bb.20:
	v_mov_b32_e32 v8, v1
	v_mov_b32_e32 v11, v1
	;; [unrolled: 1-line block ×3, first 2 shown]
	s_and_saveexec_b64 s[14:15], s[2:3]
	s_cbranch_execz .LBB74_30
; %bb.21:
	v_or_b32_e32 v1, 64, v0
	v_sub_co_u32_e32 v8, vcc, v1, v4
	v_not_b32_e32 v11, v15
	s_nop 0
	v_subb_co_u32_e32 v9, vcc, 0, v5, vcc
	v_lshl_add_u64 v[8:9], v[8:9], 0, v[14:15]
	v_cmp_gt_i64_e32 vcc, v[8:9], v[16:17]
	v_not_b32_e32 v10, v14
	s_mov_b64 s[4:5], 0xbf
	v_cndmask_b32_e32 v9, v17, v9, vcc
	v_cndmask_b32_e32 v8, v16, v8, vcc
	v_sub_co_u32_e32 v18, vcc, v4, v0
	v_mov_b32_e32 v1, 0
	s_nop 0
	v_subbrev_co_u32_e32 v19, vcc, 0, v5, vcc
	v_lshl_add_u64 v[10:11], v[18:19], 0, v[10:11]
	v_lshl_add_u64 v[8:9], v[10:11], 0, v[8:9]
	v_lshrrev_b64 v[10:11], 6, v[8:9]
	v_lshl_add_u64 v[20:21], v[10:11], 0, 1
	v_cmp_lt_u64_e32 vcc, s[4:5], v[8:9]
	v_mov_b32_e32 v10, 0
	v_mov_b32_e32 v11, 0
	;; [unrolled: 1-line block ×3, first 2 shown]
	v_mov_b64_e32 v[22:23], v[12:13]
	v_mov_b64_e32 v[18:19], v[6:7]
	s_and_saveexec_b64 s[16:17], vcc
	s_cbranch_execz .LBB74_25
; %bb.22:
	v_lshl_add_u64 v[8:9], v[12:13], 3, s[12:13]
	s_mov_b64 s[4:5], 0x400
	v_mov_b32_e32 v1, 0
	v_and_b32_e32 v24, -4, v20
	v_mov_b32_e32 v25, v21
	v_lshl_add_u64 v[26:27], v[8:9], 0, s[4:5]
	s_mov_b64 s[18:19], 0
	s_mov_b32 s28, 0xc030201
	s_mov_b32 s29, 0x4030201
	;; [unrolled: 1-line block ×8, first 2 shown]
	s_mov_b64 s[20:21], 0x1000
	s_mov_b64 s[22:23], 0x100
	;; [unrolled: 1-line block ×3, first 2 shown]
	v_mov_b64_e32 v[18:19], v[6:7]
	v_mov_b64_e32 v[22:23], v[12:13]
	v_mov_b32_e32 v8, v1
	v_mov_b32_e32 v11, v1
	;; [unrolled: 1-line block ×3, first 2 shown]
.LBB74_23:                              ; =>This Inner Loop Header: Depth=1
	global_load_dwordx2 v[44:45], v[26:27], off offset:-1024
	global_load_dwordx2 v[46:47], v[26:27], off offset:-512
	global_load_dwordx2 v[48:49], v[26:27], off
	global_load_dwordx2 v[50:51], v[26:27], off offset:512
	global_load_dwordx4 v[28:31], v[18:19], off
	global_load_dwordx4 v[32:35], v[18:19], off offset:1024
	global_load_dwordx4 v[36:39], v[18:19], off offset:2048
	;; [unrolled: 1-line block ×3, first 2 shown]
	v_lshl_add_u64 v[24:25], v[24:25], 0, -4
	v_lshl_add_u64 v[18:19], v[18:19], 0, s[20:21]
	v_lshl_add_u64 v[22:23], v[22:23], 0, s[22:23]
	;; [unrolled: 1-line block ×3, first 2 shown]
	s_waitcnt vmcnt(7)
	v_sub_co_u32_e32 v44, vcc, v44, v4
	s_waitcnt vmcnt(6)
	v_sub_co_u32_e64 v46, s[4:5], v46, v4
	s_waitcnt vmcnt(5)
	v_sub_co_u32_e64 v48, s[6:7], v48, v4
	;; [unrolled: 2-line block ×3, first 2 shown]
	v_subb_co_u32_e32 v45, vcc, v45, v5, vcc
	v_subb_co_u32_e64 v47, vcc, v47, v5, s[4:5]
	v_subb_co_u32_e64 v49, vcc, v49, v5, s[6:7]
	;; [unrolled: 1-line block ×3, first 2 shown]
	s_waitcnt lgkmcnt(0)
	v_lshl_add_u64 v[44:45], v[44:45], 2, s[10:11]
	v_lshl_add_u64 v[46:47], v[46:47], 2, s[10:11]
	;; [unrolled: 1-line block ×4, first 2 shown]
	global_load_dword v9, v[44:45], off
	global_load_dword v21, v[46:47], off
	;; [unrolled: 1-line block ×4, first 2 shown]
	s_waitcnt vmcnt(6)
	v_lshrrev_b16_e32 v44, 8, v35
	v_bfe_i32 v45, v32, 0, 8
	s_waitcnt vmcnt(5)
	v_perm_b32 v49, v39, v31, s33
	v_perm_b32 v32, v32, v32, s28
	;; [unrolled: 1-line block ×3, first 2 shown]
	v_bfe_i32 v46, v36, 0, 8
	v_perm_b32 v51, v39, v31, s35
	v_perm_b32 v31, v39, v31, s36
	s_waitcnt vmcnt(4)
	v_perm_b32 v36, v40, v36, s29
	v_bfe_i32 v48, v43, 8, 8
	v_ashrrev_i32_e32 v47, 24, v40
	v_perm_b32 v40, v40, v40, s30
	v_cmp_eq_u64_e32 vcc, 0, v[24:25]
	v_perm_b32 v41, v41, v41, s31
	s_or_b64 s[18:19], vcc, s[18:19]
	s_waitcnt vmcnt(3)
	v_dot4c_i32_i8_e32 v10, v9, v28
	v_dot4c_i32_i8_e32 v11, v9, v29
	s_waitcnt vmcnt(2)
	v_lshrrev_b16_e32 v28, 8, v21
	v_bfe_i32 v29, v21, 0, 8
	v_mul_i32_i24_sdwa v54, sext(v35), sext(v21) dst_sel:DWORD dst_unused:UNUSED_PAD src0_sel:BYTE_3 src1_sel:BYTE_3
	s_waitcnt vmcnt(1)
	v_perm_b32 v58, v52, v9, s33
	v_dot4c_i32_i8_e32 v8, v9, v30
	v_perm_b32 v30, v21, v21, s28
	v_dot4c_i32_i8_e32 v54, v49, v58
	v_perm_b32 v58, v52, v9, s34
	v_mad_i32_i24 v10, v29, v45, v10
	v_mul_i32_i24_sdwa v28, sext(v44), sext(v28) dst_sel:DWORD dst_unused:UNUSED_PAD src0_sel:BYTE_0 src1_sel:BYTE_0
	v_mul_i32_i24_sdwa v39, sext(v35), sext(v21) dst_sel:DWORD dst_unused:UNUSED_PAD src0_sel:BYTE_2 src1_sel:BYTE_2
	v_bfe_i32 v55, v52, 0, 8
	v_dot4c_i32_i8_e32 v11, v21, v33
	v_mul_i32_i24_sdwa v33, sext(v35), v29 dst_sel:DWORD dst_unused:UNUSED_PAD src0_sel:BYTE_0 src1_sel:DWORD
	v_perm_b32 v29, v52, v9, s35
	v_perm_b32 v9, v52, v9, s36
	v_dot4c_i32_i8_e32 v10, v30, v32
	v_dot4c_i32_i8_e32 v28, v50, v58
	s_waitcnt vmcnt(0)
	v_bfe_i32 v57, v53, 8, 8
	v_dot4c_i32_i8_e32 v8, v21, v34
	v_perm_b32 v21, v53, v52, s29
	v_mul_i32_i24_sdwa v49, sext(v43), sext(v53) dst_sel:DWORD dst_unused:UNUSED_PAD src0_sel:BYTE_2 src1_sel:BYTE_2
	v_dot4c_i32_i8_e32 v39, v51, v29
	v_dot4c_i32_i8_e32 v33, v31, v9
	v_mad_i32_i24 v9, v55, v46, v10
	v_add_u32_e32 v10, v28, v54
	v_ashrrev_i32_e32 v56, 24, v53
	v_perm_b32 v34, v53, v53, s30
	v_mul_i32_i24_sdwa v35, sext(v53), sext(v43) dst_sel:DWORD dst_unused:UNUSED_PAD src0_sel:BYTE_0 src1_sel:BYTE_0
	v_mad_i32_i24 v29, v57, v48, v49
	v_dot4c_i32_i8_e32 v9, v21, v36
	v_add3_u32 v10, v33, v39, v10
	v_mul_i32_i24_sdwa v43, sext(v43), v56 dst_sel:DWORD dst_unused:UNUSED_PAD src0_sel:BYTE_3 src1_sel:DWORD
	v_dot4c_i32_i8_e32 v11, v52, v37
	v_dot4c_i32_i8_e32 v8, v52, v38
	;; [unrolled: 1-line block ×3, first 2 shown]
	v_add3_u32 v21, v10, v35, v29
	v_dot4c_i32_i8_e32 v11, v41, v53
	v_dot4c_i32_i8_e32 v8, v42, v53
	v_mad_i32_i24 v10, v56, v47, v9
	v_add3_u32 v1, v21, v1, v43
	s_andn2_b64 exec, exec, s[18:19]
	s_cbranch_execnz .LBB74_23
; %bb.24:
	s_or_b64 exec, exec, s[18:19]
.LBB74_25:
	s_or_b64 exec, exec, s[16:17]
	v_and_b32_e32 v20, 3, v20
	v_mov_b32_e32 v21, 0
	s_mov_b64 s[6:7], 0
	v_cmp_ne_u64_e32 vcc, 0, v[20:21]
	s_and_saveexec_b64 s[4:5], vcc
	s_cbranch_execz .LBB74_29
; %bb.26:
	v_lshl_add_u64 v[22:23], v[22:23], 3, s[12:13]
	v_lshlrev_b32_e32 v20, 1, v20
	s_mov_b64 s[8:9], 0x200
	s_mov_b64 s[16:17], 0x400
.LBB74_27:                              ; =>This Inner Loop Header: Depth=1
	global_load_dwordx2 v[28:29], v[22:23], off
	global_load_dwordx4 v[24:27], v[18:19], off
	v_lshl_add_u64 v[20:21], v[20:21], 0, -2
	v_lshl_add_u64 v[22:23], v[22:23], 0, s[8:9]
	v_lshl_add_u64 v[18:19], v[18:19], 0, s[16:17]
	s_waitcnt vmcnt(1)
	v_sub_co_u32_e32 v28, vcc, v28, v4
	s_nop 1
	v_subb_co_u32_e32 v29, vcc, v29, v5, vcc
	s_waitcnt lgkmcnt(0)
	v_lshl_add_u64 v[28:29], v[28:29], 2, s[10:11]
	global_load_dword v9, v[28:29], off
	v_cmp_eq_u64_e32 vcc, 0, v[20:21]
	s_or_b64 s[6:7], vcc, s[6:7]
	s_waitcnt vmcnt(0)
	v_dot4c_i32_i8_e32 v10, v24, v9
	v_dot4c_i32_i8_e32 v11, v25, v9
	;; [unrolled: 1-line block ×4, first 2 shown]
	s_andn2_b64 exec, exec, s[6:7]
	s_cbranch_execnz .LBB74_27
; %bb.28:
	s_or_b64 exec, exec, s[6:7]
.LBB74_29:
	s_or_b64 exec, exec, s[4:5]
.LBB74_30:
	s_or_b64 exec, exec, s[14:15]
	s_cbranch_execz .LBB74_32
	s_branch .LBB74_43
.LBB74_31:
                                        ; implicit-def: $vgpr8
                                        ; implicit-def: $vgpr11
.LBB74_32:
	v_mov_b32_e32 v1, 0
	v_mov_b32_e32 v8, 0
	;; [unrolled: 1-line block ×4, first 2 shown]
	s_and_saveexec_b64 s[4:5], s[2:3]
	s_cbranch_execz .LBB74_42
; %bb.33:
	v_or_b32_e32 v1, 64, v0
	v_sub_co_u32_e32 v8, vcc, v1, v4
	v_not_b32_e32 v10, v14
	s_nop 0
	v_subb_co_u32_e32 v9, vcc, 0, v5, vcc
	v_lshl_add_u64 v[8:9], v[8:9], 0, v[14:15]
	v_cmp_gt_i64_e32 vcc, v[8:9], v[16:17]
	v_not_b32_e32 v11, v15
	s_mov_b64 s[2:3], 0xbf
	v_cndmask_b32_e32 v9, v17, v9, vcc
	v_cndmask_b32_e32 v8, v16, v8, vcc
	v_sub_co_u32_e32 v14, vcc, v4, v0
	s_nop 1
	v_subbrev_co_u32_e32 v15, vcc, 0, v5, vcc
	v_lshl_add_u64 v[10:11], v[14:15], 0, v[10:11]
	v_lshl_add_u64 v[8:9], v[10:11], 0, v[8:9]
	v_lshrrev_b64 v[10:11], 6, v[8:9]
	v_cmp_lt_u64_e32 vcc, s[2:3], v[8:9]
	v_mov_b32_e32 v8, 0
	v_mov_b32_e32 v9, v8
	v_lshl_add_u64 v[14:15], v[10:11], 0, 1
	v_mov_b64_e32 v[10:11], v[8:9]
	s_and_saveexec_b64 s[2:3], vcc
	s_cbranch_execz .LBB74_37
; %bb.34:
	v_lshl_add_u64 v[10:11], v[12:13], 3, s[12:13]
	s_mov_b64 s[6:7], 0x400
	v_and_b32_e32 v16, -4, v14
	v_mov_b32_e32 v17, v15
	v_lshl_add_u64 v[18:19], v[10:11], 0, s[6:7]
	s_mov_b64 s[6:7], 0
	s_mov_b32 s18, 0xc05010c
	s_mov_b32 s19, 0xc0c0c01
	;; [unrolled: 1-line block ×19, first 2 shown]
	s_mov_b64 s[8:9], 0x1000
	s_mov_b64 s[14:15], 0x100
	s_mov_b64 s[16:17], 0x800
	v_mov_b32_e32 v1, 0
	v_mov_b32_e32 v10, 0
	;; [unrolled: 1-line block ×3, first 2 shown]
.LBB74_35:                              ; =>This Inner Loop Header: Depth=1
	global_load_dwordx2 v[36:37], v[18:19], off offset:-1024
	global_load_dwordx2 v[38:39], v[18:19], off offset:-512
	global_load_dwordx2 v[40:41], v[18:19], off
	global_load_dwordx2 v[42:43], v[18:19], off offset:512
	global_load_dwordx4 v[20:23], v[6:7], off
	global_load_dwordx4 v[24:27], v[6:7], off offset:1024
	global_load_dwordx4 v[28:31], v[6:7], off offset:2048
	;; [unrolled: 1-line block ×3, first 2 shown]
	v_lshl_add_u64 v[16:17], v[16:17], 0, -4
	v_cmp_eq_u64_e32 vcc, 0, v[16:17]
	s_or_b64 s[6:7], vcc, s[6:7]
	v_lshl_add_u64 v[6:7], v[6:7], 0, s[8:9]
	v_lshl_add_u64 v[12:13], v[12:13], 0, s[14:15]
	;; [unrolled: 1-line block ×3, first 2 shown]
	s_waitcnt vmcnt(7)
	v_sub_co_u32_e32 v36, vcc, v36, v4
	s_nop 1
	v_subb_co_u32_e32 v37, vcc, v37, v5, vcc
	s_waitcnt vmcnt(6)
	v_sub_co_u32_e32 v38, vcc, v38, v4
	s_waitcnt lgkmcnt(0)
	v_lshl_add_u64 v[36:37], v[36:37], 2, s[10:11]
	v_subb_co_u32_e32 v39, vcc, v39, v5, vcc
	s_waitcnt vmcnt(5)
	v_sub_co_u32_e32 v40, vcc, v40, v4
	v_lshl_add_u64 v[38:39], v[38:39], 2, s[10:11]
	s_nop 0
	v_subb_co_u32_e32 v41, vcc, v41, v5, vcc
	s_waitcnt vmcnt(4)
	v_sub_co_u32_e32 v42, vcc, v42, v4
	v_lshl_add_u64 v[40:41], v[40:41], 2, s[10:11]
	s_nop 0
	v_subb_co_u32_e32 v43, vcc, v43, v5, vcc
	v_lshl_add_u64 v[42:43], v[42:43], 2, s[10:11]
	global_load_dword v44, v[36:37], off
	global_load_dword v45, v[42:43], off
	;; [unrolled: 1-line block ×4, first 2 shown]
	s_waitcnt vmcnt(7)
	v_perm_b32 v9, v22, v21, s18
	v_perm_b32 v36, v22, v21, s21
	v_perm_b32 v38, v22, v21, s23
	v_perm_b32 v21, v22, v21, s25
	s_waitcnt vmcnt(6)
	v_perm_b32 v22, v24, v23, s29
	v_perm_b32 v40, v26, v25, s30
	v_perm_b32 v41, v24, v23, s33
	v_perm_b32 v42, v26, v25, s34
	;; [unrolled: 5-line block ×3, first 2 shown]
	s_waitcnt vmcnt(4)
	v_lshrrev_b32_e32 v52, 24, v35
	v_lshrrev_b32_e32 v53, 16, v35
	v_perm_b32 v54, v32, v31, s29
	v_perm_b32 v55, v34, v33, s30
	;; [unrolled: 1-line block ×20, first 2 shown]
	v_or_b32_e32 v23, v25, v23
	v_or_b32_e32 v25, v28, v26
	;; [unrolled: 1-line block ×5, first 2 shown]
	v_bfe_i32 v30, v53, 0, 8
	v_bfe_i32 v31, v52, 0, 8
	v_lshrrev_b32_e32 v51, 8, v35
	v_bfe_i32 v34, v35, 0, 8
	v_or_b32_e32 v9, v9, v15
	v_or_b32_e32 v15, v36, v37
	;; [unrolled: 1-line block ×4, first 2 shown]
	v_perm_b32 v30, v31, v30, s39
	v_or_b32_e32 v21, v40, v22
	v_or_b32_e32 v22, v42, v41
	;; [unrolled: 1-line block ×3, first 2 shown]
	v_bfe_i32 v29, v51, 0, 8
	v_or_b32_e32 v36, v48, v43
	v_or_b32_e32 v37, v50, v49
	v_perm_b32 v29, v29, v34, s39
	v_or_b32_e32 v38, v55, v54
	v_or_b32_e32 v39, v57, v56
	s_waitcnt vmcnt(3)
	v_perm_b32 v31, v44, v44, s20
	v_dot4c_i32_i8_e32 v11, v31, v9
	s_waitcnt vmcnt(1)
	v_perm_b32 v33, v46, v44, s31
	v_dot4c_i32_i8_e32 v10, v31, v15
	v_dot4c_i32_i8_e32 v1, v31, v35
	;; [unrolled: 1-line block ×3, first 2 shown]
	v_lshrrev_b32_e32 v32, 24, v45
	s_waitcnt vmcnt(0)
	v_perm_b32 v34, v47, v46, s31
	v_dot4c_i32_i8_e32 v10, v33, v21
	v_dot4c_i32_i8_e32 v11, v33, v22
	;; [unrolled: 1-line block ×4, first 2 shown]
	v_perm_b32 v40, v45, v47, s31
	v_bfe_i32 v9, v32, 0, 8
	v_dot4c_i32_i8_e32 v11, v34, v36
	v_dot4c_i32_i8_e32 v10, v34, v37
	;; [unrolled: 1-line block ×4, first 2 shown]
	v_pk_mul_lo_u16 v15, v9, v29 op_sel_hi:[0,1]
	v_pk_mul_lo_u16 v9, v9, v30 op_sel_hi:[0,1]
	v_dot4c_i32_i8_e32 v10, v40, v38
	v_dot4c_i32_i8_e32 v11, v40, v39
	;; [unrolled: 1-line block ×4, first 2 shown]
	v_add_u32_sdwa v10, v10, sext(v15) dst_sel:DWORD dst_unused:UNUSED_PAD src0_sel:DWORD src1_sel:WORD_0
	v_add_u32_sdwa v11, v11, sext(v15) dst_sel:DWORD dst_unused:UNUSED_PAD src0_sel:DWORD src1_sel:WORD_1
	v_add_u32_sdwa v8, v8, sext(v9) dst_sel:DWORD dst_unused:UNUSED_PAD src0_sel:DWORD src1_sel:WORD_0
	v_add_u32_sdwa v1, v1, sext(v9) dst_sel:DWORD dst_unused:UNUSED_PAD src0_sel:DWORD src1_sel:WORD_1
	s_andn2_b64 exec, exec, s[6:7]
	s_cbranch_execnz .LBB74_35
; %bb.36:
	s_or_b64 exec, exec, s[6:7]
	v_mov_b32_e32 v9, v1
.LBB74_37:
	s_or_b64 exec, exec, s[2:3]
	v_and_b32_e32 v14, 3, v14
	v_mov_b32_e32 v15, 0
	s_mov_b64 s[6:7], 0
	v_cmp_ne_u64_e32 vcc, 0, v[14:15]
	s_and_saveexec_b64 s[2:3], vcc
	s_cbranch_execz .LBB74_41
; %bb.38:
	v_lshl_add_u64 v[12:13], v[12:13], 3, s[12:13]
	v_lshlrev_b32_e32 v14, 1, v14
	s_mov_b32 s14, 0xc0c0400
	s_mov_b32 s15, 0xc0c0100
	;; [unrolled: 1-line block ×6, first 2 shown]
	s_mov_b64 s[8:9], 0x400
	s_mov_b64 s[12:13], 0x200
.LBB74_39:                              ; =>This Inner Loop Header: Depth=1
	global_load_dwordx2 v[20:21], v[12:13], off
	global_load_dwordx4 v[16:19], v[6:7], off
	v_lshl_add_u64 v[14:15], v[14:15], 0, -2
	v_lshl_add_u64 v[6:7], v[6:7], 0, s[8:9]
	v_lshl_add_u64 v[12:13], v[12:13], 0, s[12:13]
	s_waitcnt vmcnt(1)
	v_sub_co_u32_e32 v20, vcc, v20, v4
	s_nop 1
	v_subb_co_u32_e32 v21, vcc, v21, v5, vcc
	s_waitcnt lgkmcnt(0)
	v_lshl_add_u64 v[20:21], v[20:21], 2, s[10:11]
	global_load_dword v1, v[20:21], off
	s_waitcnt vmcnt(1)
	v_lshrrev_b32_e32 v20, 8, v18
	v_lshrrev_b32_e32 v21, 24, v18
	;; [unrolled: 1-line block ×3, first 2 shown]
	v_perm_b32 v23, v17, v16, s14
	v_perm_b32 v24, v17, v16, s16
	;; [unrolled: 1-line block ×4, first 2 shown]
	v_bfe_i32 v17, v18, 0, 8
	v_bfe_i32 v18, v20, 0, 8
	;; [unrolled: 1-line block ×4, first 2 shown]
	v_perm_b32 v17, v18, v17, s19
	v_perm_b32 v18, v21, v20, s19
	v_cmp_eq_u64_e32 vcc, 0, v[14:15]
	s_or_b64 s[6:7], vcc, s[6:7]
	s_waitcnt vmcnt(0)
	v_lshrrev_b32_e32 v20, 16, v1
	v_perm_b32 v21, v1, v1, s15
	v_dot4c_i32_i8_e32 v9, v21, v16
	v_bfe_i32 v16, v20, 0, 8
	v_pk_mul_lo_u16 v17, v16, v17 op_sel_hi:[0,1]
	v_pk_mul_lo_u16 v16, v16, v18 op_sel_hi:[0,1]
	v_mul_i32_i24_sdwa v22, sext(v1), sext(v19) dst_sel:DWORD dst_unused:UNUSED_PAD src0_sel:BYTE_3 src1_sel:BYTE_0
	v_mul_i32_i24_sdwa v26, sext(v1), sext(v19) dst_sel:DWORD dst_unused:UNUSED_PAD src0_sel:BYTE_3 src1_sel:BYTE_1
	v_mul_i32_i24_sdwa v27, sext(v1), sext(v19) dst_sel:DWORD dst_unused:UNUSED_PAD src0_sel:BYTE_3 src1_sel:BYTE_3
	v_mul_i32_i24_sdwa v1, sext(v1), sext(v19) dst_sel:DWORD dst_unused:UNUSED_PAD src0_sel:BYTE_3 src1_sel:BYTE_2
	v_dot4c_i32_i8_e32 v10, v21, v23
	v_dot4c_i32_i8_e32 v11, v21, v24
	;; [unrolled: 1-line block ×3, first 2 shown]
	v_bfe_i32 v18, v17, 0, 16
	v_ashrrev_i32_e32 v17, 16, v17
	v_bfe_i32 v19, v16, 0, 16
	v_ashrrev_i32_e32 v16, 16, v16
	v_add3_u32 v11, v11, v17, v26
	v_add3_u32 v10, v10, v18, v22
	;; [unrolled: 1-line block ×4, first 2 shown]
	s_andn2_b64 exec, exec, s[6:7]
	s_cbranch_execnz .LBB74_39
; %bb.40:
	s_or_b64 exec, exec, s[6:7]
	v_mov_b32_e32 v1, v9
.LBB74_41:
	s_or_b64 exec, exec, s[2:3]
.LBB74_42:
	s_or_b64 exec, exec, s[4:5]
.LBB74_43:
	v_mov_b32_dpp v4, v10 row_shr:1 row_mask:0xf bank_mask:0xf
	v_mov_b32_dpp v5, v11 row_shr:1 row_mask:0xf bank_mask:0xf
	v_add_u32_e32 v4, v4, v10
	v_mov_b32_dpp v9, v8 row_shr:1 row_mask:0xf bank_mask:0xf
	v_mov_b32_dpp v10, v1 row_shr:1 row_mask:0xf bank_mask:0xf
	v_add_u32_e32 v5, v5, v11
	v_add_u32_e32 v1, v10, v1
	v_add_u32_e32 v8, v9, v8
	v_mov_b32_dpp v6, v4 row_shr:2 row_mask:0xf bank_mask:0xf
	v_mov_b32_dpp v7, v5 row_shr:2 row_mask:0xf bank_mask:0xf
	v_mov_b32_dpp v9, v8 row_shr:2 row_mask:0xf bank_mask:0xf
	v_mov_b32_dpp v10, v1 row_shr:2 row_mask:0xf bank_mask:0xf
	v_add_u32_e32 v5, v5, v7
	v_add_u32_e32 v4, v4, v6
	v_add_u32_e32 v1, v1, v10
	v_add_u32_e32 v8, v8, v9
	v_mov_b32_dpp v6, v4 row_shr:4 row_mask:0xf bank_mask:0xe
	v_mov_b32_dpp v7, v5 row_shr:4 row_mask:0xf bank_mask:0xe
	v_mov_b32_dpp v9, v8 row_shr:4 row_mask:0xf bank_mask:0xe
	v_mov_b32_dpp v10, v1 row_shr:4 row_mask:0xf bank_mask:0xe
	v_add_u32_e32 v5, v5, v7
	;; [unrolled: 8-line block ×3, first 2 shown]
	v_add_u32_e32 v6, v4, v6
	v_add_u32_e32 v1, v1, v10
	;; [unrolled: 1-line block ×3, first 2 shown]
	v_mov_b32_dpp v7, v6 row_bcast:15 row_mask:0xa bank_mask:0xf
	v_mov_b32_dpp v4, v5 row_bcast:15 row_mask:0xa bank_mask:0xf
	;; [unrolled: 1-line block ×4, first 2 shown]
	v_add_u32_e32 v4, v5, v4
	v_add_u32_e32 v5, v6, v7
	;; [unrolled: 1-line block ×4, first 2 shown]
	v_mov_b32_dpp v6, v5 row_bcast:31 row_mask:0xc bank_mask:0xf
	v_mov_b32_dpp v7, v4 row_bcast:31 row_mask:0xc bank_mask:0xf
	;; [unrolled: 1-line block ×4, first 2 shown]
	v_cmp_eq_u32_e32 vcc, 63, v0
	s_and_b64 exec, exec, vcc
	s_cbranch_execz .LBB74_14
; %bb.44:
	s_load_dwordx2 s[0:1], s[0:1], 0x58
	v_add_u32_e32 v7, v4, v7
	v_add_u32_e32 v0, v5, v6
	v_add_u32_e32 v1, v1, v10
	v_add_u32_e32 v6, v8, v9
	s_cmp_eq_u32 s27, 0
	s_waitcnt lgkmcnt(0)
	v_lshl_add_u64 v[4:5], v[2:3], 4, s[0:1]
	v_mul_lo_u32 v0, v0, s26
	v_mul_lo_u32 v8, v7, s26
	;; [unrolled: 1-line block ×4, first 2 shown]
	s_cbranch_scc1 .LBB74_46
; %bb.45:
	global_load_dwordx4 v[10:13], v[4:5], off
	s_waitcnt vmcnt(0)
	v_mad_u64_u32 v[14:15], s[0:1], v11, s27, v[8:9]
	v_mad_u64_u32 v[10:11], s[0:1], v10, s27, v[0:1]
	;; [unrolled: 1-line block ×4, first 2 shown]
	v_mov_b32_e32 v11, v14
	v_mov_b32_e32 v13, v16
	global_store_dwordx4 v[4:5], v[10:13], off
	s_cbranch_execnz .LBB74_14
	s_branch .LBB74_47
.LBB74_46:
.LBB74_47:
	v_mov_b32_e32 v1, v8
	v_mov_b32_e32 v3, v6
	global_store_dwordx4 v[4:5], v[0:3], off
	s_endpgm
	.section	.rodata,"a",@progbits
	.p2align	6, 0x0
	.amdhsa_kernel _ZN9rocsparseL18bsrxmvn_4x4_kernelILj128ELj64EillaaiEEvT3_20rocsparse_direction_NS_24const_host_device_scalarIT1_EES1_PKS1_PKT2_SA_S7_PKT4_PKT5_S5_PT6_21rocsparse_index_base_b
		.amdhsa_group_segment_fixed_size 0
		.amdhsa_private_segment_fixed_size 0
		.amdhsa_kernarg_size 104
		.amdhsa_user_sgpr_count 2
		.amdhsa_user_sgpr_dispatch_ptr 0
		.amdhsa_user_sgpr_queue_ptr 0
		.amdhsa_user_sgpr_kernarg_segment_ptr 1
		.amdhsa_user_sgpr_dispatch_id 0
		.amdhsa_user_sgpr_kernarg_preload_length 0
		.amdhsa_user_sgpr_kernarg_preload_offset 0
		.amdhsa_user_sgpr_private_segment_size 0
		.amdhsa_uses_dynamic_stack 0
		.amdhsa_enable_private_segment 0
		.amdhsa_system_sgpr_workgroup_id_x 1
		.amdhsa_system_sgpr_workgroup_id_y 0
		.amdhsa_system_sgpr_workgroup_id_z 0
		.amdhsa_system_sgpr_workgroup_info 0
		.amdhsa_system_vgpr_workitem_id 0
		.amdhsa_next_free_vgpr 59
		.amdhsa_next_free_sgpr 40
		.amdhsa_accum_offset 60
		.amdhsa_reserve_vcc 1
		.amdhsa_float_round_mode_32 0
		.amdhsa_float_round_mode_16_64 0
		.amdhsa_float_denorm_mode_32 3
		.amdhsa_float_denorm_mode_16_64 3
		.amdhsa_dx10_clamp 1
		.amdhsa_ieee_mode 1
		.amdhsa_fp16_overflow 0
		.amdhsa_tg_split 0
		.amdhsa_exception_fp_ieee_invalid_op 0
		.amdhsa_exception_fp_denorm_src 0
		.amdhsa_exception_fp_ieee_div_zero 0
		.amdhsa_exception_fp_ieee_overflow 0
		.amdhsa_exception_fp_ieee_underflow 0
		.amdhsa_exception_fp_ieee_inexact 0
		.amdhsa_exception_int_div_zero 0
	.end_amdhsa_kernel
	.section	.text._ZN9rocsparseL18bsrxmvn_4x4_kernelILj128ELj64EillaaiEEvT3_20rocsparse_direction_NS_24const_host_device_scalarIT1_EES1_PKS1_PKT2_SA_S7_PKT4_PKT5_S5_PT6_21rocsparse_index_base_b,"axG",@progbits,_ZN9rocsparseL18bsrxmvn_4x4_kernelILj128ELj64EillaaiEEvT3_20rocsparse_direction_NS_24const_host_device_scalarIT1_EES1_PKS1_PKT2_SA_S7_PKT4_PKT5_S5_PT6_21rocsparse_index_base_b,comdat
.Lfunc_end74:
	.size	_ZN9rocsparseL18bsrxmvn_4x4_kernelILj128ELj64EillaaiEEvT3_20rocsparse_direction_NS_24const_host_device_scalarIT1_EES1_PKS1_PKT2_SA_S7_PKT4_PKT5_S5_PT6_21rocsparse_index_base_b, .Lfunc_end74-_ZN9rocsparseL18bsrxmvn_4x4_kernelILj128ELj64EillaaiEEvT3_20rocsparse_direction_NS_24const_host_device_scalarIT1_EES1_PKS1_PKT2_SA_S7_PKT4_PKT5_S5_PT6_21rocsparse_index_base_b
                                        ; -- End function
	.set _ZN9rocsparseL18bsrxmvn_4x4_kernelILj128ELj64EillaaiEEvT3_20rocsparse_direction_NS_24const_host_device_scalarIT1_EES1_PKS1_PKT2_SA_S7_PKT4_PKT5_S5_PT6_21rocsparse_index_base_b.num_vgpr, 59
	.set _ZN9rocsparseL18bsrxmvn_4x4_kernelILj128ELj64EillaaiEEvT3_20rocsparse_direction_NS_24const_host_device_scalarIT1_EES1_PKS1_PKT2_SA_S7_PKT4_PKT5_S5_PT6_21rocsparse_index_base_b.num_agpr, 0
	.set _ZN9rocsparseL18bsrxmvn_4x4_kernelILj128ELj64EillaaiEEvT3_20rocsparse_direction_NS_24const_host_device_scalarIT1_EES1_PKS1_PKT2_SA_S7_PKT4_PKT5_S5_PT6_21rocsparse_index_base_b.numbered_sgpr, 40
	.set _ZN9rocsparseL18bsrxmvn_4x4_kernelILj128ELj64EillaaiEEvT3_20rocsparse_direction_NS_24const_host_device_scalarIT1_EES1_PKS1_PKT2_SA_S7_PKT4_PKT5_S5_PT6_21rocsparse_index_base_b.num_named_barrier, 0
	.set _ZN9rocsparseL18bsrxmvn_4x4_kernelILj128ELj64EillaaiEEvT3_20rocsparse_direction_NS_24const_host_device_scalarIT1_EES1_PKS1_PKT2_SA_S7_PKT4_PKT5_S5_PT6_21rocsparse_index_base_b.private_seg_size, 0
	.set _ZN9rocsparseL18bsrxmvn_4x4_kernelILj128ELj64EillaaiEEvT3_20rocsparse_direction_NS_24const_host_device_scalarIT1_EES1_PKS1_PKT2_SA_S7_PKT4_PKT5_S5_PT6_21rocsparse_index_base_b.uses_vcc, 1
	.set _ZN9rocsparseL18bsrxmvn_4x4_kernelILj128ELj64EillaaiEEvT3_20rocsparse_direction_NS_24const_host_device_scalarIT1_EES1_PKS1_PKT2_SA_S7_PKT4_PKT5_S5_PT6_21rocsparse_index_base_b.uses_flat_scratch, 0
	.set _ZN9rocsparseL18bsrxmvn_4x4_kernelILj128ELj64EillaaiEEvT3_20rocsparse_direction_NS_24const_host_device_scalarIT1_EES1_PKS1_PKT2_SA_S7_PKT4_PKT5_S5_PT6_21rocsparse_index_base_b.has_dyn_sized_stack, 0
	.set _ZN9rocsparseL18bsrxmvn_4x4_kernelILj128ELj64EillaaiEEvT3_20rocsparse_direction_NS_24const_host_device_scalarIT1_EES1_PKS1_PKT2_SA_S7_PKT4_PKT5_S5_PT6_21rocsparse_index_base_b.has_recursion, 0
	.set _ZN9rocsparseL18bsrxmvn_4x4_kernelILj128ELj64EillaaiEEvT3_20rocsparse_direction_NS_24const_host_device_scalarIT1_EES1_PKS1_PKT2_SA_S7_PKT4_PKT5_S5_PT6_21rocsparse_index_base_b.has_indirect_call, 0
	.section	.AMDGPU.csdata,"",@progbits
; Kernel info:
; codeLenInByte = 3712
; TotalNumSgprs: 46
; NumVgprs: 59
; NumAgprs: 0
; TotalNumVgprs: 59
; ScratchSize: 0
; MemoryBound: 0
; FloatMode: 240
; IeeeMode: 1
; LDSByteSize: 0 bytes/workgroup (compile time only)
; SGPRBlocks: 5
; VGPRBlocks: 7
; NumSGPRsForWavesPerEU: 46
; NumVGPRsForWavesPerEU: 59
; AccumOffset: 60
; Occupancy: 8
; WaveLimiterHint : 1
; COMPUTE_PGM_RSRC2:SCRATCH_EN: 0
; COMPUTE_PGM_RSRC2:USER_SGPR: 2
; COMPUTE_PGM_RSRC2:TRAP_HANDLER: 0
; COMPUTE_PGM_RSRC2:TGID_X_EN: 1
; COMPUTE_PGM_RSRC2:TGID_Y_EN: 0
; COMPUTE_PGM_RSRC2:TGID_Z_EN: 0
; COMPUTE_PGM_RSRC2:TIDIG_COMP_CNT: 0
; COMPUTE_PGM_RSRC3_GFX90A:ACCUM_OFFSET: 14
; COMPUTE_PGM_RSRC3_GFX90A:TG_SPLIT: 0
	.section	.text._ZN9rocsparseL18bsrxmvn_4x4_kernelILj128ELj4EfiiaafEEvT3_20rocsparse_direction_NS_24const_host_device_scalarIT1_EES1_PKS1_PKT2_SA_S7_PKT4_PKT5_S5_PT6_21rocsparse_index_base_b,"axG",@progbits,_ZN9rocsparseL18bsrxmvn_4x4_kernelILj128ELj4EfiiaafEEvT3_20rocsparse_direction_NS_24const_host_device_scalarIT1_EES1_PKS1_PKT2_SA_S7_PKT4_PKT5_S5_PT6_21rocsparse_index_base_b,comdat
	.globl	_ZN9rocsparseL18bsrxmvn_4x4_kernelILj128ELj4EfiiaafEEvT3_20rocsparse_direction_NS_24const_host_device_scalarIT1_EES1_PKS1_PKT2_SA_S7_PKT4_PKT5_S5_PT6_21rocsparse_index_base_b ; -- Begin function _ZN9rocsparseL18bsrxmvn_4x4_kernelILj128ELj4EfiiaafEEvT3_20rocsparse_direction_NS_24const_host_device_scalarIT1_EES1_PKS1_PKT2_SA_S7_PKT4_PKT5_S5_PT6_21rocsparse_index_base_b
	.p2align	8
	.type	_ZN9rocsparseL18bsrxmvn_4x4_kernelILj128ELj4EfiiaafEEvT3_20rocsparse_direction_NS_24const_host_device_scalarIT1_EES1_PKS1_PKT2_SA_S7_PKT4_PKT5_S5_PT6_21rocsparse_index_base_b,@function
_ZN9rocsparseL18bsrxmvn_4x4_kernelILj128ELj4EfiiaafEEvT3_20rocsparse_direction_NS_24const_host_device_scalarIT1_EES1_PKS1_PKT2_SA_S7_PKT4_PKT5_S5_PT6_21rocsparse_index_base_b: ; @_ZN9rocsparseL18bsrxmvn_4x4_kernelILj128ELj4EfiiaafEEvT3_20rocsparse_direction_NS_24const_host_device_scalarIT1_EES1_PKS1_PKT2_SA_S7_PKT4_PKT5_S5_PT6_21rocsparse_index_base_b
; %bb.0:
	s_load_dwordx2 s[16:17], s[0:1], 0x58
	s_load_dwordx2 s[12:13], s[0:1], 0x8
	;; [unrolled: 1-line block ×3, first 2 shown]
	s_waitcnt lgkmcnt(0)
	s_bitcmp1_b32 s17, 0
	s_cselect_b64 s[6:7], -1, 0
	s_xor_b64 s[4:5], s[6:7], -1
	s_and_b64 vcc, exec, s[6:7]
	s_cbranch_vccnz .LBB75_2
; %bb.1:
	s_load_dword s12, s[12:13], 0x0
.LBB75_2:
	s_andn2_b64 vcc, exec, s[4:5]
	s_cbranch_vccnz .LBB75_4
; %bb.3:
	s_load_dword s14, s[14:15], 0x0
.LBB75_4:
	s_waitcnt lgkmcnt(0)
	v_cmp_neq_f32_e64 s[4:5], s12, 0
	v_cmp_neq_f32_e64 s[6:7], s14, 1.0
	s_or_b64 s[4:5], s[4:5], s[6:7]
	s_andn2_b64 vcc, exec, s[4:5]
	s_cbranch_vccnz .LBB75_10
; %bb.5:
	s_load_dwordx2 s[4:5], s[0:1], 0x18
	s_load_dwordx2 s[18:19], s[0:1], 0x0
	v_lshrrev_b32_e32 v1, 2, v0
	v_lshl_or_b32 v12, s2, 5, v1
	s_mov_b64 s[2:3], 0
	s_waitcnt lgkmcnt(0)
	s_cmp_lg_u64 s[4:5], 0
	s_cbranch_scc0 .LBB75_11
; %bb.6:
	s_load_dword s6, s[0:1], 0x10
                                        ; implicit-def: $vgpr1
	s_waitcnt lgkmcnt(0)
	v_cmp_gt_i32_e32 vcc, s6, v12
	s_and_saveexec_b64 s[6:7], vcc
	s_xor_b64 s[6:7], exec, s[6:7]
	s_cbranch_execz .LBB75_8
; %bb.7:
	v_ashrrev_i32_e32 v13, 31, v12
	v_lshl_add_u64 v[2:3], v[12:13], 2, s[4:5]
	global_load_dword v1, v[2:3], off
	s_mov_b64 s[2:3], exec
	s_waitcnt vmcnt(0)
	v_subrev_u32_e32 v1, s16, v1
.LBB75_8:
	s_or_b64 exec, exec, s[6:7]
	s_branch .LBB75_12
.LBB75_9:
	v_cmp_gt_i32_e32 vcc, s18, v12
	s_andn2_b64 s[2:3], s[2:3], exec
	s_and_b64 s[4:5], vcc, exec
	s_or_b64 s[2:3], s[2:3], s[4:5]
	s_and_saveexec_b64 s[4:5], s[2:3]
	s_cbranch_execnz .LBB75_13
.LBB75_10:
	s_endpgm
.LBB75_11:
                                        ; implicit-def: $vgpr1
	s_cbranch_execnz .LBB75_9
.LBB75_12:
	v_mov_b32_e32 v12, v1
	s_and_saveexec_b64 s[4:5], s[2:3]
	s_cbranch_execz .LBB75_10
.LBB75_13:
	s_load_dwordx8 s[4:11], s[0:1], 0x20
	v_ashrrev_i32_e32 v13, 31, v12
	v_lshlrev_b64 v[2:3], 2, v[12:13]
	v_and_b32_e32 v13, 3, v0
	s_waitcnt lgkmcnt(0)
	v_lshl_add_u64 v[4:5], s[4:5], 0, v[2:3]
	s_cmp_eq_u64 s[6:7], 0
	global_load_dword v8, v[4:5], off
	v_lshl_add_u64 v[4:5], v[4:5], 0, 4
	v_lshl_add_u64 v[2:3], s[6:7], 0, v[2:3]
	s_cselect_b64 vcc, -1, 0
	v_cndmask_b32_e32 v3, v3, v5, vcc
	v_cndmask_b32_e32 v2, v2, v4, vcc
	global_load_dword v1, v[2:3], off
	s_load_dwordx2 s[4:5], s[0:1], 0x40
	s_cmp_eq_u32 s19, 1
	s_waitcnt vmcnt(1)
	v_subrev_u32_e32 v0, s16, v8
	v_add_u32_e32 v14, v0, v13
	v_ashrrev_i32_e32 v15, 31, v14
	v_lshl_add_u64 v[16:17], v[14:15], 4, s[10:11]
	s_waitcnt vmcnt(0)
	v_subrev_u32_e32 v22, s16, v1
	v_cmp_lt_i32_e64 s[2:3], v14, v22
	s_cbranch_scc1 .LBB75_25
; %bb.14:
	v_mov_b32_e32 v21, 0
	v_mov_b32_e32 v20, 0
	;; [unrolled: 1-line block ×4, first 2 shown]
	s_and_saveexec_b64 s[6:7], s[2:3]
	s_cbranch_execz .LBB75_24
; %bb.15:
	v_add_u32_e32 v0, v8, v13
	v_subrev_u32_e32 v0, s16, v0
	v_add_u32_e32 v0, 4, v0
	v_max_i32_e32 v0, v0, v22
	v_not_b32_e32 v1, v8
	v_add3_u32 v0, s16, v0, v1
	v_sub_u32_e32 v0, v0, v13
	v_mov_b32_e32 v18, 0
	v_and_b32_e32 v1, 12, v0
	v_mov_b32_e32 v19, v18
	v_cmp_ne_u32_e32 vcc, 12, v1
	v_mov_b64_e32 v[20:21], v[18:19]
	v_mov_b32_e32 v4, v14
	v_mov_b64_e32 v[6:7], v[16:17]
	s_and_saveexec_b64 s[10:11], vcc
	s_cbranch_execz .LBB75_19
; %bb.16:
	v_lshrrev_b32_e32 v1, 2, v0
	v_add_u32_e32 v1, 1, v1
	v_and_b32_e32 v1, 3, v1
	v_sub_u32_e32 v1, 0, v1
	s_mov_b64 s[18:19], 0
	v_mov_b64_e32 v[6:7], v[16:17]
	v_mov_b32_e32 v4, v14
	v_mov_b32_e32 v19, v18
	;; [unrolled: 1-line block ×4, first 2 shown]
.LBB75_17:                              ; =>This Inner Loop Header: Depth=1
	v_ashrrev_i32_e32 v5, 31, v4
	v_lshl_add_u64 v[2:3], v[4:5], 2, s[8:9]
	global_load_dword v5, v[2:3], off
	global_load_dwordx4 v[24:27], v[6:7], off
	v_add_co_u32_e32 v1, vcc, 1, v1
	v_lshl_add_u64 v[6:7], v[6:7], 0, 64
	v_add_u32_e32 v4, 4, v4
	s_or_b64 s[18:19], vcc, s[18:19]
	s_waitcnt vmcnt(1)
	v_subrev_u32_e32 v2, s16, v5
	v_lshlrev_b32_e32 v2, 2, v2
	v_ashrrev_i32_e32 v3, 31, v2
	s_waitcnt lgkmcnt(0)
	v_lshl_add_u64 v[2:3], s[4:5], 0, v[2:3]
	global_load_dword v5, v[2:3], off
	s_waitcnt vmcnt(1)
	v_cvt_f32_i32_sdwa v3, sext(v25) dst_sel:DWORD dst_unused:UNUSED_PAD src0_sel:BYTE_0
	v_cvt_f32_i32_sdwa v2, sext(v24) dst_sel:DWORD dst_unused:UNUSED_PAD src0_sel:BYTE_0
	;; [unrolled: 1-line block ×4, first 2 shown]
	v_cvt_f32_i32_sdwa v11, sext(v25) dst_sel:DWORD dst_unused:UNUSED_PAD src0_sel:BYTE_1
	v_cvt_f32_i32_sdwa v10, sext(v24) dst_sel:DWORD dst_unused:UNUSED_PAD src0_sel:BYTE_1
	;; [unrolled: 1-line block ×4, first 2 shown]
	v_cvt_f32_i32_sdwa v29, sext(v25) dst_sel:DWORD dst_unused:UNUSED_PAD src0_sel:BYTE_2
	v_cvt_f32_i32_sdwa v28, sext(v24) dst_sel:DWORD dst_unused:UNUSED_PAD src0_sel:BYTE_2
	;; [unrolled: 1-line block ×4, first 2 shown]
	v_cvt_f32_i32_sdwa v25, sext(v25) dst_sel:DWORD dst_unused:UNUSED_PAD src0_sel:BYTE_3
	v_cvt_f32_i32_sdwa v24, sext(v24) dst_sel:DWORD dst_unused:UNUSED_PAD src0_sel:BYTE_3
	;; [unrolled: 1-line block ×4, first 2 shown]
	s_waitcnt vmcnt(0)
	v_cvt_f32_i32_sdwa v36, sext(v5) dst_sel:DWORD dst_unused:UNUSED_PAD src0_sel:BYTE_0
	v_cvt_f32_i32_sdwa v38, sext(v5) dst_sel:DWORD dst_unused:UNUSED_PAD src0_sel:BYTE_1
	v_cvt_f32_i32_sdwa v40, sext(v5) dst_sel:DWORD dst_unused:UNUSED_PAD src0_sel:BYTE_2
	v_cvt_f32_i32_sdwa v42, sext(v5) dst_sel:DWORD dst_unused:UNUSED_PAD src0_sel:BYTE_3
	v_pk_fma_f32 v[2:3], v[2:3], v[36:37], v[18:19] op_sel_hi:[1,0,1]
	v_pk_fma_f32 v[18:19], v[30:31], v[36:37], v[20:21] op_sel_hi:[1,0,1]
	v_pk_fma_f32 v[2:3], v[10:11], v[38:39], v[2:3] op_sel_hi:[1,0,1]
	v_pk_fma_f32 v[10:11], v[32:33], v[38:39], v[18:19] op_sel_hi:[1,0,1]
	v_pk_fma_f32 v[2:3], v[28:29], v[40:41], v[2:3] op_sel_hi:[1,0,1]
	v_pk_fma_f32 v[10:11], v[34:35], v[40:41], v[10:11] op_sel_hi:[1,0,1]
	v_pk_fma_f32 v[18:19], v[24:25], v[42:43], v[2:3] op_sel_hi:[1,0,1]
	v_pk_fma_f32 v[20:21], v[26:27], v[42:43], v[10:11] op_sel_hi:[1,0,1]
	s_andn2_b64 exec, exec, s[18:19]
	s_cbranch_execnz .LBB75_17
; %bb.18:
	s_or_b64 exec, exec, s[18:19]
.LBB75_19:
	s_or_b64 exec, exec, s[10:11]
	v_cmp_lt_u32_e32 vcc, 11, v0
	s_and_saveexec_b64 s[10:11], vcc
	s_cbranch_execz .LBB75_23
; %bb.20:
	s_mov_b64 s[18:19], 0
	s_mov_b64 s[20:21], 0x100
.LBB75_21:                              ; =>This Inner Loop Header: Depth=1
	v_ashrrev_i32_e32 v5, 31, v4
	v_lshl_add_u64 v[10:11], v[4:5], 2, s[8:9]
	global_load_dwordx4 v[24:27], v[6:7], off
	global_load_dwordx4 v[0:3], v[6:7], off offset:64
	global_load_dwordx4 v[28:31], v[6:7], off offset:128
	;; [unrolled: 1-line block ×3, first 2 shown]
	global_load_dword v5, v[10:11], off
	global_load_dword v9, v[10:11], off offset:16
	global_load_dword v15, v[10:11], off offset:32
	global_load_dword v23, v[10:11], off offset:48
	v_add_u32_e32 v4, 16, v4
	v_cmp_ge_i32_e32 vcc, v4, v22
	v_lshl_add_u64 v[6:7], v[6:7], 0, s[20:21]
	s_or_b64 s[18:19], vcc, s[18:19]
	s_waitcnt vmcnt(3)
	v_subrev_u32_e32 v5, s16, v5
	s_waitcnt vmcnt(2)
	v_subrev_u32_e32 v9, s16, v9
	;; [unrolled: 2-line block ×4, first 2 shown]
	v_lshlrev_b32_e32 v54, 2, v5
	v_lshlrev_b32_e32 v56, 2, v9
	;; [unrolled: 1-line block ×4, first 2 shown]
	v_ashrrev_i32_e32 v55, 31, v54
	v_ashrrev_i32_e32 v57, 31, v56
	;; [unrolled: 1-line block ×4, first 2 shown]
	s_waitcnt lgkmcnt(0)
	v_lshl_add_u64 v[54:55], s[4:5], 0, v[54:55]
	v_lshl_add_u64 v[56:57], s[4:5], 0, v[56:57]
	;; [unrolled: 1-line block ×4, first 2 shown]
	global_load_dword v5, v[54:55], off
	global_load_dword v9, v[56:57], off
	;; [unrolled: 1-line block ×4, first 2 shown]
	v_cvt_f32_i32_sdwa v11, sext(v25) dst_sel:DWORD dst_unused:UNUSED_PAD src0_sel:BYTE_0
	v_cvt_f32_i32_sdwa v10, sext(v24) dst_sel:DWORD dst_unused:UNUSED_PAD src0_sel:BYTE_0
	v_cvt_f32_i32_sdwa v41, sext(v27) dst_sel:DWORD dst_unused:UNUSED_PAD src0_sel:BYTE_0
	v_cvt_f32_i32_sdwa v40, sext(v26) dst_sel:DWORD dst_unused:UNUSED_PAD src0_sel:BYTE_0
	v_cvt_f32_i32_sdwa v37, sext(v25) dst_sel:DWORD dst_unused:UNUSED_PAD src0_sel:BYTE_1
	v_cvt_f32_i32_sdwa v36, sext(v24) dst_sel:DWORD dst_unused:UNUSED_PAD src0_sel:BYTE_1
	v_cvt_f32_i32_sdwa v43, sext(v27) dst_sel:DWORD dst_unused:UNUSED_PAD src0_sel:BYTE_1
	v_cvt_f32_i32_sdwa v42, sext(v26) dst_sel:DWORD dst_unused:UNUSED_PAD src0_sel:BYTE_1
	v_cvt_f32_i32_sdwa v39, sext(v25) dst_sel:DWORD dst_unused:UNUSED_PAD src0_sel:BYTE_2
	v_cvt_f32_i32_sdwa v38, sext(v24) dst_sel:DWORD dst_unused:UNUSED_PAD src0_sel:BYTE_2
	v_cvt_f32_i32_sdwa v45, sext(v27) dst_sel:DWORD dst_unused:UNUSED_PAD src0_sel:BYTE_2
	v_cvt_f32_i32_sdwa v44, sext(v26) dst_sel:DWORD dst_unused:UNUSED_PAD src0_sel:BYTE_2
	v_cvt_f32_i32_sdwa v25, sext(v25) dst_sel:DWORD dst_unused:UNUSED_PAD src0_sel:BYTE_3
	v_cvt_f32_i32_sdwa v24, sext(v24) dst_sel:DWORD dst_unused:UNUSED_PAD src0_sel:BYTE_3
	v_cvt_f32_i32_sdwa v27, sext(v27) dst_sel:DWORD dst_unused:UNUSED_PAD src0_sel:BYTE_3
	v_cvt_f32_i32_sdwa v26, sext(v26) dst_sel:DWORD dst_unused:UNUSED_PAD src0_sel:BYTE_3
	v_cvt_f32_i32_sdwa v47, sext(v1) dst_sel:DWORD dst_unused:UNUSED_PAD src0_sel:BYTE_0
	v_cvt_f32_i32_sdwa v46, sext(v0) dst_sel:DWORD dst_unused:UNUSED_PAD src0_sel:BYTE_0
	v_cvt_f32_i32_sdwa v53, sext(v3) dst_sel:DWORD dst_unused:UNUSED_PAD src0_sel:BYTE_0
	v_cvt_f32_i32_sdwa v52, sext(v2) dst_sel:DWORD dst_unused:UNUSED_PAD src0_sel:BYTE_0
	v_cvt_f32_i32_sdwa v49, sext(v1) dst_sel:DWORD dst_unused:UNUSED_PAD src0_sel:BYTE_1
	v_cvt_f32_i32_sdwa v48, sext(v0) dst_sel:DWORD dst_unused:UNUSED_PAD src0_sel:BYTE_1
	v_cvt_f32_i32_sdwa v55, sext(v3) dst_sel:DWORD dst_unused:UNUSED_PAD src0_sel:BYTE_1
	v_cvt_f32_i32_sdwa v54, sext(v2) dst_sel:DWORD dst_unused:UNUSED_PAD src0_sel:BYTE_1
	v_cvt_f32_i32_sdwa v51, sext(v1) dst_sel:DWORD dst_unused:UNUSED_PAD src0_sel:BYTE_2
	v_cvt_f32_i32_sdwa v50, sext(v0) dst_sel:DWORD dst_unused:UNUSED_PAD src0_sel:BYTE_2
	v_cvt_f32_i32_sdwa v57, sext(v3) dst_sel:DWORD dst_unused:UNUSED_PAD src0_sel:BYTE_2
	v_cvt_f32_i32_sdwa v56, sext(v2) dst_sel:DWORD dst_unused:UNUSED_PAD src0_sel:BYTE_2
	v_cvt_f32_i32_sdwa v1, sext(v1) dst_sel:DWORD dst_unused:UNUSED_PAD src0_sel:BYTE_3
	v_cvt_f32_i32_sdwa v0, sext(v0) dst_sel:DWORD dst_unused:UNUSED_PAD src0_sel:BYTE_3
	v_cvt_f32_i32_sdwa v3, sext(v3) dst_sel:DWORD dst_unused:UNUSED_PAD src0_sel:BYTE_3
	v_cvt_f32_i32_sdwa v2, sext(v2) dst_sel:DWORD dst_unused:UNUSED_PAD src0_sel:BYTE_3
	v_cvt_f32_i32_sdwa v59, sext(v29) dst_sel:DWORD dst_unused:UNUSED_PAD src0_sel:BYTE_0
	v_cvt_f32_i32_sdwa v58, sext(v28) dst_sel:DWORD dst_unused:UNUSED_PAD src0_sel:BYTE_0
	v_cvt_f32_i32_sdwa v65, sext(v31) dst_sel:DWORD dst_unused:UNUSED_PAD src0_sel:BYTE_0
	v_cvt_f32_i32_sdwa v64, sext(v30) dst_sel:DWORD dst_unused:UNUSED_PAD src0_sel:BYTE_0
	v_cvt_f32_i32_sdwa v61, sext(v29) dst_sel:DWORD dst_unused:UNUSED_PAD src0_sel:BYTE_1
	v_cvt_f32_i32_sdwa v60, sext(v28) dst_sel:DWORD dst_unused:UNUSED_PAD src0_sel:BYTE_1
	v_cvt_f32_i32_sdwa v67, sext(v31) dst_sel:DWORD dst_unused:UNUSED_PAD src0_sel:BYTE_1
	v_cvt_f32_i32_sdwa v66, sext(v30) dst_sel:DWORD dst_unused:UNUSED_PAD src0_sel:BYTE_1
	v_cvt_f32_i32_sdwa v63, sext(v29) dst_sel:DWORD dst_unused:UNUSED_PAD src0_sel:BYTE_2
	v_cvt_f32_i32_sdwa v62, sext(v28) dst_sel:DWORD dst_unused:UNUSED_PAD src0_sel:BYTE_2
	v_cvt_f32_i32_sdwa v69, sext(v31) dst_sel:DWORD dst_unused:UNUSED_PAD src0_sel:BYTE_2
	v_cvt_f32_i32_sdwa v68, sext(v30) dst_sel:DWORD dst_unused:UNUSED_PAD src0_sel:BYTE_2
	v_cvt_f32_i32_sdwa v29, sext(v29) dst_sel:DWORD dst_unused:UNUSED_PAD src0_sel:BYTE_3
	v_cvt_f32_i32_sdwa v28, sext(v28) dst_sel:DWORD dst_unused:UNUSED_PAD src0_sel:BYTE_3
	v_cvt_f32_i32_sdwa v31, sext(v31) dst_sel:DWORD dst_unused:UNUSED_PAD src0_sel:BYTE_3
	v_cvt_f32_i32_sdwa v30, sext(v30) dst_sel:DWORD dst_unused:UNUSED_PAD src0_sel:BYTE_3
	v_cvt_f32_i32_sdwa v71, sext(v33) dst_sel:DWORD dst_unused:UNUSED_PAD src0_sel:BYTE_0
	v_cvt_f32_i32_sdwa v70, sext(v32) dst_sel:DWORD dst_unused:UNUSED_PAD src0_sel:BYTE_0
	v_cvt_f32_i32_sdwa v77, sext(v35) dst_sel:DWORD dst_unused:UNUSED_PAD src0_sel:BYTE_0
	v_cvt_f32_i32_sdwa v76, sext(v34) dst_sel:DWORD dst_unused:UNUSED_PAD src0_sel:BYTE_0
	v_cvt_f32_i32_sdwa v73, sext(v33) dst_sel:DWORD dst_unused:UNUSED_PAD src0_sel:BYTE_1
	v_cvt_f32_i32_sdwa v72, sext(v32) dst_sel:DWORD dst_unused:UNUSED_PAD src0_sel:BYTE_1
	v_cvt_f32_i32_sdwa v79, sext(v35) dst_sel:DWORD dst_unused:UNUSED_PAD src0_sel:BYTE_1
	v_cvt_f32_i32_sdwa v78, sext(v34) dst_sel:DWORD dst_unused:UNUSED_PAD src0_sel:BYTE_1
	v_cvt_f32_i32_sdwa v75, sext(v33) dst_sel:DWORD dst_unused:UNUSED_PAD src0_sel:BYTE_2
	v_cvt_f32_i32_sdwa v74, sext(v32) dst_sel:DWORD dst_unused:UNUSED_PAD src0_sel:BYTE_2
	v_cvt_f32_i32_sdwa v81, sext(v35) dst_sel:DWORD dst_unused:UNUSED_PAD src0_sel:BYTE_2
	v_cvt_f32_i32_sdwa v80, sext(v34) dst_sel:DWORD dst_unused:UNUSED_PAD src0_sel:BYTE_2
	v_cvt_f32_i32_sdwa v33, sext(v33) dst_sel:DWORD dst_unused:UNUSED_PAD src0_sel:BYTE_3
	v_cvt_f32_i32_sdwa v32, sext(v32) dst_sel:DWORD dst_unused:UNUSED_PAD src0_sel:BYTE_3
	v_cvt_f32_i32_sdwa v35, sext(v35) dst_sel:DWORD dst_unused:UNUSED_PAD src0_sel:BYTE_3
	v_cvt_f32_i32_sdwa v34, sext(v34) dst_sel:DWORD dst_unused:UNUSED_PAD src0_sel:BYTE_3
	s_waitcnt vmcnt(3)
	v_cvt_f32_i32_sdwa v82, sext(v5) dst_sel:DWORD dst_unused:UNUSED_PAD src0_sel:BYTE_0
	v_cvt_f32_i32_sdwa v84, sext(v5) dst_sel:DWORD dst_unused:UNUSED_PAD src0_sel:BYTE_1
	v_cvt_f32_i32_sdwa v86, sext(v5) dst_sel:DWORD dst_unused:UNUSED_PAD src0_sel:BYTE_2
	v_cvt_f32_i32_sdwa v88, sext(v5) dst_sel:DWORD dst_unused:UNUSED_PAD src0_sel:BYTE_3
	s_waitcnt vmcnt(2)
	v_cvt_f32_i32_sdwa v90, sext(v9) dst_sel:DWORD dst_unused:UNUSED_PAD src0_sel:BYTE_0
	v_pk_fma_f32 v[10:11], v[10:11], v[82:83], v[18:19] op_sel_hi:[1,0,1]
	v_pk_fma_f32 v[20:21], v[40:41], v[82:83], v[20:21] op_sel_hi:[1,0,1]
	v_cvt_f32_i32_sdwa v92, sext(v9) dst_sel:DWORD dst_unused:UNUSED_PAD src0_sel:BYTE_1
	v_pk_fma_f32 v[10:11], v[36:37], v[84:85], v[10:11] op_sel_hi:[1,0,1]
	v_pk_fma_f32 v[20:21], v[42:43], v[84:85], v[20:21] op_sel_hi:[1,0,1]
	v_cvt_f32_i32_sdwa v94, sext(v9) dst_sel:DWORD dst_unused:UNUSED_PAD src0_sel:BYTE_2
	v_pk_fma_f32 v[10:11], v[38:39], v[86:87], v[10:11] op_sel_hi:[1,0,1]
	v_pk_fma_f32 v[20:21], v[44:45], v[86:87], v[20:21] op_sel_hi:[1,0,1]
	v_cvt_f32_i32_sdwa v96, sext(v9) dst_sel:DWORD dst_unused:UNUSED_PAD src0_sel:BYTE_3
	v_pk_fma_f32 v[10:11], v[24:25], v[88:89], v[10:11] op_sel_hi:[1,0,1]
	v_pk_fma_f32 v[20:21], v[26:27], v[88:89], v[20:21] op_sel_hi:[1,0,1]
	s_waitcnt vmcnt(1)
	v_cvt_f32_i32_sdwa v18, sext(v15) dst_sel:DWORD dst_unused:UNUSED_PAD src0_sel:BYTE_0
	v_pk_fma_f32 v[10:11], v[46:47], v[90:91], v[10:11] op_sel_hi:[1,0,1]
	v_pk_fma_f32 v[20:21], v[52:53], v[90:91], v[20:21] op_sel_hi:[1,0,1]
	v_cvt_f32_i32_sdwa v40, sext(v15) dst_sel:DWORD dst_unused:UNUSED_PAD src0_sel:BYTE_1
	v_pk_fma_f32 v[10:11], v[48:49], v[92:93], v[10:11] op_sel_hi:[1,0,1]
	v_pk_fma_f32 v[20:21], v[54:55], v[92:93], v[20:21] op_sel_hi:[1,0,1]
	v_cvt_f32_i32_sdwa v82, sext(v15) dst_sel:DWORD dst_unused:UNUSED_PAD src0_sel:BYTE_2
	v_pk_fma_f32 v[10:11], v[50:51], v[94:95], v[10:11] op_sel_hi:[1,0,1]
	v_pk_fma_f32 v[20:21], v[56:57], v[94:95], v[20:21] op_sel_hi:[1,0,1]
	v_cvt_f32_i32_sdwa v98, sext(v15) dst_sel:DWORD dst_unused:UNUSED_PAD src0_sel:BYTE_3
	v_pk_fma_f32 v[0:1], v[0:1], v[96:97], v[10:11] op_sel_hi:[1,0,1]
	v_pk_fma_f32 v[2:3], v[2:3], v[96:97], v[20:21] op_sel_hi:[1,0,1]
	;; [unrolled: 13-line block ×3, first 2 shown]
	v_pk_fma_f32 v[0:1], v[70:71], v[36:37], v[0:1] op_sel_hi:[1,0,1]
	v_pk_fma_f32 v[2:3], v[76:77], v[36:37], v[2:3] op_sel_hi:[1,0,1]
	;; [unrolled: 1-line block ×8, first 2 shown]
	s_andn2_b64 exec, exec, s[18:19]
	s_cbranch_execnz .LBB75_21
; %bb.22:
	s_or_b64 exec, exec, s[18:19]
.LBB75_23:
	s_or_b64 exec, exec, s[10:11]
.LBB75_24:
	s_or_b64 exec, exec, s[6:7]
	s_cbranch_execz .LBB75_26
	s_branch .LBB75_37
.LBB75_25:
                                        ; implicit-def: $vgpr21
                                        ; implicit-def: $vgpr19
.LBB75_26:
	v_mov_b32_e32 v21, 0
	v_mov_b32_e32 v20, 0
	v_mov_b32_e32 v19, 0
	v_mov_b32_e32 v18, 0
	s_and_saveexec_b64 s[6:7], s[2:3]
	s_cbranch_execz .LBB75_36
; %bb.27:
	v_add_u32_e32 v0, v8, v13
	v_subrev_u32_e32 v0, s16, v0
	v_add_u32_e32 v0, 4, v0
	v_max_i32_e32 v0, v0, v22
	v_not_b32_e32 v1, v8
	v_add3_u32 v0, s16, v0, v1
	v_sub_u32_e32 v0, v0, v13
	v_mov_b32_e32 v18, 0
	v_and_b32_e32 v1, 12, v0
	v_mov_b32_e32 v19, v18
	v_cmp_ne_u32_e32 vcc, 12, v1
	v_mov_b64_e32 v[20:21], v[18:19]
	s_and_saveexec_b64 s[2:3], vcc
	s_cbranch_execz .LBB75_31
; %bb.28:
	v_lshrrev_b32_e32 v1, 2, v0
	v_add_u32_e32 v1, 1, v1
	v_and_b32_e32 v1, 3, v1
	v_sub_u32_e32 v1, 0, v1
	s_mov_b64 s[10:11], 0
	v_mov_b32_e32 v19, v18
	v_mov_b32_e32 v20, v18
	v_mov_b32_e32 v21, v18
.LBB75_29:                              ; =>This Inner Loop Header: Depth=1
	v_ashrrev_i32_e32 v15, 31, v14
	v_lshl_add_u64 v[6:7], v[14:15], 2, s[8:9]
	global_load_dword v8, v[6:7], off
	global_load_dwordx4 v[2:5], v[16:17], off
	v_add_co_u32_e32 v1, vcc, 1, v1
	v_lshl_add_u64 v[16:17], v[16:17], 0, 64
	v_add_u32_e32 v14, 4, v14
	s_or_b64 s[10:11], vcc, s[10:11]
	s_waitcnt vmcnt(1)
	v_subrev_u32_e32 v6, s16, v8
	v_lshlrev_b32_e32 v6, 2, v6
	v_ashrrev_i32_e32 v7, 31, v6
	s_waitcnt lgkmcnt(0)
	v_lshl_add_u64 v[6:7], s[4:5], 0, v[6:7]
	global_load_dword v15, v[6:7], off
	s_waitcnt vmcnt(1)
	v_cvt_f32_i32_sdwa v7, sext(v2) dst_sel:DWORD dst_unused:UNUSED_PAD src0_sel:BYTE_1
	v_cvt_f32_i32_sdwa v6, sext(v2) dst_sel:DWORD dst_unused:UNUSED_PAD src0_sel:BYTE_0
	v_cvt_f32_i32_sdwa v9, sext(v3) dst_sel:DWORD dst_unused:UNUSED_PAD src0_sel:BYTE_1
	v_cvt_f32_i32_sdwa v8, sext(v3) dst_sel:DWORD dst_unused:UNUSED_PAD src0_sel:BYTE_0
	;; [unrolled: 2-line block ×3, first 2 shown]
	v_cvt_f32_i32_sdwa v27, sext(v2) dst_sel:DWORD dst_unused:UNUSED_PAD src0_sel:BYTE_3
	v_cvt_f32_i32_sdwa v26, sext(v2) dst_sel:DWORD dst_unused:UNUSED_PAD src0_sel:BYTE_2
	v_cvt_f32_i32_sdwa v29, sext(v3) dst_sel:DWORD dst_unused:UNUSED_PAD src0_sel:BYTE_3
	v_cvt_f32_i32_sdwa v28, sext(v3) dst_sel:DWORD dst_unused:UNUSED_PAD src0_sel:BYTE_2
	;; [unrolled: 2-line block ×3, first 2 shown]
	v_cvt_f32_i32_sdwa v25, sext(v5) dst_sel:DWORD dst_unused:UNUSED_PAD src0_sel:BYTE_1
	v_cvt_f32_i32_sdwa v24, sext(v5) dst_sel:DWORD dst_unused:UNUSED_PAD src0_sel:BYTE_0
	v_cvt_f32_i32_sdwa v31, sext(v5) dst_sel:DWORD dst_unused:UNUSED_PAD src0_sel:BYTE_3
	v_cvt_f32_i32_sdwa v30, sext(v5) dst_sel:DWORD dst_unused:UNUSED_PAD src0_sel:BYTE_2
	s_waitcnt vmcnt(0)
	v_cvt_f32_i32_sdwa v4, sext(v15) dst_sel:DWORD dst_unused:UNUSED_PAD src0_sel:BYTE_0
	v_cvt_f32_i32_sdwa v32, sext(v15) dst_sel:DWORD dst_unused:UNUSED_PAD src0_sel:BYTE_1
	v_cvt_f32_i32_sdwa v34, sext(v15) dst_sel:DWORD dst_unused:UNUSED_PAD src0_sel:BYTE_2
	v_cvt_f32_i32_sdwa v36, sext(v15) dst_sel:DWORD dst_unused:UNUSED_PAD src0_sel:BYTE_3
	v_pk_fma_f32 v[6:7], v[6:7], v[4:5], v[18:19] op_sel_hi:[1,0,1]
	v_pk_fma_f32 v[4:5], v[26:27], v[4:5], v[20:21] op_sel_hi:[1,0,1]
	;; [unrolled: 1-line block ×8, first 2 shown]
	s_andn2_b64 exec, exec, s[10:11]
	s_cbranch_execnz .LBB75_29
; %bb.30:
	s_or_b64 exec, exec, s[10:11]
.LBB75_31:
	s_or_b64 exec, exec, s[2:3]
	v_cmp_lt_u32_e32 vcc, 11, v0
	s_and_saveexec_b64 s[2:3], vcc
	s_cbranch_execz .LBB75_35
; %bb.32:
	s_mov_b64 s[10:11], 0
	s_mov_b64 s[18:19], 0x100
.LBB75_33:                              ; =>This Inner Loop Header: Depth=1
	v_ashrrev_i32_e32 v15, 31, v14
	v_lshl_add_u64 v[28:29], v[14:15], 2, s[8:9]
	global_load_dwordx4 v[0:3], v[16:17], off
	global_load_dwordx4 v[4:7], v[16:17], off offset:64
	global_load_dwordx4 v[8:11], v[16:17], off offset:128
	;; [unrolled: 1-line block ×3, first 2 shown]
	global_load_dword v15, v[28:29], off
	global_load_dword v23, v[28:29], off offset:16
	global_load_dword v48, v[28:29], off offset:32
	;; [unrolled: 1-line block ×3, first 2 shown]
	v_add_u32_e32 v14, 16, v14
	v_cmp_ge_i32_e32 vcc, v14, v22
	v_lshl_add_u64 v[16:17], v[16:17], 0, s[18:19]
	s_or_b64 s[10:11], vcc, s[10:11]
	s_waitcnt vmcnt(7)
	v_cvt_f32_i32_sdwa v29, sext(v0) dst_sel:DWORD dst_unused:UNUSED_PAD src0_sel:BYTE_1
	s_waitcnt vmcnt(3)
	v_subrev_u32_e32 v15, s16, v15
	s_waitcnt vmcnt(2)
	v_subrev_u32_e32 v23, s16, v23
	;; [unrolled: 2-line block ×4, first 2 shown]
	v_lshlrev_b32_e32 v50, 2, v15
	v_lshlrev_b32_e32 v52, 2, v23
	;; [unrolled: 1-line block ×4, first 2 shown]
	v_ashrrev_i32_e32 v51, 31, v50
	v_ashrrev_i32_e32 v53, 31, v52
	;; [unrolled: 1-line block ×4, first 2 shown]
	s_waitcnt lgkmcnt(0)
	v_lshl_add_u64 v[50:51], s[4:5], 0, v[50:51]
	v_lshl_add_u64 v[52:53], s[4:5], 0, v[52:53]
	;; [unrolled: 1-line block ×4, first 2 shown]
	global_load_dword v15, v[50:51], off
	global_load_dword v23, v[52:53], off
	;; [unrolled: 1-line block ×4, first 2 shown]
	v_cvt_f32_i32_sdwa v28, sext(v0) dst_sel:DWORD dst_unused:UNUSED_PAD src0_sel:BYTE_0
	v_cvt_f32_i32_sdwa v31, sext(v1) dst_sel:DWORD dst_unused:UNUSED_PAD src0_sel:BYTE_1
	v_cvt_f32_i32_sdwa v30, sext(v1) dst_sel:DWORD dst_unused:UNUSED_PAD src0_sel:BYTE_0
	v_cvt_f32_i32_sdwa v33, sext(v2) dst_sel:DWORD dst_unused:UNUSED_PAD src0_sel:BYTE_1
	v_cvt_f32_i32_sdwa v32, sext(v2) dst_sel:DWORD dst_unused:UNUSED_PAD src0_sel:BYTE_0
	v_cvt_f32_i32_sdwa v35, sext(v3) dst_sel:DWORD dst_unused:UNUSED_PAD src0_sel:BYTE_1
	v_cvt_f32_i32_sdwa v34, sext(v3) dst_sel:DWORD dst_unused:UNUSED_PAD src0_sel:BYTE_0
	v_cvt_f32_i32_sdwa v37, sext(v0) dst_sel:DWORD dst_unused:UNUSED_PAD src0_sel:BYTE_3
	v_cvt_f32_i32_sdwa v36, sext(v0) dst_sel:DWORD dst_unused:UNUSED_PAD src0_sel:BYTE_2
	v_cvt_f32_i32_sdwa v39, sext(v1) dst_sel:DWORD dst_unused:UNUSED_PAD src0_sel:BYTE_3
	v_cvt_f32_i32_sdwa v38, sext(v1) dst_sel:DWORD dst_unused:UNUSED_PAD src0_sel:BYTE_2
	v_cvt_f32_i32_sdwa v1, sext(v2) dst_sel:DWORD dst_unused:UNUSED_PAD src0_sel:BYTE_3
	v_cvt_f32_i32_sdwa v0, sext(v2) dst_sel:DWORD dst_unused:UNUSED_PAD src0_sel:BYTE_2
	v_cvt_f32_i32_sdwa v41, sext(v3) dst_sel:DWORD dst_unused:UNUSED_PAD src0_sel:BYTE_3
	v_cvt_f32_i32_sdwa v40, sext(v3) dst_sel:DWORD dst_unused:UNUSED_PAD src0_sel:BYTE_2
	v_cvt_f32_i32_sdwa v3, sext(v4) dst_sel:DWORD dst_unused:UNUSED_PAD src0_sel:BYTE_1
	v_cvt_f32_i32_sdwa v2, sext(v4) dst_sel:DWORD dst_unused:UNUSED_PAD src0_sel:BYTE_0
	v_cvt_f32_i32_sdwa v43, sext(v5) dst_sel:DWORD dst_unused:UNUSED_PAD src0_sel:BYTE_1
	v_cvt_f32_i32_sdwa v42, sext(v5) dst_sel:DWORD dst_unused:UNUSED_PAD src0_sel:BYTE_0
	v_cvt_f32_i32_sdwa v45, sext(v6) dst_sel:DWORD dst_unused:UNUSED_PAD src0_sel:BYTE_1
	v_cvt_f32_i32_sdwa v44, sext(v6) dst_sel:DWORD dst_unused:UNUSED_PAD src0_sel:BYTE_0
	v_cvt_f32_i32_sdwa v47, sext(v7) dst_sel:DWORD dst_unused:UNUSED_PAD src0_sel:BYTE_1
	v_cvt_f32_i32_sdwa v46, sext(v7) dst_sel:DWORD dst_unused:UNUSED_PAD src0_sel:BYTE_0
	v_cvt_f32_i32_sdwa v49, sext(v4) dst_sel:DWORD dst_unused:UNUSED_PAD src0_sel:BYTE_3
	v_cvt_f32_i32_sdwa v48, sext(v4) dst_sel:DWORD dst_unused:UNUSED_PAD src0_sel:BYTE_2
	v_cvt_f32_i32_sdwa v51, sext(v5) dst_sel:DWORD dst_unused:UNUSED_PAD src0_sel:BYTE_3
	v_cvt_f32_i32_sdwa v50, sext(v5) dst_sel:DWORD dst_unused:UNUSED_PAD src0_sel:BYTE_2
	v_cvt_f32_i32_sdwa v5, sext(v6) dst_sel:DWORD dst_unused:UNUSED_PAD src0_sel:BYTE_3
	v_cvt_f32_i32_sdwa v4, sext(v6) dst_sel:DWORD dst_unused:UNUSED_PAD src0_sel:BYTE_2
	v_cvt_f32_i32_sdwa v53, sext(v7) dst_sel:DWORD dst_unused:UNUSED_PAD src0_sel:BYTE_3
	v_cvt_f32_i32_sdwa v52, sext(v7) dst_sel:DWORD dst_unused:UNUSED_PAD src0_sel:BYTE_2
	v_cvt_f32_i32_sdwa v7, sext(v8) dst_sel:DWORD dst_unused:UNUSED_PAD src0_sel:BYTE_1
	;; [unrolled: 16-line block ×3, first 2 shown]
	v_cvt_f32_i32_sdwa v10, sext(v24) dst_sel:DWORD dst_unused:UNUSED_PAD src0_sel:BYTE_0
	v_cvt_f32_i32_sdwa v67, sext(v25) dst_sel:DWORD dst_unused:UNUSED_PAD src0_sel:BYTE_1
	v_cvt_f32_i32_sdwa v66, sext(v25) dst_sel:DWORD dst_unused:UNUSED_PAD src0_sel:BYTE_0
	v_cvt_f32_i32_sdwa v69, sext(v26) dst_sel:DWORD dst_unused:UNUSED_PAD src0_sel:BYTE_1
	v_cvt_f32_i32_sdwa v68, sext(v26) dst_sel:DWORD dst_unused:UNUSED_PAD src0_sel:BYTE_0
	v_cvt_f32_i32_sdwa v73, sext(v24) dst_sel:DWORD dst_unused:UNUSED_PAD src0_sel:BYTE_3
	v_cvt_f32_i32_sdwa v72, sext(v24) dst_sel:DWORD dst_unused:UNUSED_PAD src0_sel:BYTE_2
	v_cvt_f32_i32_sdwa v75, sext(v25) dst_sel:DWORD dst_unused:UNUSED_PAD src0_sel:BYTE_3
	v_cvt_f32_i32_sdwa v74, sext(v25) dst_sel:DWORD dst_unused:UNUSED_PAD src0_sel:BYTE_2
	;; [unrolled: 2-line block ×3, first 2 shown]
	v_cvt_f32_i32_sdwa v71, sext(v27) dst_sel:DWORD dst_unused:UNUSED_PAD src0_sel:BYTE_1
	v_cvt_f32_i32_sdwa v70, sext(v27) dst_sel:DWORD dst_unused:UNUSED_PAD src0_sel:BYTE_0
	v_cvt_f32_i32_sdwa v77, sext(v27) dst_sel:DWORD dst_unused:UNUSED_PAD src0_sel:BYTE_3
	v_cvt_f32_i32_sdwa v76, sext(v27) dst_sel:DWORD dst_unused:UNUSED_PAD src0_sel:BYTE_2
	s_waitcnt vmcnt(3)
	v_cvt_f32_i32_sdwa v26, sext(v15) dst_sel:DWORD dst_unused:UNUSED_PAD src0_sel:BYTE_0
	v_cvt_f32_i32_sdwa v78, sext(v15) dst_sel:DWORD dst_unused:UNUSED_PAD src0_sel:BYTE_1
	v_cvt_f32_i32_sdwa v80, sext(v15) dst_sel:DWORD dst_unused:UNUSED_PAD src0_sel:BYTE_2
	v_cvt_f32_i32_sdwa v82, sext(v15) dst_sel:DWORD dst_unused:UNUSED_PAD src0_sel:BYTE_3
	s_waitcnt vmcnt(2)
	v_cvt_f32_i32_sdwa v84, sext(v23) dst_sel:DWORD dst_unused:UNUSED_PAD src0_sel:BYTE_0
	v_pk_fma_f32 v[18:19], v[28:29], v[26:27], v[18:19] op_sel_hi:[1,0,1]
	v_pk_fma_f32 v[20:21], v[36:37], v[26:27], v[20:21] op_sel_hi:[1,0,1]
	v_cvt_f32_i32_sdwa v86, sext(v23) dst_sel:DWORD dst_unused:UNUSED_PAD src0_sel:BYTE_1
	s_waitcnt vmcnt(1)
	v_pk_fma_f32 v[18:19], v[30:31], v[78:79], v[18:19] op_sel_hi:[1,0,1]
	v_pk_fma_f32 v[20:21], v[38:39], v[78:79], v[20:21] op_sel_hi:[1,0,1]
	v_cvt_f32_i32_sdwa v88, sext(v23) dst_sel:DWORD dst_unused:UNUSED_PAD src0_sel:BYTE_2
	s_waitcnt vmcnt(0)
	v_pk_fma_f32 v[18:19], v[32:33], v[80:81], v[18:19] op_sel_hi:[1,0,1]
	v_pk_fma_f32 v[0:1], v[0:1], v[80:81], v[20:21] op_sel_hi:[1,0,1]
	v_cvt_f32_i32_sdwa v90, sext(v23) dst_sel:DWORD dst_unused:UNUSED_PAD src0_sel:BYTE_3
	v_pk_fma_f32 v[18:19], v[34:35], v[82:83], v[18:19] op_sel_hi:[1,0,1]
	v_pk_fma_f32 v[0:1], v[40:41], v[82:83], v[0:1] op_sel_hi:[1,0,1]
	v_cvt_f32_i32_sdwa v28, sext(v79) dst_sel:DWORD dst_unused:UNUSED_PAD src0_sel:BYTE_0
	v_pk_fma_f32 v[2:3], v[2:3], v[84:85], v[18:19] op_sel_hi:[1,0,1]
	v_pk_fma_f32 v[0:1], v[48:49], v[84:85], v[0:1] op_sel_hi:[1,0,1]
	v_cvt_f32_i32_sdwa v26, sext(v79) dst_sel:DWORD dst_unused:UNUSED_PAD src0_sel:BYTE_1
	v_pk_fma_f32 v[2:3], v[42:43], v[86:87], v[2:3] op_sel_hi:[1,0,1]
	v_pk_fma_f32 v[0:1], v[50:51], v[86:87], v[0:1] op_sel_hi:[1,0,1]
	v_cvt_f32_i32_sdwa v36, sext(v79) dst_sel:DWORD dst_unused:UNUSED_PAD src0_sel:BYTE_2
	v_pk_fma_f32 v[2:3], v[44:45], v[88:89], v[2:3] op_sel_hi:[1,0,1]
	v_pk_fma_f32 v[0:1], v[4:5], v[88:89], v[0:1] op_sel_hi:[1,0,1]
	v_cvt_f32_i32_sdwa v92, sext(v79) dst_sel:DWORD dst_unused:UNUSED_PAD src0_sel:BYTE_3
	v_pk_fma_f32 v[2:3], v[46:47], v[90:91], v[2:3] op_sel_hi:[1,0,1]
	v_pk_fma_f32 v[0:1], v[52:53], v[90:91], v[0:1] op_sel_hi:[1,0,1]
	v_cvt_f32_i32_sdwa v30, sext(v81) dst_sel:DWORD dst_unused:UNUSED_PAD src0_sel:BYTE_0
	v_pk_fma_f32 v[2:3], v[6:7], v[28:29], v[2:3] op_sel_hi:[1,0,1]
	v_pk_fma_f32 v[0:1], v[60:61], v[28:29], v[0:1] op_sel_hi:[1,0,1]
	v_cvt_f32_i32_sdwa v38, sext(v81) dst_sel:DWORD dst_unused:UNUSED_PAD src0_sel:BYTE_1
	v_pk_fma_f32 v[2:3], v[54:55], v[26:27], v[2:3] op_sel_hi:[1,0,1]
	v_pk_fma_f32 v[0:1], v[62:63], v[26:27], v[0:1] op_sel_hi:[1,0,1]
	v_cvt_f32_i32_sdwa v78, sext(v81) dst_sel:DWORD dst_unused:UNUSED_PAD src0_sel:BYTE_2
	v_pk_fma_f32 v[2:3], v[56:57], v[36:37], v[2:3] op_sel_hi:[1,0,1]
	v_pk_fma_f32 v[0:1], v[8:9], v[36:37], v[0:1] op_sel_hi:[1,0,1]
	v_cvt_f32_i32_sdwa v32, sext(v81) dst_sel:DWORD dst_unused:UNUSED_PAD src0_sel:BYTE_3
	v_pk_fma_f32 v[2:3], v[58:59], v[92:93], v[2:3] op_sel_hi:[1,0,1]
	v_pk_fma_f32 v[0:1], v[64:65], v[92:93], v[0:1] op_sel_hi:[1,0,1]
	;; [unrolled: 1-line block ×10, first 2 shown]
	s_andn2_b64 exec, exec, s[10:11]
	s_cbranch_execnz .LBB75_33
; %bb.34:
	s_or_b64 exec, exec, s[10:11]
.LBB75_35:
	s_or_b64 exec, exec, s[2:3]
.LBB75_36:
	s_or_b64 exec, exec, s[6:7]
.LBB75_37:
	v_mov_b32_dpp v0, v18 row_shr:1 row_mask:0xf bank_mask:0xf
	v_mov_b32_dpp v1, v19 row_shr:1 row_mask:0xf bank_mask:0xf
	;; [unrolled: 1-line block ×4, first 2 shown]
	v_pk_add_f32 v[0:1], v[18:19], v[0:1]
	v_pk_add_f32 v[4:5], v[20:21], v[4:5]
	v_cmp_eq_u32_e32 vcc, 3, v13
	v_mov_b32_dpp v2, v0 row_shr:2 row_mask:0xf bank_mask:0xf
	v_mov_b32_dpp v3, v1 row_shr:2 row_mask:0xf bank_mask:0xf
	;; [unrolled: 1-line block ×4, first 2 shown]
	s_and_b64 exec, exec, vcc
	s_cbranch_execz .LBB75_10
; %bb.38:
	s_load_dwordx2 s[0:1], s[0:1], 0x50
	v_cmp_eq_f32_e64 s[2:3], s14, 0
	v_pk_add_f32 v[2:3], v[0:1], v[2:3]
	v_pk_add_f32 v[0:1], v[4:5], v[6:7]
	s_and_b64 vcc, exec, s[2:3]
	v_lshlrev_b32_e32 v4, 2, v12
	s_cbranch_vccz .LBB75_40
; %bb.39:
	v_ashrrev_i32_e32 v5, 31, v4
	s_waitcnt lgkmcnt(0)
	v_lshl_add_u64 v[10:11], v[4:5], 2, s[0:1]
	v_pk_mul_f32 v[6:7], s[12:13], v[2:3] op_sel_hi:[0,1]
	v_pk_mul_f32 v[8:9], s[12:13], v[0:1] op_sel_hi:[0,1]
	global_store_dwordx4 v[10:11], v[6:9], off
	s_cbranch_execnz .LBB75_10
	s_branch .LBB75_41
.LBB75_40:
.LBB75_41:
	v_ashrrev_i32_e32 v5, 31, v4
	s_waitcnt lgkmcnt(0)
	v_lshl_add_u64 v[8:9], v[4:5], 2, s[0:1]
	global_load_dwordx4 v[4:7], v[8:9], off
	v_pk_mul_f32 v[2:3], s[12:13], v[2:3] op_sel_hi:[0,1]
	v_pk_mul_f32 v[10:11], s[12:13], v[0:1] op_sel_hi:[0,1]
	s_waitcnt vmcnt(0)
	v_pk_fma_f32 v[0:1], s[14:15], v[4:5], v[2:3] op_sel_hi:[0,1,1]
	v_pk_fma_f32 v[2:3], s[14:15], v[6:7], v[10:11] op_sel_hi:[0,1,1]
	global_store_dwordx4 v[8:9], v[0:3], off
	s_endpgm
	.section	.rodata,"a",@progbits
	.p2align	6, 0x0
	.amdhsa_kernel _ZN9rocsparseL18bsrxmvn_4x4_kernelILj128ELj4EfiiaafEEvT3_20rocsparse_direction_NS_24const_host_device_scalarIT1_EES1_PKS1_PKT2_SA_S7_PKT4_PKT5_S5_PT6_21rocsparse_index_base_b
		.amdhsa_group_segment_fixed_size 0
		.amdhsa_private_segment_fixed_size 0
		.amdhsa_kernarg_size 96
		.amdhsa_user_sgpr_count 2
		.amdhsa_user_sgpr_dispatch_ptr 0
		.amdhsa_user_sgpr_queue_ptr 0
		.amdhsa_user_sgpr_kernarg_segment_ptr 1
		.amdhsa_user_sgpr_dispatch_id 0
		.amdhsa_user_sgpr_kernarg_preload_length 0
		.amdhsa_user_sgpr_kernarg_preload_offset 0
		.amdhsa_user_sgpr_private_segment_size 0
		.amdhsa_uses_dynamic_stack 0
		.amdhsa_enable_private_segment 0
		.amdhsa_system_sgpr_workgroup_id_x 1
		.amdhsa_system_sgpr_workgroup_id_y 0
		.amdhsa_system_sgpr_workgroup_id_z 0
		.amdhsa_system_sgpr_workgroup_info 0
		.amdhsa_system_vgpr_workitem_id 0
		.amdhsa_next_free_vgpr 100
		.amdhsa_next_free_sgpr 22
		.amdhsa_accum_offset 100
		.amdhsa_reserve_vcc 1
		.amdhsa_float_round_mode_32 0
		.amdhsa_float_round_mode_16_64 0
		.amdhsa_float_denorm_mode_32 3
		.amdhsa_float_denorm_mode_16_64 3
		.amdhsa_dx10_clamp 1
		.amdhsa_ieee_mode 1
		.amdhsa_fp16_overflow 0
		.amdhsa_tg_split 0
		.amdhsa_exception_fp_ieee_invalid_op 0
		.amdhsa_exception_fp_denorm_src 0
		.amdhsa_exception_fp_ieee_div_zero 0
		.amdhsa_exception_fp_ieee_overflow 0
		.amdhsa_exception_fp_ieee_underflow 0
		.amdhsa_exception_fp_ieee_inexact 0
		.amdhsa_exception_int_div_zero 0
	.end_amdhsa_kernel
	.section	.text._ZN9rocsparseL18bsrxmvn_4x4_kernelILj128ELj4EfiiaafEEvT3_20rocsparse_direction_NS_24const_host_device_scalarIT1_EES1_PKS1_PKT2_SA_S7_PKT4_PKT5_S5_PT6_21rocsparse_index_base_b,"axG",@progbits,_ZN9rocsparseL18bsrxmvn_4x4_kernelILj128ELj4EfiiaafEEvT3_20rocsparse_direction_NS_24const_host_device_scalarIT1_EES1_PKS1_PKT2_SA_S7_PKT4_PKT5_S5_PT6_21rocsparse_index_base_b,comdat
.Lfunc_end75:
	.size	_ZN9rocsparseL18bsrxmvn_4x4_kernelILj128ELj4EfiiaafEEvT3_20rocsparse_direction_NS_24const_host_device_scalarIT1_EES1_PKS1_PKT2_SA_S7_PKT4_PKT5_S5_PT6_21rocsparse_index_base_b, .Lfunc_end75-_ZN9rocsparseL18bsrxmvn_4x4_kernelILj128ELj4EfiiaafEEvT3_20rocsparse_direction_NS_24const_host_device_scalarIT1_EES1_PKS1_PKT2_SA_S7_PKT4_PKT5_S5_PT6_21rocsparse_index_base_b
                                        ; -- End function
	.set _ZN9rocsparseL18bsrxmvn_4x4_kernelILj128ELj4EfiiaafEEvT3_20rocsparse_direction_NS_24const_host_device_scalarIT1_EES1_PKS1_PKT2_SA_S7_PKT4_PKT5_S5_PT6_21rocsparse_index_base_b.num_vgpr, 100
	.set _ZN9rocsparseL18bsrxmvn_4x4_kernelILj128ELj4EfiiaafEEvT3_20rocsparse_direction_NS_24const_host_device_scalarIT1_EES1_PKS1_PKT2_SA_S7_PKT4_PKT5_S5_PT6_21rocsparse_index_base_b.num_agpr, 0
	.set _ZN9rocsparseL18bsrxmvn_4x4_kernelILj128ELj4EfiiaafEEvT3_20rocsparse_direction_NS_24const_host_device_scalarIT1_EES1_PKS1_PKT2_SA_S7_PKT4_PKT5_S5_PT6_21rocsparse_index_base_b.numbered_sgpr, 22
	.set _ZN9rocsparseL18bsrxmvn_4x4_kernelILj128ELj4EfiiaafEEvT3_20rocsparse_direction_NS_24const_host_device_scalarIT1_EES1_PKS1_PKT2_SA_S7_PKT4_PKT5_S5_PT6_21rocsparse_index_base_b.num_named_barrier, 0
	.set _ZN9rocsparseL18bsrxmvn_4x4_kernelILj128ELj4EfiiaafEEvT3_20rocsparse_direction_NS_24const_host_device_scalarIT1_EES1_PKS1_PKT2_SA_S7_PKT4_PKT5_S5_PT6_21rocsparse_index_base_b.private_seg_size, 0
	.set _ZN9rocsparseL18bsrxmvn_4x4_kernelILj128ELj4EfiiaafEEvT3_20rocsparse_direction_NS_24const_host_device_scalarIT1_EES1_PKS1_PKT2_SA_S7_PKT4_PKT5_S5_PT6_21rocsparse_index_base_b.uses_vcc, 1
	.set _ZN9rocsparseL18bsrxmvn_4x4_kernelILj128ELj4EfiiaafEEvT3_20rocsparse_direction_NS_24const_host_device_scalarIT1_EES1_PKS1_PKT2_SA_S7_PKT4_PKT5_S5_PT6_21rocsparse_index_base_b.uses_flat_scratch, 0
	.set _ZN9rocsparseL18bsrxmvn_4x4_kernelILj128ELj4EfiiaafEEvT3_20rocsparse_direction_NS_24const_host_device_scalarIT1_EES1_PKS1_PKT2_SA_S7_PKT4_PKT5_S5_PT6_21rocsparse_index_base_b.has_dyn_sized_stack, 0
	.set _ZN9rocsparseL18bsrxmvn_4x4_kernelILj128ELj4EfiiaafEEvT3_20rocsparse_direction_NS_24const_host_device_scalarIT1_EES1_PKS1_PKT2_SA_S7_PKT4_PKT5_S5_PT6_21rocsparse_index_base_b.has_recursion, 0
	.set _ZN9rocsparseL18bsrxmvn_4x4_kernelILj128ELj4EfiiaafEEvT3_20rocsparse_direction_NS_24const_host_device_scalarIT1_EES1_PKS1_PKT2_SA_S7_PKT4_PKT5_S5_PT6_21rocsparse_index_base_b.has_indirect_call, 0
	.section	.AMDGPU.csdata,"",@progbits
; Kernel info:
; codeLenInByte = 3948
; TotalNumSgprs: 28
; NumVgprs: 100
; NumAgprs: 0
; TotalNumVgprs: 100
; ScratchSize: 0
; MemoryBound: 0
; FloatMode: 240
; IeeeMode: 1
; LDSByteSize: 0 bytes/workgroup (compile time only)
; SGPRBlocks: 3
; VGPRBlocks: 12
; NumSGPRsForWavesPerEU: 28
; NumVGPRsForWavesPerEU: 100
; AccumOffset: 100
; Occupancy: 4
; WaveLimiterHint : 1
; COMPUTE_PGM_RSRC2:SCRATCH_EN: 0
; COMPUTE_PGM_RSRC2:USER_SGPR: 2
; COMPUTE_PGM_RSRC2:TRAP_HANDLER: 0
; COMPUTE_PGM_RSRC2:TGID_X_EN: 1
; COMPUTE_PGM_RSRC2:TGID_Y_EN: 0
; COMPUTE_PGM_RSRC2:TGID_Z_EN: 0
; COMPUTE_PGM_RSRC2:TIDIG_COMP_CNT: 0
; COMPUTE_PGM_RSRC3_GFX90A:ACCUM_OFFSET: 24
; COMPUTE_PGM_RSRC3_GFX90A:TG_SPLIT: 0
	.section	.text._ZN9rocsparseL18bsrxmvn_4x4_kernelILj128ELj8EfiiaafEEvT3_20rocsparse_direction_NS_24const_host_device_scalarIT1_EES1_PKS1_PKT2_SA_S7_PKT4_PKT5_S5_PT6_21rocsparse_index_base_b,"axG",@progbits,_ZN9rocsparseL18bsrxmvn_4x4_kernelILj128ELj8EfiiaafEEvT3_20rocsparse_direction_NS_24const_host_device_scalarIT1_EES1_PKS1_PKT2_SA_S7_PKT4_PKT5_S5_PT6_21rocsparse_index_base_b,comdat
	.globl	_ZN9rocsparseL18bsrxmvn_4x4_kernelILj128ELj8EfiiaafEEvT3_20rocsparse_direction_NS_24const_host_device_scalarIT1_EES1_PKS1_PKT2_SA_S7_PKT4_PKT5_S5_PT6_21rocsparse_index_base_b ; -- Begin function _ZN9rocsparseL18bsrxmvn_4x4_kernelILj128ELj8EfiiaafEEvT3_20rocsparse_direction_NS_24const_host_device_scalarIT1_EES1_PKS1_PKT2_SA_S7_PKT4_PKT5_S5_PT6_21rocsparse_index_base_b
	.p2align	8
	.type	_ZN9rocsparseL18bsrxmvn_4x4_kernelILj128ELj8EfiiaafEEvT3_20rocsparse_direction_NS_24const_host_device_scalarIT1_EES1_PKS1_PKT2_SA_S7_PKT4_PKT5_S5_PT6_21rocsparse_index_base_b,@function
_ZN9rocsparseL18bsrxmvn_4x4_kernelILj128ELj8EfiiaafEEvT3_20rocsparse_direction_NS_24const_host_device_scalarIT1_EES1_PKS1_PKT2_SA_S7_PKT4_PKT5_S5_PT6_21rocsparse_index_base_b: ; @_ZN9rocsparseL18bsrxmvn_4x4_kernelILj128ELj8EfiiaafEEvT3_20rocsparse_direction_NS_24const_host_device_scalarIT1_EES1_PKS1_PKT2_SA_S7_PKT4_PKT5_S5_PT6_21rocsparse_index_base_b
; %bb.0:
	s_load_dwordx2 s[16:17], s[0:1], 0x58
	s_load_dwordx2 s[12:13], s[0:1], 0x8
	;; [unrolled: 1-line block ×3, first 2 shown]
	s_waitcnt lgkmcnt(0)
	s_bitcmp1_b32 s17, 0
	s_cselect_b64 s[6:7], -1, 0
	s_xor_b64 s[4:5], s[6:7], -1
	s_and_b64 vcc, exec, s[6:7]
	s_cbranch_vccnz .LBB76_2
; %bb.1:
	s_load_dword s12, s[12:13], 0x0
.LBB76_2:
	s_andn2_b64 vcc, exec, s[4:5]
	s_cbranch_vccnz .LBB76_4
; %bb.3:
	s_load_dword s14, s[14:15], 0x0
.LBB76_4:
	s_waitcnt lgkmcnt(0)
	v_cmp_neq_f32_e64 s[4:5], s12, 0
	v_cmp_neq_f32_e64 s[6:7], s14, 1.0
	s_or_b64 s[4:5], s[4:5], s[6:7]
	s_andn2_b64 vcc, exec, s[4:5]
	s_cbranch_vccnz .LBB76_10
; %bb.5:
	s_load_dwordx2 s[4:5], s[0:1], 0x18
	s_load_dwordx2 s[18:19], s[0:1], 0x0
	v_lshrrev_b32_e32 v1, 3, v0
	v_lshl_or_b32 v12, s2, 4, v1
	s_mov_b64 s[2:3], 0
	s_waitcnt lgkmcnt(0)
	s_cmp_lg_u64 s[4:5], 0
	s_cbranch_scc0 .LBB76_11
; %bb.6:
	s_load_dword s6, s[0:1], 0x10
                                        ; implicit-def: $vgpr1
	s_waitcnt lgkmcnt(0)
	v_cmp_gt_i32_e32 vcc, s6, v12
	s_and_saveexec_b64 s[6:7], vcc
	s_xor_b64 s[6:7], exec, s[6:7]
	s_cbranch_execz .LBB76_8
; %bb.7:
	v_ashrrev_i32_e32 v13, 31, v12
	v_lshl_add_u64 v[2:3], v[12:13], 2, s[4:5]
	global_load_dword v1, v[2:3], off
	s_mov_b64 s[2:3], exec
	s_waitcnt vmcnt(0)
	v_subrev_u32_e32 v1, s16, v1
.LBB76_8:
	s_or_b64 exec, exec, s[6:7]
	s_branch .LBB76_12
.LBB76_9:
	v_cmp_gt_i32_e32 vcc, s18, v12
	s_andn2_b64 s[2:3], s[2:3], exec
	s_and_b64 s[4:5], vcc, exec
	s_or_b64 s[2:3], s[2:3], s[4:5]
	s_and_saveexec_b64 s[4:5], s[2:3]
	s_cbranch_execnz .LBB76_13
.LBB76_10:
	s_endpgm
.LBB76_11:
                                        ; implicit-def: $vgpr1
	s_cbranch_execnz .LBB76_9
.LBB76_12:
	v_mov_b32_e32 v12, v1
	s_and_saveexec_b64 s[4:5], s[2:3]
	s_cbranch_execz .LBB76_10
.LBB76_13:
	s_load_dwordx8 s[4:11], s[0:1], 0x20
	v_ashrrev_i32_e32 v13, 31, v12
	v_lshlrev_b64 v[2:3], 2, v[12:13]
	v_and_b32_e32 v13, 7, v0
	s_waitcnt lgkmcnt(0)
	v_lshl_add_u64 v[4:5], s[4:5], 0, v[2:3]
	s_cmp_eq_u64 s[6:7], 0
	global_load_dword v8, v[4:5], off
	v_lshl_add_u64 v[4:5], v[4:5], 0, 4
	v_lshl_add_u64 v[2:3], s[6:7], 0, v[2:3]
	s_cselect_b64 vcc, -1, 0
	v_cndmask_b32_e32 v3, v3, v5, vcc
	v_cndmask_b32_e32 v2, v2, v4, vcc
	global_load_dword v1, v[2:3], off
	s_load_dwordx2 s[4:5], s[0:1], 0x40
	s_cmp_eq_u32 s19, 1
	s_waitcnt vmcnt(1)
	v_subrev_u32_e32 v0, s16, v8
	v_add_u32_e32 v14, v0, v13
	v_ashrrev_i32_e32 v15, 31, v14
	v_lshl_add_u64 v[16:17], v[14:15], 4, s[10:11]
	s_waitcnt vmcnt(0)
	v_subrev_u32_e32 v22, s16, v1
	v_cmp_lt_i32_e64 s[2:3], v14, v22
	s_cbranch_scc1 .LBB76_25
; %bb.14:
	v_mov_b32_e32 v21, 0
	v_mov_b32_e32 v20, 0
	v_mov_b32_e32 v19, 0
	v_mov_b32_e32 v18, 0
	s_and_saveexec_b64 s[6:7], s[2:3]
	s_cbranch_execz .LBB76_24
; %bb.15:
	v_add_u32_e32 v0, v8, v13
	v_subrev_u32_e32 v0, s16, v0
	v_add_u32_e32 v0, 8, v0
	v_max_i32_e32 v0, v0, v22
	v_not_b32_e32 v1, v8
	v_add3_u32 v0, s16, v0, v1
	v_sub_u32_e32 v0, v0, v13
	v_mov_b32_e32 v18, 0
	v_and_b32_e32 v1, 24, v0
	v_mov_b32_e32 v19, v18
	v_cmp_ne_u32_e32 vcc, 24, v1
	v_mov_b64_e32 v[20:21], v[18:19]
	v_mov_b32_e32 v4, v14
	v_mov_b64_e32 v[6:7], v[16:17]
	s_and_saveexec_b64 s[10:11], vcc
	s_cbranch_execz .LBB76_19
; %bb.16:
	v_lshrrev_b32_e32 v1, 3, v0
	v_add_u32_e32 v1, 1, v1
	v_and_b32_e32 v1, 3, v1
	v_sub_u32_e32 v1, 0, v1
	s_mov_b64 s[18:19], 0
	s_mov_b64 s[20:21], 0x80
	v_mov_b64_e32 v[6:7], v[16:17]
	v_mov_b32_e32 v4, v14
	v_mov_b32_e32 v19, v18
	;; [unrolled: 1-line block ×4, first 2 shown]
.LBB76_17:                              ; =>This Inner Loop Header: Depth=1
	v_ashrrev_i32_e32 v5, 31, v4
	v_lshl_add_u64 v[2:3], v[4:5], 2, s[8:9]
	global_load_dword v5, v[2:3], off
	global_load_dwordx4 v[24:27], v[6:7], off
	v_add_co_u32_e32 v1, vcc, 1, v1
	v_lshl_add_u64 v[6:7], v[6:7], 0, s[20:21]
	v_add_u32_e32 v4, 8, v4
	s_or_b64 s[18:19], vcc, s[18:19]
	s_waitcnt vmcnt(1)
	v_subrev_u32_e32 v2, s16, v5
	v_lshlrev_b32_e32 v2, 2, v2
	v_ashrrev_i32_e32 v3, 31, v2
	s_waitcnt lgkmcnt(0)
	v_lshl_add_u64 v[2:3], s[4:5], 0, v[2:3]
	global_load_dword v5, v[2:3], off
	s_waitcnt vmcnt(1)
	v_cvt_f32_i32_sdwa v3, sext(v25) dst_sel:DWORD dst_unused:UNUSED_PAD src0_sel:BYTE_0
	v_cvt_f32_i32_sdwa v2, sext(v24) dst_sel:DWORD dst_unused:UNUSED_PAD src0_sel:BYTE_0
	;; [unrolled: 1-line block ×4, first 2 shown]
	v_cvt_f32_i32_sdwa v11, sext(v25) dst_sel:DWORD dst_unused:UNUSED_PAD src0_sel:BYTE_1
	v_cvt_f32_i32_sdwa v10, sext(v24) dst_sel:DWORD dst_unused:UNUSED_PAD src0_sel:BYTE_1
	v_cvt_f32_i32_sdwa v33, sext(v27) dst_sel:DWORD dst_unused:UNUSED_PAD src0_sel:BYTE_1
	v_cvt_f32_i32_sdwa v32, sext(v26) dst_sel:DWORD dst_unused:UNUSED_PAD src0_sel:BYTE_1
	v_cvt_f32_i32_sdwa v29, sext(v25) dst_sel:DWORD dst_unused:UNUSED_PAD src0_sel:BYTE_2
	v_cvt_f32_i32_sdwa v28, sext(v24) dst_sel:DWORD dst_unused:UNUSED_PAD src0_sel:BYTE_2
	;; [unrolled: 1-line block ×4, first 2 shown]
	v_cvt_f32_i32_sdwa v25, sext(v25) dst_sel:DWORD dst_unused:UNUSED_PAD src0_sel:BYTE_3
	v_cvt_f32_i32_sdwa v24, sext(v24) dst_sel:DWORD dst_unused:UNUSED_PAD src0_sel:BYTE_3
	v_cvt_f32_i32_sdwa v27, sext(v27) dst_sel:DWORD dst_unused:UNUSED_PAD src0_sel:BYTE_3
	v_cvt_f32_i32_sdwa v26, sext(v26) dst_sel:DWORD dst_unused:UNUSED_PAD src0_sel:BYTE_3
	s_waitcnt vmcnt(0)
	v_cvt_f32_i32_sdwa v36, sext(v5) dst_sel:DWORD dst_unused:UNUSED_PAD src0_sel:BYTE_0
	v_cvt_f32_i32_sdwa v38, sext(v5) dst_sel:DWORD dst_unused:UNUSED_PAD src0_sel:BYTE_1
	v_cvt_f32_i32_sdwa v40, sext(v5) dst_sel:DWORD dst_unused:UNUSED_PAD src0_sel:BYTE_2
	v_cvt_f32_i32_sdwa v42, sext(v5) dst_sel:DWORD dst_unused:UNUSED_PAD src0_sel:BYTE_3
	v_pk_fma_f32 v[2:3], v[2:3], v[36:37], v[18:19] op_sel_hi:[1,0,1]
	v_pk_fma_f32 v[18:19], v[30:31], v[36:37], v[20:21] op_sel_hi:[1,0,1]
	;; [unrolled: 1-line block ×8, first 2 shown]
	s_andn2_b64 exec, exec, s[18:19]
	s_cbranch_execnz .LBB76_17
; %bb.18:
	s_or_b64 exec, exec, s[18:19]
.LBB76_19:
	s_or_b64 exec, exec, s[10:11]
	v_cmp_lt_u32_e32 vcc, 23, v0
	s_and_saveexec_b64 s[10:11], vcc
	s_cbranch_execz .LBB76_23
; %bb.20:
	s_mov_b64 s[18:19], 0
	s_mov_b64 s[20:21], 0x200
.LBB76_21:                              ; =>This Inner Loop Header: Depth=1
	v_ashrrev_i32_e32 v5, 31, v4
	v_lshl_add_u64 v[10:11], v[4:5], 2, s[8:9]
	global_load_dwordx4 v[24:27], v[6:7], off
	global_load_dwordx4 v[0:3], v[6:7], off offset:128
	global_load_dwordx4 v[28:31], v[6:7], off offset:256
	global_load_dwordx4 v[32:35], v[6:7], off offset:384
	global_load_dword v5, v[10:11], off
	global_load_dword v9, v[10:11], off offset:32
	global_load_dword v15, v[10:11], off offset:64
	;; [unrolled: 1-line block ×3, first 2 shown]
	v_add_u32_e32 v4, 32, v4
	v_cmp_ge_i32_e32 vcc, v4, v22
	v_lshl_add_u64 v[6:7], v[6:7], 0, s[20:21]
	s_or_b64 s[18:19], vcc, s[18:19]
	s_waitcnt vmcnt(3)
	v_subrev_u32_e32 v5, s16, v5
	s_waitcnt vmcnt(2)
	v_subrev_u32_e32 v9, s16, v9
	;; [unrolled: 2-line block ×4, first 2 shown]
	v_lshlrev_b32_e32 v54, 2, v5
	v_lshlrev_b32_e32 v56, 2, v9
	;; [unrolled: 1-line block ×4, first 2 shown]
	v_ashrrev_i32_e32 v55, 31, v54
	v_ashrrev_i32_e32 v57, 31, v56
	;; [unrolled: 1-line block ×4, first 2 shown]
	s_waitcnt lgkmcnt(0)
	v_lshl_add_u64 v[54:55], s[4:5], 0, v[54:55]
	v_lshl_add_u64 v[56:57], s[4:5], 0, v[56:57]
	;; [unrolled: 1-line block ×4, first 2 shown]
	global_load_dword v5, v[54:55], off
	global_load_dword v9, v[56:57], off
	;; [unrolled: 1-line block ×4, first 2 shown]
	v_cvt_f32_i32_sdwa v11, sext(v25) dst_sel:DWORD dst_unused:UNUSED_PAD src0_sel:BYTE_0
	v_cvt_f32_i32_sdwa v10, sext(v24) dst_sel:DWORD dst_unused:UNUSED_PAD src0_sel:BYTE_0
	v_cvt_f32_i32_sdwa v41, sext(v27) dst_sel:DWORD dst_unused:UNUSED_PAD src0_sel:BYTE_0
	v_cvt_f32_i32_sdwa v40, sext(v26) dst_sel:DWORD dst_unused:UNUSED_PAD src0_sel:BYTE_0
	v_cvt_f32_i32_sdwa v37, sext(v25) dst_sel:DWORD dst_unused:UNUSED_PAD src0_sel:BYTE_1
	v_cvt_f32_i32_sdwa v36, sext(v24) dst_sel:DWORD dst_unused:UNUSED_PAD src0_sel:BYTE_1
	v_cvt_f32_i32_sdwa v43, sext(v27) dst_sel:DWORD dst_unused:UNUSED_PAD src0_sel:BYTE_1
	v_cvt_f32_i32_sdwa v42, sext(v26) dst_sel:DWORD dst_unused:UNUSED_PAD src0_sel:BYTE_1
	v_cvt_f32_i32_sdwa v39, sext(v25) dst_sel:DWORD dst_unused:UNUSED_PAD src0_sel:BYTE_2
	v_cvt_f32_i32_sdwa v38, sext(v24) dst_sel:DWORD dst_unused:UNUSED_PAD src0_sel:BYTE_2
	v_cvt_f32_i32_sdwa v45, sext(v27) dst_sel:DWORD dst_unused:UNUSED_PAD src0_sel:BYTE_2
	v_cvt_f32_i32_sdwa v44, sext(v26) dst_sel:DWORD dst_unused:UNUSED_PAD src0_sel:BYTE_2
	v_cvt_f32_i32_sdwa v25, sext(v25) dst_sel:DWORD dst_unused:UNUSED_PAD src0_sel:BYTE_3
	v_cvt_f32_i32_sdwa v24, sext(v24) dst_sel:DWORD dst_unused:UNUSED_PAD src0_sel:BYTE_3
	v_cvt_f32_i32_sdwa v27, sext(v27) dst_sel:DWORD dst_unused:UNUSED_PAD src0_sel:BYTE_3
	v_cvt_f32_i32_sdwa v26, sext(v26) dst_sel:DWORD dst_unused:UNUSED_PAD src0_sel:BYTE_3
	v_cvt_f32_i32_sdwa v47, sext(v1) dst_sel:DWORD dst_unused:UNUSED_PAD src0_sel:BYTE_0
	v_cvt_f32_i32_sdwa v46, sext(v0) dst_sel:DWORD dst_unused:UNUSED_PAD src0_sel:BYTE_0
	v_cvt_f32_i32_sdwa v53, sext(v3) dst_sel:DWORD dst_unused:UNUSED_PAD src0_sel:BYTE_0
	v_cvt_f32_i32_sdwa v52, sext(v2) dst_sel:DWORD dst_unused:UNUSED_PAD src0_sel:BYTE_0
	v_cvt_f32_i32_sdwa v49, sext(v1) dst_sel:DWORD dst_unused:UNUSED_PAD src0_sel:BYTE_1
	v_cvt_f32_i32_sdwa v48, sext(v0) dst_sel:DWORD dst_unused:UNUSED_PAD src0_sel:BYTE_1
	v_cvt_f32_i32_sdwa v55, sext(v3) dst_sel:DWORD dst_unused:UNUSED_PAD src0_sel:BYTE_1
	v_cvt_f32_i32_sdwa v54, sext(v2) dst_sel:DWORD dst_unused:UNUSED_PAD src0_sel:BYTE_1
	v_cvt_f32_i32_sdwa v51, sext(v1) dst_sel:DWORD dst_unused:UNUSED_PAD src0_sel:BYTE_2
	v_cvt_f32_i32_sdwa v50, sext(v0) dst_sel:DWORD dst_unused:UNUSED_PAD src0_sel:BYTE_2
	v_cvt_f32_i32_sdwa v57, sext(v3) dst_sel:DWORD dst_unused:UNUSED_PAD src0_sel:BYTE_2
	v_cvt_f32_i32_sdwa v56, sext(v2) dst_sel:DWORD dst_unused:UNUSED_PAD src0_sel:BYTE_2
	v_cvt_f32_i32_sdwa v1, sext(v1) dst_sel:DWORD dst_unused:UNUSED_PAD src0_sel:BYTE_3
	v_cvt_f32_i32_sdwa v0, sext(v0) dst_sel:DWORD dst_unused:UNUSED_PAD src0_sel:BYTE_3
	v_cvt_f32_i32_sdwa v3, sext(v3) dst_sel:DWORD dst_unused:UNUSED_PAD src0_sel:BYTE_3
	v_cvt_f32_i32_sdwa v2, sext(v2) dst_sel:DWORD dst_unused:UNUSED_PAD src0_sel:BYTE_3
	;; [unrolled: 16-line block ×4, first 2 shown]
	s_waitcnt vmcnt(3)
	v_cvt_f32_i32_sdwa v82, sext(v5) dst_sel:DWORD dst_unused:UNUSED_PAD src0_sel:BYTE_0
	v_cvt_f32_i32_sdwa v84, sext(v5) dst_sel:DWORD dst_unused:UNUSED_PAD src0_sel:BYTE_1
	v_cvt_f32_i32_sdwa v86, sext(v5) dst_sel:DWORD dst_unused:UNUSED_PAD src0_sel:BYTE_2
	v_cvt_f32_i32_sdwa v88, sext(v5) dst_sel:DWORD dst_unused:UNUSED_PAD src0_sel:BYTE_3
	s_waitcnt vmcnt(2)
	v_cvt_f32_i32_sdwa v90, sext(v9) dst_sel:DWORD dst_unused:UNUSED_PAD src0_sel:BYTE_0
	v_pk_fma_f32 v[10:11], v[10:11], v[82:83], v[18:19] op_sel_hi:[1,0,1]
	v_pk_fma_f32 v[20:21], v[40:41], v[82:83], v[20:21] op_sel_hi:[1,0,1]
	v_cvt_f32_i32_sdwa v92, sext(v9) dst_sel:DWORD dst_unused:UNUSED_PAD src0_sel:BYTE_1
	v_pk_fma_f32 v[10:11], v[36:37], v[84:85], v[10:11] op_sel_hi:[1,0,1]
	v_pk_fma_f32 v[20:21], v[42:43], v[84:85], v[20:21] op_sel_hi:[1,0,1]
	v_cvt_f32_i32_sdwa v94, sext(v9) dst_sel:DWORD dst_unused:UNUSED_PAD src0_sel:BYTE_2
	v_pk_fma_f32 v[10:11], v[38:39], v[86:87], v[10:11] op_sel_hi:[1,0,1]
	v_pk_fma_f32 v[20:21], v[44:45], v[86:87], v[20:21] op_sel_hi:[1,0,1]
	v_cvt_f32_i32_sdwa v96, sext(v9) dst_sel:DWORD dst_unused:UNUSED_PAD src0_sel:BYTE_3
	v_pk_fma_f32 v[10:11], v[24:25], v[88:89], v[10:11] op_sel_hi:[1,0,1]
	v_pk_fma_f32 v[20:21], v[26:27], v[88:89], v[20:21] op_sel_hi:[1,0,1]
	s_waitcnt vmcnt(1)
	v_cvt_f32_i32_sdwa v18, sext(v15) dst_sel:DWORD dst_unused:UNUSED_PAD src0_sel:BYTE_0
	v_pk_fma_f32 v[10:11], v[46:47], v[90:91], v[10:11] op_sel_hi:[1,0,1]
	v_pk_fma_f32 v[20:21], v[52:53], v[90:91], v[20:21] op_sel_hi:[1,0,1]
	v_cvt_f32_i32_sdwa v40, sext(v15) dst_sel:DWORD dst_unused:UNUSED_PAD src0_sel:BYTE_1
	v_pk_fma_f32 v[10:11], v[48:49], v[92:93], v[10:11] op_sel_hi:[1,0,1]
	v_pk_fma_f32 v[20:21], v[54:55], v[92:93], v[20:21] op_sel_hi:[1,0,1]
	v_cvt_f32_i32_sdwa v82, sext(v15) dst_sel:DWORD dst_unused:UNUSED_PAD src0_sel:BYTE_2
	v_pk_fma_f32 v[10:11], v[50:51], v[94:95], v[10:11] op_sel_hi:[1,0,1]
	v_pk_fma_f32 v[20:21], v[56:57], v[94:95], v[20:21] op_sel_hi:[1,0,1]
	v_cvt_f32_i32_sdwa v98, sext(v15) dst_sel:DWORD dst_unused:UNUSED_PAD src0_sel:BYTE_3
	v_pk_fma_f32 v[0:1], v[0:1], v[96:97], v[10:11] op_sel_hi:[1,0,1]
	v_pk_fma_f32 v[2:3], v[2:3], v[96:97], v[20:21] op_sel_hi:[1,0,1]
	;; [unrolled: 13-line block ×3, first 2 shown]
	v_pk_fma_f32 v[0:1], v[70:71], v[36:37], v[0:1] op_sel_hi:[1,0,1]
	v_pk_fma_f32 v[2:3], v[76:77], v[36:37], v[2:3] op_sel_hi:[1,0,1]
	;; [unrolled: 1-line block ×8, first 2 shown]
	s_andn2_b64 exec, exec, s[18:19]
	s_cbranch_execnz .LBB76_21
; %bb.22:
	s_or_b64 exec, exec, s[18:19]
.LBB76_23:
	s_or_b64 exec, exec, s[10:11]
.LBB76_24:
	s_or_b64 exec, exec, s[6:7]
	s_cbranch_execz .LBB76_26
	s_branch .LBB76_37
.LBB76_25:
                                        ; implicit-def: $vgpr21
                                        ; implicit-def: $vgpr19
.LBB76_26:
	v_mov_b32_e32 v21, 0
	v_mov_b32_e32 v20, 0
	;; [unrolled: 1-line block ×4, first 2 shown]
	s_and_saveexec_b64 s[6:7], s[2:3]
	s_cbranch_execz .LBB76_36
; %bb.27:
	v_add_u32_e32 v0, v8, v13
	v_subrev_u32_e32 v0, s16, v0
	v_add_u32_e32 v0, 8, v0
	v_max_i32_e32 v0, v0, v22
	v_not_b32_e32 v1, v8
	v_add3_u32 v0, s16, v0, v1
	v_sub_u32_e32 v0, v0, v13
	v_mov_b32_e32 v18, 0
	v_and_b32_e32 v1, 24, v0
	v_mov_b32_e32 v19, v18
	v_cmp_ne_u32_e32 vcc, 24, v1
	v_mov_b64_e32 v[20:21], v[18:19]
	s_and_saveexec_b64 s[2:3], vcc
	s_cbranch_execz .LBB76_31
; %bb.28:
	v_lshrrev_b32_e32 v1, 3, v0
	v_add_u32_e32 v1, 1, v1
	v_and_b32_e32 v1, 3, v1
	v_sub_u32_e32 v1, 0, v1
	s_mov_b64 s[10:11], 0
	s_mov_b64 s[18:19], 0x80
	v_mov_b32_e32 v19, v18
	v_mov_b32_e32 v20, v18
	;; [unrolled: 1-line block ×3, first 2 shown]
.LBB76_29:                              ; =>This Inner Loop Header: Depth=1
	v_ashrrev_i32_e32 v15, 31, v14
	v_lshl_add_u64 v[6:7], v[14:15], 2, s[8:9]
	global_load_dword v8, v[6:7], off
	global_load_dwordx4 v[2:5], v[16:17], off
	v_add_co_u32_e32 v1, vcc, 1, v1
	v_lshl_add_u64 v[16:17], v[16:17], 0, s[18:19]
	v_add_u32_e32 v14, 8, v14
	s_or_b64 s[10:11], vcc, s[10:11]
	s_waitcnt vmcnt(1)
	v_subrev_u32_e32 v6, s16, v8
	v_lshlrev_b32_e32 v6, 2, v6
	v_ashrrev_i32_e32 v7, 31, v6
	s_waitcnt lgkmcnt(0)
	v_lshl_add_u64 v[6:7], s[4:5], 0, v[6:7]
	global_load_dword v15, v[6:7], off
	s_waitcnt vmcnt(1)
	v_cvt_f32_i32_sdwa v7, sext(v2) dst_sel:DWORD dst_unused:UNUSED_PAD src0_sel:BYTE_1
	v_cvt_f32_i32_sdwa v6, sext(v2) dst_sel:DWORD dst_unused:UNUSED_PAD src0_sel:BYTE_0
	v_cvt_f32_i32_sdwa v9, sext(v3) dst_sel:DWORD dst_unused:UNUSED_PAD src0_sel:BYTE_1
	v_cvt_f32_i32_sdwa v8, sext(v3) dst_sel:DWORD dst_unused:UNUSED_PAD src0_sel:BYTE_0
	;; [unrolled: 2-line block ×3, first 2 shown]
	v_cvt_f32_i32_sdwa v27, sext(v2) dst_sel:DWORD dst_unused:UNUSED_PAD src0_sel:BYTE_3
	v_cvt_f32_i32_sdwa v26, sext(v2) dst_sel:DWORD dst_unused:UNUSED_PAD src0_sel:BYTE_2
	v_cvt_f32_i32_sdwa v29, sext(v3) dst_sel:DWORD dst_unused:UNUSED_PAD src0_sel:BYTE_3
	v_cvt_f32_i32_sdwa v28, sext(v3) dst_sel:DWORD dst_unused:UNUSED_PAD src0_sel:BYTE_2
	v_cvt_f32_i32_sdwa v3, sext(v4) dst_sel:DWORD dst_unused:UNUSED_PAD src0_sel:BYTE_3
	v_cvt_f32_i32_sdwa v2, sext(v4) dst_sel:DWORD dst_unused:UNUSED_PAD src0_sel:BYTE_2
	v_cvt_f32_i32_sdwa v25, sext(v5) dst_sel:DWORD dst_unused:UNUSED_PAD src0_sel:BYTE_1
	v_cvt_f32_i32_sdwa v24, sext(v5) dst_sel:DWORD dst_unused:UNUSED_PAD src0_sel:BYTE_0
	v_cvt_f32_i32_sdwa v31, sext(v5) dst_sel:DWORD dst_unused:UNUSED_PAD src0_sel:BYTE_3
	v_cvt_f32_i32_sdwa v30, sext(v5) dst_sel:DWORD dst_unused:UNUSED_PAD src0_sel:BYTE_2
	s_waitcnt vmcnt(0)
	v_cvt_f32_i32_sdwa v4, sext(v15) dst_sel:DWORD dst_unused:UNUSED_PAD src0_sel:BYTE_0
	v_cvt_f32_i32_sdwa v32, sext(v15) dst_sel:DWORD dst_unused:UNUSED_PAD src0_sel:BYTE_1
	v_cvt_f32_i32_sdwa v34, sext(v15) dst_sel:DWORD dst_unused:UNUSED_PAD src0_sel:BYTE_2
	v_cvt_f32_i32_sdwa v36, sext(v15) dst_sel:DWORD dst_unused:UNUSED_PAD src0_sel:BYTE_3
	v_pk_fma_f32 v[6:7], v[6:7], v[4:5], v[18:19] op_sel_hi:[1,0,1]
	v_pk_fma_f32 v[4:5], v[26:27], v[4:5], v[20:21] op_sel_hi:[1,0,1]
	;; [unrolled: 1-line block ×8, first 2 shown]
	s_andn2_b64 exec, exec, s[10:11]
	s_cbranch_execnz .LBB76_29
; %bb.30:
	s_or_b64 exec, exec, s[10:11]
.LBB76_31:
	s_or_b64 exec, exec, s[2:3]
	v_cmp_lt_u32_e32 vcc, 23, v0
	s_and_saveexec_b64 s[2:3], vcc
	s_cbranch_execz .LBB76_35
; %bb.32:
	s_mov_b64 s[10:11], 0
	s_mov_b64 s[18:19], 0x200
.LBB76_33:                              ; =>This Inner Loop Header: Depth=1
	v_ashrrev_i32_e32 v15, 31, v14
	v_lshl_add_u64 v[28:29], v[14:15], 2, s[8:9]
	global_load_dwordx4 v[0:3], v[16:17], off
	global_load_dwordx4 v[4:7], v[16:17], off offset:128
	global_load_dwordx4 v[8:11], v[16:17], off offset:256
	;; [unrolled: 1-line block ×3, first 2 shown]
	global_load_dword v15, v[28:29], off
	global_load_dword v23, v[28:29], off offset:32
	global_load_dword v48, v[28:29], off offset:64
	;; [unrolled: 1-line block ×3, first 2 shown]
	v_add_u32_e32 v14, 32, v14
	v_cmp_ge_i32_e32 vcc, v14, v22
	v_lshl_add_u64 v[16:17], v[16:17], 0, s[18:19]
	s_or_b64 s[10:11], vcc, s[10:11]
	s_waitcnt vmcnt(7)
	v_cvt_f32_i32_sdwa v29, sext(v0) dst_sel:DWORD dst_unused:UNUSED_PAD src0_sel:BYTE_1
	s_waitcnt vmcnt(3)
	v_subrev_u32_e32 v15, s16, v15
	s_waitcnt vmcnt(2)
	v_subrev_u32_e32 v23, s16, v23
	;; [unrolled: 2-line block ×4, first 2 shown]
	v_lshlrev_b32_e32 v50, 2, v15
	v_lshlrev_b32_e32 v52, 2, v23
	;; [unrolled: 1-line block ×4, first 2 shown]
	v_ashrrev_i32_e32 v51, 31, v50
	v_ashrrev_i32_e32 v53, 31, v52
	;; [unrolled: 1-line block ×4, first 2 shown]
	s_waitcnt lgkmcnt(0)
	v_lshl_add_u64 v[50:51], s[4:5], 0, v[50:51]
	v_lshl_add_u64 v[52:53], s[4:5], 0, v[52:53]
	;; [unrolled: 1-line block ×4, first 2 shown]
	global_load_dword v15, v[50:51], off
	global_load_dword v23, v[52:53], off
	;; [unrolled: 1-line block ×4, first 2 shown]
	v_cvt_f32_i32_sdwa v28, sext(v0) dst_sel:DWORD dst_unused:UNUSED_PAD src0_sel:BYTE_0
	v_cvt_f32_i32_sdwa v31, sext(v1) dst_sel:DWORD dst_unused:UNUSED_PAD src0_sel:BYTE_1
	v_cvt_f32_i32_sdwa v30, sext(v1) dst_sel:DWORD dst_unused:UNUSED_PAD src0_sel:BYTE_0
	v_cvt_f32_i32_sdwa v33, sext(v2) dst_sel:DWORD dst_unused:UNUSED_PAD src0_sel:BYTE_1
	v_cvt_f32_i32_sdwa v32, sext(v2) dst_sel:DWORD dst_unused:UNUSED_PAD src0_sel:BYTE_0
	v_cvt_f32_i32_sdwa v35, sext(v3) dst_sel:DWORD dst_unused:UNUSED_PAD src0_sel:BYTE_1
	v_cvt_f32_i32_sdwa v34, sext(v3) dst_sel:DWORD dst_unused:UNUSED_PAD src0_sel:BYTE_0
	v_cvt_f32_i32_sdwa v37, sext(v0) dst_sel:DWORD dst_unused:UNUSED_PAD src0_sel:BYTE_3
	v_cvt_f32_i32_sdwa v36, sext(v0) dst_sel:DWORD dst_unused:UNUSED_PAD src0_sel:BYTE_2
	v_cvt_f32_i32_sdwa v39, sext(v1) dst_sel:DWORD dst_unused:UNUSED_PAD src0_sel:BYTE_3
	v_cvt_f32_i32_sdwa v38, sext(v1) dst_sel:DWORD dst_unused:UNUSED_PAD src0_sel:BYTE_2
	v_cvt_f32_i32_sdwa v1, sext(v2) dst_sel:DWORD dst_unused:UNUSED_PAD src0_sel:BYTE_3
	v_cvt_f32_i32_sdwa v0, sext(v2) dst_sel:DWORD dst_unused:UNUSED_PAD src0_sel:BYTE_2
	v_cvt_f32_i32_sdwa v41, sext(v3) dst_sel:DWORD dst_unused:UNUSED_PAD src0_sel:BYTE_3
	v_cvt_f32_i32_sdwa v40, sext(v3) dst_sel:DWORD dst_unused:UNUSED_PAD src0_sel:BYTE_2
	v_cvt_f32_i32_sdwa v3, sext(v4) dst_sel:DWORD dst_unused:UNUSED_PAD src0_sel:BYTE_1
	v_cvt_f32_i32_sdwa v2, sext(v4) dst_sel:DWORD dst_unused:UNUSED_PAD src0_sel:BYTE_0
	v_cvt_f32_i32_sdwa v43, sext(v5) dst_sel:DWORD dst_unused:UNUSED_PAD src0_sel:BYTE_1
	v_cvt_f32_i32_sdwa v42, sext(v5) dst_sel:DWORD dst_unused:UNUSED_PAD src0_sel:BYTE_0
	v_cvt_f32_i32_sdwa v45, sext(v6) dst_sel:DWORD dst_unused:UNUSED_PAD src0_sel:BYTE_1
	v_cvt_f32_i32_sdwa v44, sext(v6) dst_sel:DWORD dst_unused:UNUSED_PAD src0_sel:BYTE_0
	v_cvt_f32_i32_sdwa v47, sext(v7) dst_sel:DWORD dst_unused:UNUSED_PAD src0_sel:BYTE_1
	v_cvt_f32_i32_sdwa v46, sext(v7) dst_sel:DWORD dst_unused:UNUSED_PAD src0_sel:BYTE_0
	v_cvt_f32_i32_sdwa v49, sext(v4) dst_sel:DWORD dst_unused:UNUSED_PAD src0_sel:BYTE_3
	v_cvt_f32_i32_sdwa v48, sext(v4) dst_sel:DWORD dst_unused:UNUSED_PAD src0_sel:BYTE_2
	v_cvt_f32_i32_sdwa v51, sext(v5) dst_sel:DWORD dst_unused:UNUSED_PAD src0_sel:BYTE_3
	v_cvt_f32_i32_sdwa v50, sext(v5) dst_sel:DWORD dst_unused:UNUSED_PAD src0_sel:BYTE_2
	v_cvt_f32_i32_sdwa v5, sext(v6) dst_sel:DWORD dst_unused:UNUSED_PAD src0_sel:BYTE_3
	v_cvt_f32_i32_sdwa v4, sext(v6) dst_sel:DWORD dst_unused:UNUSED_PAD src0_sel:BYTE_2
	v_cvt_f32_i32_sdwa v53, sext(v7) dst_sel:DWORD dst_unused:UNUSED_PAD src0_sel:BYTE_3
	v_cvt_f32_i32_sdwa v52, sext(v7) dst_sel:DWORD dst_unused:UNUSED_PAD src0_sel:BYTE_2
	v_cvt_f32_i32_sdwa v7, sext(v8) dst_sel:DWORD dst_unused:UNUSED_PAD src0_sel:BYTE_1
	;; [unrolled: 16-line block ×3, first 2 shown]
	v_cvt_f32_i32_sdwa v10, sext(v24) dst_sel:DWORD dst_unused:UNUSED_PAD src0_sel:BYTE_0
	v_cvt_f32_i32_sdwa v67, sext(v25) dst_sel:DWORD dst_unused:UNUSED_PAD src0_sel:BYTE_1
	v_cvt_f32_i32_sdwa v66, sext(v25) dst_sel:DWORD dst_unused:UNUSED_PAD src0_sel:BYTE_0
	v_cvt_f32_i32_sdwa v69, sext(v26) dst_sel:DWORD dst_unused:UNUSED_PAD src0_sel:BYTE_1
	v_cvt_f32_i32_sdwa v68, sext(v26) dst_sel:DWORD dst_unused:UNUSED_PAD src0_sel:BYTE_0
	v_cvt_f32_i32_sdwa v73, sext(v24) dst_sel:DWORD dst_unused:UNUSED_PAD src0_sel:BYTE_3
	v_cvt_f32_i32_sdwa v72, sext(v24) dst_sel:DWORD dst_unused:UNUSED_PAD src0_sel:BYTE_2
	v_cvt_f32_i32_sdwa v75, sext(v25) dst_sel:DWORD dst_unused:UNUSED_PAD src0_sel:BYTE_3
	v_cvt_f32_i32_sdwa v74, sext(v25) dst_sel:DWORD dst_unused:UNUSED_PAD src0_sel:BYTE_2
	;; [unrolled: 2-line block ×3, first 2 shown]
	v_cvt_f32_i32_sdwa v71, sext(v27) dst_sel:DWORD dst_unused:UNUSED_PAD src0_sel:BYTE_1
	v_cvt_f32_i32_sdwa v70, sext(v27) dst_sel:DWORD dst_unused:UNUSED_PAD src0_sel:BYTE_0
	v_cvt_f32_i32_sdwa v77, sext(v27) dst_sel:DWORD dst_unused:UNUSED_PAD src0_sel:BYTE_3
	v_cvt_f32_i32_sdwa v76, sext(v27) dst_sel:DWORD dst_unused:UNUSED_PAD src0_sel:BYTE_2
	s_waitcnt vmcnt(3)
	v_cvt_f32_i32_sdwa v26, sext(v15) dst_sel:DWORD dst_unused:UNUSED_PAD src0_sel:BYTE_0
	v_cvt_f32_i32_sdwa v78, sext(v15) dst_sel:DWORD dst_unused:UNUSED_PAD src0_sel:BYTE_1
	v_cvt_f32_i32_sdwa v80, sext(v15) dst_sel:DWORD dst_unused:UNUSED_PAD src0_sel:BYTE_2
	v_cvt_f32_i32_sdwa v82, sext(v15) dst_sel:DWORD dst_unused:UNUSED_PAD src0_sel:BYTE_3
	s_waitcnt vmcnt(2)
	v_cvt_f32_i32_sdwa v84, sext(v23) dst_sel:DWORD dst_unused:UNUSED_PAD src0_sel:BYTE_0
	v_pk_fma_f32 v[18:19], v[28:29], v[26:27], v[18:19] op_sel_hi:[1,0,1]
	v_pk_fma_f32 v[20:21], v[36:37], v[26:27], v[20:21] op_sel_hi:[1,0,1]
	v_cvt_f32_i32_sdwa v86, sext(v23) dst_sel:DWORD dst_unused:UNUSED_PAD src0_sel:BYTE_1
	s_waitcnt vmcnt(1)
	v_pk_fma_f32 v[18:19], v[30:31], v[78:79], v[18:19] op_sel_hi:[1,0,1]
	v_pk_fma_f32 v[20:21], v[38:39], v[78:79], v[20:21] op_sel_hi:[1,0,1]
	v_cvt_f32_i32_sdwa v88, sext(v23) dst_sel:DWORD dst_unused:UNUSED_PAD src0_sel:BYTE_2
	s_waitcnt vmcnt(0)
	v_pk_fma_f32 v[18:19], v[32:33], v[80:81], v[18:19] op_sel_hi:[1,0,1]
	v_pk_fma_f32 v[0:1], v[0:1], v[80:81], v[20:21] op_sel_hi:[1,0,1]
	v_cvt_f32_i32_sdwa v90, sext(v23) dst_sel:DWORD dst_unused:UNUSED_PAD src0_sel:BYTE_3
	v_pk_fma_f32 v[18:19], v[34:35], v[82:83], v[18:19] op_sel_hi:[1,0,1]
	v_pk_fma_f32 v[0:1], v[40:41], v[82:83], v[0:1] op_sel_hi:[1,0,1]
	v_cvt_f32_i32_sdwa v28, sext(v79) dst_sel:DWORD dst_unused:UNUSED_PAD src0_sel:BYTE_0
	v_pk_fma_f32 v[2:3], v[2:3], v[84:85], v[18:19] op_sel_hi:[1,0,1]
	v_pk_fma_f32 v[0:1], v[48:49], v[84:85], v[0:1] op_sel_hi:[1,0,1]
	v_cvt_f32_i32_sdwa v26, sext(v79) dst_sel:DWORD dst_unused:UNUSED_PAD src0_sel:BYTE_1
	v_pk_fma_f32 v[2:3], v[42:43], v[86:87], v[2:3] op_sel_hi:[1,0,1]
	v_pk_fma_f32 v[0:1], v[50:51], v[86:87], v[0:1] op_sel_hi:[1,0,1]
	v_cvt_f32_i32_sdwa v36, sext(v79) dst_sel:DWORD dst_unused:UNUSED_PAD src0_sel:BYTE_2
	v_pk_fma_f32 v[2:3], v[44:45], v[88:89], v[2:3] op_sel_hi:[1,0,1]
	v_pk_fma_f32 v[0:1], v[4:5], v[88:89], v[0:1] op_sel_hi:[1,0,1]
	v_cvt_f32_i32_sdwa v92, sext(v79) dst_sel:DWORD dst_unused:UNUSED_PAD src0_sel:BYTE_3
	v_pk_fma_f32 v[2:3], v[46:47], v[90:91], v[2:3] op_sel_hi:[1,0,1]
	v_pk_fma_f32 v[0:1], v[52:53], v[90:91], v[0:1] op_sel_hi:[1,0,1]
	v_cvt_f32_i32_sdwa v30, sext(v81) dst_sel:DWORD dst_unused:UNUSED_PAD src0_sel:BYTE_0
	v_pk_fma_f32 v[2:3], v[6:7], v[28:29], v[2:3] op_sel_hi:[1,0,1]
	v_pk_fma_f32 v[0:1], v[60:61], v[28:29], v[0:1] op_sel_hi:[1,0,1]
	v_cvt_f32_i32_sdwa v38, sext(v81) dst_sel:DWORD dst_unused:UNUSED_PAD src0_sel:BYTE_1
	v_pk_fma_f32 v[2:3], v[54:55], v[26:27], v[2:3] op_sel_hi:[1,0,1]
	v_pk_fma_f32 v[0:1], v[62:63], v[26:27], v[0:1] op_sel_hi:[1,0,1]
	v_cvt_f32_i32_sdwa v78, sext(v81) dst_sel:DWORD dst_unused:UNUSED_PAD src0_sel:BYTE_2
	v_pk_fma_f32 v[2:3], v[56:57], v[36:37], v[2:3] op_sel_hi:[1,0,1]
	v_pk_fma_f32 v[0:1], v[8:9], v[36:37], v[0:1] op_sel_hi:[1,0,1]
	v_cvt_f32_i32_sdwa v32, sext(v81) dst_sel:DWORD dst_unused:UNUSED_PAD src0_sel:BYTE_3
	v_pk_fma_f32 v[2:3], v[58:59], v[92:93], v[2:3] op_sel_hi:[1,0,1]
	v_pk_fma_f32 v[0:1], v[64:65], v[92:93], v[0:1] op_sel_hi:[1,0,1]
	;; [unrolled: 1-line block ×10, first 2 shown]
	s_andn2_b64 exec, exec, s[10:11]
	s_cbranch_execnz .LBB76_33
; %bb.34:
	s_or_b64 exec, exec, s[10:11]
.LBB76_35:
	s_or_b64 exec, exec, s[2:3]
.LBB76_36:
	s_or_b64 exec, exec, s[6:7]
.LBB76_37:
	v_mov_b32_dpp v0, v18 row_shr:1 row_mask:0xf bank_mask:0xf
	v_mov_b32_dpp v1, v19 row_shr:1 row_mask:0xf bank_mask:0xf
	;; [unrolled: 1-line block ×4, first 2 shown]
	v_pk_add_f32 v[0:1], v[18:19], v[0:1]
	v_pk_add_f32 v[4:5], v[20:21], v[4:5]
	v_cmp_eq_u32_e32 vcc, 7, v13
	v_mov_b32_dpp v2, v0 row_shr:2 row_mask:0xf bank_mask:0xf
	v_mov_b32_dpp v3, v1 row_shr:2 row_mask:0xf bank_mask:0xf
	;; [unrolled: 1-line block ×4, first 2 shown]
	v_pk_add_f32 v[0:1], v[0:1], v[2:3]
	v_pk_add_f32 v[4:5], v[4:5], v[6:7]
	s_nop 0
	v_mov_b32_dpp v2, v0 row_shr:4 row_mask:0xf bank_mask:0xe
	v_mov_b32_dpp v3, v1 row_shr:4 row_mask:0xf bank_mask:0xe
	;; [unrolled: 1-line block ×4, first 2 shown]
	s_and_b64 exec, exec, vcc
	s_cbranch_execz .LBB76_10
; %bb.38:
	s_load_dwordx2 s[0:1], s[0:1], 0x50
	v_cmp_eq_f32_e64 s[2:3], s14, 0
	v_pk_add_f32 v[2:3], v[0:1], v[2:3]
	v_pk_add_f32 v[0:1], v[4:5], v[6:7]
	s_and_b64 vcc, exec, s[2:3]
	v_lshlrev_b32_e32 v4, 2, v12
	s_cbranch_vccz .LBB76_40
; %bb.39:
	v_ashrrev_i32_e32 v5, 31, v4
	s_waitcnt lgkmcnt(0)
	v_lshl_add_u64 v[10:11], v[4:5], 2, s[0:1]
	v_pk_mul_f32 v[6:7], s[12:13], v[2:3] op_sel_hi:[0,1]
	v_pk_mul_f32 v[8:9], s[12:13], v[0:1] op_sel_hi:[0,1]
	global_store_dwordx4 v[10:11], v[6:9], off
	s_cbranch_execnz .LBB76_10
	s_branch .LBB76_41
.LBB76_40:
.LBB76_41:
	v_ashrrev_i32_e32 v5, 31, v4
	s_waitcnt lgkmcnt(0)
	v_lshl_add_u64 v[8:9], v[4:5], 2, s[0:1]
	global_load_dwordx4 v[4:7], v[8:9], off
	v_pk_mul_f32 v[2:3], s[12:13], v[2:3] op_sel_hi:[0,1]
	v_pk_mul_f32 v[10:11], s[12:13], v[0:1] op_sel_hi:[0,1]
	s_waitcnt vmcnt(0)
	v_pk_fma_f32 v[0:1], s[14:15], v[4:5], v[2:3] op_sel_hi:[0,1,1]
	v_pk_fma_f32 v[2:3], s[14:15], v[6:7], v[10:11] op_sel_hi:[0,1,1]
	global_store_dwordx4 v[8:9], v[0:3], off
	s_endpgm
	.section	.rodata,"a",@progbits
	.p2align	6, 0x0
	.amdhsa_kernel _ZN9rocsparseL18bsrxmvn_4x4_kernelILj128ELj8EfiiaafEEvT3_20rocsparse_direction_NS_24const_host_device_scalarIT1_EES1_PKS1_PKT2_SA_S7_PKT4_PKT5_S5_PT6_21rocsparse_index_base_b
		.amdhsa_group_segment_fixed_size 0
		.amdhsa_private_segment_fixed_size 0
		.amdhsa_kernarg_size 96
		.amdhsa_user_sgpr_count 2
		.amdhsa_user_sgpr_dispatch_ptr 0
		.amdhsa_user_sgpr_queue_ptr 0
		.amdhsa_user_sgpr_kernarg_segment_ptr 1
		.amdhsa_user_sgpr_dispatch_id 0
		.amdhsa_user_sgpr_kernarg_preload_length 0
		.amdhsa_user_sgpr_kernarg_preload_offset 0
		.amdhsa_user_sgpr_private_segment_size 0
		.amdhsa_uses_dynamic_stack 0
		.amdhsa_enable_private_segment 0
		.amdhsa_system_sgpr_workgroup_id_x 1
		.amdhsa_system_sgpr_workgroup_id_y 0
		.amdhsa_system_sgpr_workgroup_id_z 0
		.amdhsa_system_sgpr_workgroup_info 0
		.amdhsa_system_vgpr_workitem_id 0
		.amdhsa_next_free_vgpr 100
		.amdhsa_next_free_sgpr 22
		.amdhsa_accum_offset 100
		.amdhsa_reserve_vcc 1
		.amdhsa_float_round_mode_32 0
		.amdhsa_float_round_mode_16_64 0
		.amdhsa_float_denorm_mode_32 3
		.amdhsa_float_denorm_mode_16_64 3
		.amdhsa_dx10_clamp 1
		.amdhsa_ieee_mode 1
		.amdhsa_fp16_overflow 0
		.amdhsa_tg_split 0
		.amdhsa_exception_fp_ieee_invalid_op 0
		.amdhsa_exception_fp_denorm_src 0
		.amdhsa_exception_fp_ieee_div_zero 0
		.amdhsa_exception_fp_ieee_overflow 0
		.amdhsa_exception_fp_ieee_underflow 0
		.amdhsa_exception_fp_ieee_inexact 0
		.amdhsa_exception_int_div_zero 0
	.end_amdhsa_kernel
	.section	.text._ZN9rocsparseL18bsrxmvn_4x4_kernelILj128ELj8EfiiaafEEvT3_20rocsparse_direction_NS_24const_host_device_scalarIT1_EES1_PKS1_PKT2_SA_S7_PKT4_PKT5_S5_PT6_21rocsparse_index_base_b,"axG",@progbits,_ZN9rocsparseL18bsrxmvn_4x4_kernelILj128ELj8EfiiaafEEvT3_20rocsparse_direction_NS_24const_host_device_scalarIT1_EES1_PKS1_PKT2_SA_S7_PKT4_PKT5_S5_PT6_21rocsparse_index_base_b,comdat
.Lfunc_end76:
	.size	_ZN9rocsparseL18bsrxmvn_4x4_kernelILj128ELj8EfiiaafEEvT3_20rocsparse_direction_NS_24const_host_device_scalarIT1_EES1_PKS1_PKT2_SA_S7_PKT4_PKT5_S5_PT6_21rocsparse_index_base_b, .Lfunc_end76-_ZN9rocsparseL18bsrxmvn_4x4_kernelILj128ELj8EfiiaafEEvT3_20rocsparse_direction_NS_24const_host_device_scalarIT1_EES1_PKS1_PKT2_SA_S7_PKT4_PKT5_S5_PT6_21rocsparse_index_base_b
                                        ; -- End function
	.set _ZN9rocsparseL18bsrxmvn_4x4_kernelILj128ELj8EfiiaafEEvT3_20rocsparse_direction_NS_24const_host_device_scalarIT1_EES1_PKS1_PKT2_SA_S7_PKT4_PKT5_S5_PT6_21rocsparse_index_base_b.num_vgpr, 100
	.set _ZN9rocsparseL18bsrxmvn_4x4_kernelILj128ELj8EfiiaafEEvT3_20rocsparse_direction_NS_24const_host_device_scalarIT1_EES1_PKS1_PKT2_SA_S7_PKT4_PKT5_S5_PT6_21rocsparse_index_base_b.num_agpr, 0
	.set _ZN9rocsparseL18bsrxmvn_4x4_kernelILj128ELj8EfiiaafEEvT3_20rocsparse_direction_NS_24const_host_device_scalarIT1_EES1_PKS1_PKT2_SA_S7_PKT4_PKT5_S5_PT6_21rocsparse_index_base_b.numbered_sgpr, 22
	.set _ZN9rocsparseL18bsrxmvn_4x4_kernelILj128ELj8EfiiaafEEvT3_20rocsparse_direction_NS_24const_host_device_scalarIT1_EES1_PKS1_PKT2_SA_S7_PKT4_PKT5_S5_PT6_21rocsparse_index_base_b.num_named_barrier, 0
	.set _ZN9rocsparseL18bsrxmvn_4x4_kernelILj128ELj8EfiiaafEEvT3_20rocsparse_direction_NS_24const_host_device_scalarIT1_EES1_PKS1_PKT2_SA_S7_PKT4_PKT5_S5_PT6_21rocsparse_index_base_b.private_seg_size, 0
	.set _ZN9rocsparseL18bsrxmvn_4x4_kernelILj128ELj8EfiiaafEEvT3_20rocsparse_direction_NS_24const_host_device_scalarIT1_EES1_PKS1_PKT2_SA_S7_PKT4_PKT5_S5_PT6_21rocsparse_index_base_b.uses_vcc, 1
	.set _ZN9rocsparseL18bsrxmvn_4x4_kernelILj128ELj8EfiiaafEEvT3_20rocsparse_direction_NS_24const_host_device_scalarIT1_EES1_PKS1_PKT2_SA_S7_PKT4_PKT5_S5_PT6_21rocsparse_index_base_b.uses_flat_scratch, 0
	.set _ZN9rocsparseL18bsrxmvn_4x4_kernelILj128ELj8EfiiaafEEvT3_20rocsparse_direction_NS_24const_host_device_scalarIT1_EES1_PKS1_PKT2_SA_S7_PKT4_PKT5_S5_PT6_21rocsparse_index_base_b.has_dyn_sized_stack, 0
	.set _ZN9rocsparseL18bsrxmvn_4x4_kernelILj128ELj8EfiiaafEEvT3_20rocsparse_direction_NS_24const_host_device_scalarIT1_EES1_PKS1_PKT2_SA_S7_PKT4_PKT5_S5_PT6_21rocsparse_index_base_b.has_recursion, 0
	.set _ZN9rocsparseL18bsrxmvn_4x4_kernelILj128ELj8EfiiaafEEvT3_20rocsparse_direction_NS_24const_host_device_scalarIT1_EES1_PKS1_PKT2_SA_S7_PKT4_PKT5_S5_PT6_21rocsparse_index_base_b.has_indirect_call, 0
	.section	.AMDGPU.csdata,"",@progbits
; Kernel info:
; codeLenInByte = 4016
; TotalNumSgprs: 28
; NumVgprs: 100
; NumAgprs: 0
; TotalNumVgprs: 100
; ScratchSize: 0
; MemoryBound: 0
; FloatMode: 240
; IeeeMode: 1
; LDSByteSize: 0 bytes/workgroup (compile time only)
; SGPRBlocks: 3
; VGPRBlocks: 12
; NumSGPRsForWavesPerEU: 28
; NumVGPRsForWavesPerEU: 100
; AccumOffset: 100
; Occupancy: 4
; WaveLimiterHint : 1
; COMPUTE_PGM_RSRC2:SCRATCH_EN: 0
; COMPUTE_PGM_RSRC2:USER_SGPR: 2
; COMPUTE_PGM_RSRC2:TRAP_HANDLER: 0
; COMPUTE_PGM_RSRC2:TGID_X_EN: 1
; COMPUTE_PGM_RSRC2:TGID_Y_EN: 0
; COMPUTE_PGM_RSRC2:TGID_Z_EN: 0
; COMPUTE_PGM_RSRC2:TIDIG_COMP_CNT: 0
; COMPUTE_PGM_RSRC3_GFX90A:ACCUM_OFFSET: 24
; COMPUTE_PGM_RSRC3_GFX90A:TG_SPLIT: 0
	.section	.text._ZN9rocsparseL18bsrxmvn_4x4_kernelILj128ELj16EfiiaafEEvT3_20rocsparse_direction_NS_24const_host_device_scalarIT1_EES1_PKS1_PKT2_SA_S7_PKT4_PKT5_S5_PT6_21rocsparse_index_base_b,"axG",@progbits,_ZN9rocsparseL18bsrxmvn_4x4_kernelILj128ELj16EfiiaafEEvT3_20rocsparse_direction_NS_24const_host_device_scalarIT1_EES1_PKS1_PKT2_SA_S7_PKT4_PKT5_S5_PT6_21rocsparse_index_base_b,comdat
	.globl	_ZN9rocsparseL18bsrxmvn_4x4_kernelILj128ELj16EfiiaafEEvT3_20rocsparse_direction_NS_24const_host_device_scalarIT1_EES1_PKS1_PKT2_SA_S7_PKT4_PKT5_S5_PT6_21rocsparse_index_base_b ; -- Begin function _ZN9rocsparseL18bsrxmvn_4x4_kernelILj128ELj16EfiiaafEEvT3_20rocsparse_direction_NS_24const_host_device_scalarIT1_EES1_PKS1_PKT2_SA_S7_PKT4_PKT5_S5_PT6_21rocsparse_index_base_b
	.p2align	8
	.type	_ZN9rocsparseL18bsrxmvn_4x4_kernelILj128ELj16EfiiaafEEvT3_20rocsparse_direction_NS_24const_host_device_scalarIT1_EES1_PKS1_PKT2_SA_S7_PKT4_PKT5_S5_PT6_21rocsparse_index_base_b,@function
_ZN9rocsparseL18bsrxmvn_4x4_kernelILj128ELj16EfiiaafEEvT3_20rocsparse_direction_NS_24const_host_device_scalarIT1_EES1_PKS1_PKT2_SA_S7_PKT4_PKT5_S5_PT6_21rocsparse_index_base_b: ; @_ZN9rocsparseL18bsrxmvn_4x4_kernelILj128ELj16EfiiaafEEvT3_20rocsparse_direction_NS_24const_host_device_scalarIT1_EES1_PKS1_PKT2_SA_S7_PKT4_PKT5_S5_PT6_21rocsparse_index_base_b
; %bb.0:
	s_load_dwordx2 s[16:17], s[0:1], 0x58
	s_load_dwordx2 s[12:13], s[0:1], 0x8
	;; [unrolled: 1-line block ×3, first 2 shown]
	s_waitcnt lgkmcnt(0)
	s_bitcmp1_b32 s17, 0
	s_cselect_b64 s[6:7], -1, 0
	s_xor_b64 s[4:5], s[6:7], -1
	s_and_b64 vcc, exec, s[6:7]
	s_cbranch_vccnz .LBB77_2
; %bb.1:
	s_load_dword s12, s[12:13], 0x0
.LBB77_2:
	s_andn2_b64 vcc, exec, s[4:5]
	s_cbranch_vccnz .LBB77_4
; %bb.3:
	s_load_dword s14, s[14:15], 0x0
.LBB77_4:
	s_waitcnt lgkmcnt(0)
	v_cmp_neq_f32_e64 s[4:5], s12, 0
	v_cmp_neq_f32_e64 s[6:7], s14, 1.0
	s_or_b64 s[4:5], s[4:5], s[6:7]
	s_andn2_b64 vcc, exec, s[4:5]
	s_cbranch_vccnz .LBB77_10
; %bb.5:
	s_load_dwordx2 s[4:5], s[0:1], 0x18
	s_load_dwordx2 s[18:19], s[0:1], 0x0
	v_lshrrev_b32_e32 v1, 4, v0
	v_lshl_or_b32 v16, s2, 3, v1
	s_mov_b64 s[2:3], 0
	s_waitcnt lgkmcnt(0)
	s_cmp_lg_u64 s[4:5], 0
	s_cbranch_scc0 .LBB77_11
; %bb.6:
	s_load_dword s6, s[0:1], 0x10
                                        ; implicit-def: $vgpr1
	s_waitcnt lgkmcnt(0)
	v_cmp_gt_i32_e32 vcc, s6, v16
	s_and_saveexec_b64 s[6:7], vcc
	s_xor_b64 s[6:7], exec, s[6:7]
	s_cbranch_execz .LBB77_8
; %bb.7:
	v_ashrrev_i32_e32 v17, 31, v16
	v_lshl_add_u64 v[2:3], v[16:17], 2, s[4:5]
	global_load_dword v1, v[2:3], off
	s_mov_b64 s[2:3], exec
	s_waitcnt vmcnt(0)
	v_subrev_u32_e32 v1, s16, v1
.LBB77_8:
	s_or_b64 exec, exec, s[6:7]
	s_branch .LBB77_12
.LBB77_9:
	v_cmp_gt_i32_e32 vcc, s18, v16
	s_andn2_b64 s[2:3], s[2:3], exec
	s_and_b64 s[4:5], vcc, exec
	s_or_b64 s[2:3], s[2:3], s[4:5]
	s_and_saveexec_b64 s[4:5], s[2:3]
	s_cbranch_execnz .LBB77_13
.LBB77_10:
	s_endpgm
.LBB77_11:
                                        ; implicit-def: $vgpr1
	s_cbranch_execnz .LBB77_9
.LBB77_12:
	v_mov_b32_e32 v16, v1
	s_and_saveexec_b64 s[4:5], s[2:3]
	s_cbranch_execz .LBB77_10
.LBB77_13:
	s_load_dwordx8 s[4:11], s[0:1], 0x20
	v_ashrrev_i32_e32 v17, 31, v16
	v_lshlrev_b64 v[2:3], 2, v[16:17]
	v_and_b32_e32 v17, 15, v0
	s_waitcnt lgkmcnt(0)
	v_lshl_add_u64 v[4:5], s[4:5], 0, v[2:3]
	s_cmp_eq_u64 s[6:7], 0
	global_load_dword v12, v[4:5], off
	v_lshl_add_u64 v[4:5], v[4:5], 0, 4
	v_lshl_add_u64 v[2:3], s[6:7], 0, v[2:3]
	s_cselect_b64 vcc, -1, 0
	v_cndmask_b32_e32 v3, v3, v5, vcc
	v_cndmask_b32_e32 v2, v2, v4, vcc
	global_load_dword v1, v[2:3], off
	s_load_dwordx2 s[4:5], s[0:1], 0x40
	s_cmp_eq_u32 s19, 1
	s_waitcnt vmcnt(1)
	v_subrev_u32_e32 v0, s16, v12
	v_add_u32_e32 v18, v0, v17
	v_ashrrev_i32_e32 v19, 31, v18
	v_lshl_add_u64 v[20:21], v[18:19], 4, s[10:11]
	s_waitcnt vmcnt(0)
	v_subrev_u32_e32 v26, s16, v1
	v_cmp_lt_i32_e64 s[2:3], v18, v26
	s_cbranch_scc1 .LBB77_25
; %bb.14:
	v_mov_b32_e32 v23, 0
	v_mov_b32_e32 v22, 0
	;; [unrolled: 1-line block ×4, first 2 shown]
	s_and_saveexec_b64 s[6:7], s[2:3]
	s_cbranch_execz .LBB77_24
; %bb.15:
	v_add_u32_e32 v0, v12, v17
	v_subrev_u32_e32 v0, s16, v0
	v_add_u32_e32 v0, 16, v0
	v_max_i32_e32 v0, v0, v26
	v_not_b32_e32 v1, v12
	v_add3_u32 v0, s16, v0, v1
	v_sub_u32_e32 v0, v0, v17
	v_and_b32_e32 v1, 48, v0
	v_mov_b32_e32 v24, 0
	v_cmp_ne_u32_e32 vcc, 48, v1
	v_mov_b32_e32 v25, v24
	v_mov_b32_e32 v22, v24
	;; [unrolled: 1-line block ×4, first 2 shown]
	v_mov_b64_e32 v[10:11], v[20:21]
	s_and_saveexec_b64 s[10:11], vcc
	s_cbranch_execz .LBB77_19
; %bb.16:
	v_lshrrev_b32_e32 v1, 4, v0
	v_add_u32_e32 v1, 1, v1
	v_and_b32_e32 v1, 3, v1
	v_mov_b32_e32 v23, 0
	v_sub_u32_e32 v1, 0, v1
	s_mov_b64 s[18:19], 0
	s_mov_b64 s[20:21], 0x100
	v_mov_b64_e32 v[10:11], v[20:21]
	v_mov_b32_e32 v8, v18
	v_mov_b32_e32 v22, v23
	;; [unrolled: 1-line block ×4, first 2 shown]
.LBB77_17:                              ; =>This Inner Loop Header: Depth=1
	v_ashrrev_i32_e32 v9, 31, v8
	v_lshl_add_u64 v[6:7], v[8:9], 2, s[8:9]
	global_load_dword v9, v[6:7], off
	global_load_dwordx4 v[2:5], v[10:11], off
	v_add_co_u32_e32 v1, vcc, 1, v1
	v_lshl_add_u64 v[10:11], v[10:11], 0, s[20:21]
	v_add_u32_e32 v8, 16, v8
	s_or_b64 s[18:19], vcc, s[18:19]
	s_waitcnt vmcnt(1)
	v_subrev_u32_e32 v6, s16, v9
	v_lshlrev_b32_e32 v6, 2, v6
	v_ashrrev_i32_e32 v7, 31, v6
	s_waitcnt lgkmcnt(0)
	v_lshl_add_u64 v[6:7], s[4:5], 0, v[6:7]
	global_load_dword v9, v[6:7], off
	s_waitcnt vmcnt(1)
	v_cvt_f32_i32_sdwa v6, sext(v2) dst_sel:DWORD dst_unused:UNUSED_PAD src0_sel:BYTE_0
	v_cvt_f32_i32_sdwa v7, sext(v3) dst_sel:DWORD dst_unused:UNUSED_PAD src0_sel:BYTE_0
	;; [unrolled: 1-line block ×4, first 2 shown]
	v_cvt_f32_i32_sdwa v15, sext(v3) dst_sel:DWORD dst_unused:UNUSED_PAD src0_sel:BYTE_1
	v_cvt_f32_i32_sdwa v14, sext(v2) dst_sel:DWORD dst_unused:UNUSED_PAD src0_sel:BYTE_1
	;; [unrolled: 1-line block ×4, first 2 shown]
	v_cvt_f32_i32_sdwa v29, sext(v3) dst_sel:DWORD dst_unused:UNUSED_PAD src0_sel:BYTE_2
	v_cvt_f32_i32_sdwa v28, sext(v2) dst_sel:DWORD dst_unused:UNUSED_PAD src0_sel:BYTE_2
	;; [unrolled: 1-line block ×4, first 2 shown]
	v_cvt_f32_i32_sdwa v3, sext(v3) dst_sel:DWORD dst_unused:UNUSED_PAD src0_sel:BYTE_3
	v_cvt_f32_i32_sdwa v2, sext(v2) dst_sel:DWORD dst_unused:UNUSED_PAD src0_sel:BYTE_3
	;; [unrolled: 1-line block ×4, first 2 shown]
	s_waitcnt vmcnt(0)
	v_cvt_f32_i32_sdwa v36, sext(v9) dst_sel:DWORD dst_unused:UNUSED_PAD src0_sel:BYTE_0
	v_cvt_f32_i32_sdwa v38, sext(v9) dst_sel:DWORD dst_unused:UNUSED_PAD src0_sel:BYTE_1
	v_cvt_f32_i32_sdwa v40, sext(v9) dst_sel:DWORD dst_unused:UNUSED_PAD src0_sel:BYTE_2
	v_cvt_f32_i32_sdwa v42, sext(v9) dst_sel:DWORD dst_unused:UNUSED_PAD src0_sel:BYTE_3
	v_pk_fma_f32 v[6:7], v[6:7], v[36:37], v[24:25] op_sel_hi:[1,0,1]
	v_pk_fma_f32 v[22:23], v[30:31], v[36:37], v[22:23] op_sel_hi:[1,0,1]
	;; [unrolled: 1-line block ×8, first 2 shown]
	s_andn2_b64 exec, exec, s[18:19]
	s_cbranch_execnz .LBB77_17
; %bb.18:
	s_or_b64 exec, exec, s[18:19]
.LBB77_19:
	s_or_b64 exec, exec, s[10:11]
	v_cmp_lt_u32_e32 vcc, 47, v0
	s_and_saveexec_b64 s[10:11], vcc
	s_cbranch_execz .LBB77_23
; %bb.20:
	s_mov_b64 s[18:19], 0
	s_mov_b64 s[20:21], 0x400
.LBB77_21:                              ; =>This Inner Loop Header: Depth=1
	v_ashrrev_i32_e32 v9, 31, v8
	v_lshl_add_u64 v[14:15], v[8:9], 2, s[8:9]
	global_load_dwordx4 v[0:3], v[10:11], off
	global_load_dwordx4 v[4:7], v[10:11], off offset:256
	global_load_dwordx4 v[28:31], v[10:11], off offset:512
	;; [unrolled: 1-line block ×3, first 2 shown]
	global_load_dword v9, v[14:15], off
	global_load_dword v13, v[14:15], off offset:64
	global_load_dword v19, v[14:15], off offset:128
	;; [unrolled: 1-line block ×3, first 2 shown]
	v_add_u32_e32 v8, 64, v8
	v_cmp_ge_i32_e32 vcc, v8, v26
	v_lshl_add_u64 v[10:11], v[10:11], 0, s[20:21]
	s_or_b64 s[18:19], vcc, s[18:19]
	s_waitcnt vmcnt(3)
	v_subrev_u32_e32 v9, s16, v9
	s_waitcnt vmcnt(2)
	v_subrev_u32_e32 v13, s16, v13
	;; [unrolled: 2-line block ×4, first 2 shown]
	v_lshlrev_b32_e32 v54, 2, v9
	v_lshlrev_b32_e32 v56, 2, v13
	;; [unrolled: 1-line block ×4, first 2 shown]
	v_ashrrev_i32_e32 v55, 31, v54
	v_ashrrev_i32_e32 v57, 31, v56
	;; [unrolled: 1-line block ×4, first 2 shown]
	s_waitcnt lgkmcnt(0)
	v_lshl_add_u64 v[54:55], s[4:5], 0, v[54:55]
	v_lshl_add_u64 v[56:57], s[4:5], 0, v[56:57]
	;; [unrolled: 1-line block ×4, first 2 shown]
	global_load_dword v9, v[54:55], off
	global_load_dword v13, v[56:57], off
	;; [unrolled: 1-line block ×4, first 2 shown]
	v_cvt_f32_i32_sdwa v14, sext(v0) dst_sel:DWORD dst_unused:UNUSED_PAD src0_sel:BYTE_0
	v_cvt_f32_i32_sdwa v15, sext(v1) dst_sel:DWORD dst_unused:UNUSED_PAD src0_sel:BYTE_0
	v_cvt_f32_i32_sdwa v40, sext(v2) dst_sel:DWORD dst_unused:UNUSED_PAD src0_sel:BYTE_0
	v_cvt_f32_i32_sdwa v41, sext(v3) dst_sel:DWORD dst_unused:UNUSED_PAD src0_sel:BYTE_0
	v_cvt_f32_i32_sdwa v37, sext(v1) dst_sel:DWORD dst_unused:UNUSED_PAD src0_sel:BYTE_1
	v_cvt_f32_i32_sdwa v36, sext(v0) dst_sel:DWORD dst_unused:UNUSED_PAD src0_sel:BYTE_1
	v_cvt_f32_i32_sdwa v43, sext(v3) dst_sel:DWORD dst_unused:UNUSED_PAD src0_sel:BYTE_1
	v_cvt_f32_i32_sdwa v42, sext(v2) dst_sel:DWORD dst_unused:UNUSED_PAD src0_sel:BYTE_1
	v_cvt_f32_i32_sdwa v39, sext(v1) dst_sel:DWORD dst_unused:UNUSED_PAD src0_sel:BYTE_2
	v_cvt_f32_i32_sdwa v38, sext(v0) dst_sel:DWORD dst_unused:UNUSED_PAD src0_sel:BYTE_2
	v_cvt_f32_i32_sdwa v45, sext(v3) dst_sel:DWORD dst_unused:UNUSED_PAD src0_sel:BYTE_2
	v_cvt_f32_i32_sdwa v44, sext(v2) dst_sel:DWORD dst_unused:UNUSED_PAD src0_sel:BYTE_2
	v_cvt_f32_i32_sdwa v1, sext(v1) dst_sel:DWORD dst_unused:UNUSED_PAD src0_sel:BYTE_3
	v_cvt_f32_i32_sdwa v0, sext(v0) dst_sel:DWORD dst_unused:UNUSED_PAD src0_sel:BYTE_3
	v_cvt_f32_i32_sdwa v3, sext(v3) dst_sel:DWORD dst_unused:UNUSED_PAD src0_sel:BYTE_3
	v_cvt_f32_i32_sdwa v2, sext(v2) dst_sel:DWORD dst_unused:UNUSED_PAD src0_sel:BYTE_3
	v_cvt_f32_i32_sdwa v46, sext(v4) dst_sel:DWORD dst_unused:UNUSED_PAD src0_sel:BYTE_0
	v_cvt_f32_i32_sdwa v47, sext(v5) dst_sel:DWORD dst_unused:UNUSED_PAD src0_sel:BYTE_0
	v_cvt_f32_i32_sdwa v52, sext(v6) dst_sel:DWORD dst_unused:UNUSED_PAD src0_sel:BYTE_0
	v_cvt_f32_i32_sdwa v53, sext(v7) dst_sel:DWORD dst_unused:UNUSED_PAD src0_sel:BYTE_0
	v_cvt_f32_i32_sdwa v49, sext(v5) dst_sel:DWORD dst_unused:UNUSED_PAD src0_sel:BYTE_1
	v_cvt_f32_i32_sdwa v48, sext(v4) dst_sel:DWORD dst_unused:UNUSED_PAD src0_sel:BYTE_1
	v_cvt_f32_i32_sdwa v55, sext(v7) dst_sel:DWORD dst_unused:UNUSED_PAD src0_sel:BYTE_1
	v_cvt_f32_i32_sdwa v54, sext(v6) dst_sel:DWORD dst_unused:UNUSED_PAD src0_sel:BYTE_1
	v_cvt_f32_i32_sdwa v51, sext(v5) dst_sel:DWORD dst_unused:UNUSED_PAD src0_sel:BYTE_2
	v_cvt_f32_i32_sdwa v50, sext(v4) dst_sel:DWORD dst_unused:UNUSED_PAD src0_sel:BYTE_2
	v_cvt_f32_i32_sdwa v57, sext(v7) dst_sel:DWORD dst_unused:UNUSED_PAD src0_sel:BYTE_2
	v_cvt_f32_i32_sdwa v56, sext(v6) dst_sel:DWORD dst_unused:UNUSED_PAD src0_sel:BYTE_2
	v_cvt_f32_i32_sdwa v5, sext(v5) dst_sel:DWORD dst_unused:UNUSED_PAD src0_sel:BYTE_3
	v_cvt_f32_i32_sdwa v4, sext(v4) dst_sel:DWORD dst_unused:UNUSED_PAD src0_sel:BYTE_3
	v_cvt_f32_i32_sdwa v7, sext(v7) dst_sel:DWORD dst_unused:UNUSED_PAD src0_sel:BYTE_3
	v_cvt_f32_i32_sdwa v6, sext(v6) dst_sel:DWORD dst_unused:UNUSED_PAD src0_sel:BYTE_3
	;; [unrolled: 16-line block ×4, first 2 shown]
	s_waitcnt vmcnt(3)
	v_cvt_f32_i32_sdwa v82, sext(v9) dst_sel:DWORD dst_unused:UNUSED_PAD src0_sel:BYTE_0
	v_cvt_f32_i32_sdwa v84, sext(v9) dst_sel:DWORD dst_unused:UNUSED_PAD src0_sel:BYTE_1
	v_cvt_f32_i32_sdwa v86, sext(v9) dst_sel:DWORD dst_unused:UNUSED_PAD src0_sel:BYTE_2
	v_cvt_f32_i32_sdwa v88, sext(v9) dst_sel:DWORD dst_unused:UNUSED_PAD src0_sel:BYTE_3
	s_waitcnt vmcnt(2)
	v_cvt_f32_i32_sdwa v90, sext(v13) dst_sel:DWORD dst_unused:UNUSED_PAD src0_sel:BYTE_0
	v_pk_fma_f32 v[14:15], v[14:15], v[82:83], v[24:25] op_sel_hi:[1,0,1]
	v_pk_fma_f32 v[22:23], v[40:41], v[82:83], v[22:23] op_sel_hi:[1,0,1]
	v_cvt_f32_i32_sdwa v92, sext(v13) dst_sel:DWORD dst_unused:UNUSED_PAD src0_sel:BYTE_1
	v_pk_fma_f32 v[14:15], v[36:37], v[84:85], v[14:15] op_sel_hi:[1,0,1]
	v_pk_fma_f32 v[22:23], v[42:43], v[84:85], v[22:23] op_sel_hi:[1,0,1]
	v_cvt_f32_i32_sdwa v94, sext(v13) dst_sel:DWORD dst_unused:UNUSED_PAD src0_sel:BYTE_2
	v_pk_fma_f32 v[14:15], v[38:39], v[86:87], v[14:15] op_sel_hi:[1,0,1]
	v_pk_fma_f32 v[22:23], v[44:45], v[86:87], v[22:23] op_sel_hi:[1,0,1]
	v_cvt_f32_i32_sdwa v96, sext(v13) dst_sel:DWORD dst_unused:UNUSED_PAD src0_sel:BYTE_3
	v_pk_fma_f32 v[0:1], v[0:1], v[88:89], v[14:15] op_sel_hi:[1,0,1]
	v_pk_fma_f32 v[2:3], v[2:3], v[88:89], v[22:23] op_sel_hi:[1,0,1]
	s_waitcnt vmcnt(1)
	v_cvt_f32_i32_sdwa v24, sext(v19) dst_sel:DWORD dst_unused:UNUSED_PAD src0_sel:BYTE_0
	v_pk_fma_f32 v[0:1], v[46:47], v[90:91], v[0:1] op_sel_hi:[1,0,1]
	v_pk_fma_f32 v[2:3], v[52:53], v[90:91], v[2:3] op_sel_hi:[1,0,1]
	v_cvt_f32_i32_sdwa v40, sext(v19) dst_sel:DWORD dst_unused:UNUSED_PAD src0_sel:BYTE_1
	v_pk_fma_f32 v[0:1], v[48:49], v[92:93], v[0:1] op_sel_hi:[1,0,1]
	v_pk_fma_f32 v[2:3], v[54:55], v[92:93], v[2:3] op_sel_hi:[1,0,1]
	v_cvt_f32_i32_sdwa v82, sext(v19) dst_sel:DWORD dst_unused:UNUSED_PAD src0_sel:BYTE_2
	v_pk_fma_f32 v[0:1], v[50:51], v[94:95], v[0:1] op_sel_hi:[1,0,1]
	v_pk_fma_f32 v[2:3], v[56:57], v[94:95], v[2:3] op_sel_hi:[1,0,1]
	v_cvt_f32_i32_sdwa v98, sext(v19) dst_sel:DWORD dst_unused:UNUSED_PAD src0_sel:BYTE_3
	v_pk_fma_f32 v[0:1], v[4:5], v[96:97], v[0:1] op_sel_hi:[1,0,1]
	v_pk_fma_f32 v[2:3], v[6:7], v[96:97], v[2:3] op_sel_hi:[1,0,1]
	;; [unrolled: 13-line block ×3, first 2 shown]
	v_pk_fma_f32 v[0:1], v[70:71], v[36:37], v[0:1] op_sel_hi:[1,0,1]
	v_pk_fma_f32 v[2:3], v[76:77], v[36:37], v[2:3] op_sel_hi:[1,0,1]
	;; [unrolled: 1-line block ×8, first 2 shown]
	s_andn2_b64 exec, exec, s[18:19]
	s_cbranch_execnz .LBB77_21
; %bb.22:
	s_or_b64 exec, exec, s[18:19]
.LBB77_23:
	s_or_b64 exec, exec, s[10:11]
.LBB77_24:
	s_or_b64 exec, exec, s[6:7]
	s_cbranch_execz .LBB77_26
	s_branch .LBB77_37
.LBB77_25:
                                        ; implicit-def: $vgpr23
                                        ; implicit-def: $vgpr25
.LBB77_26:
	v_mov_b32_e32 v23, 0
	v_mov_b32_e32 v22, 0
	;; [unrolled: 1-line block ×4, first 2 shown]
	s_and_saveexec_b64 s[6:7], s[2:3]
	s_cbranch_execz .LBB77_36
; %bb.27:
	v_add_u32_e32 v0, v12, v17
	v_subrev_u32_e32 v0, s16, v0
	v_add_u32_e32 v0, 16, v0
	v_max_i32_e32 v0, v0, v26
	v_not_b32_e32 v1, v12
	v_add3_u32 v0, s16, v0, v1
	v_sub_u32_e32 v0, v0, v17
	v_and_b32_e32 v1, 48, v0
	v_mov_b32_e32 v24, 0
	v_cmp_ne_u32_e32 vcc, 48, v1
	v_mov_b32_e32 v25, v24
	v_mov_b32_e32 v22, v24
	;; [unrolled: 1-line block ×3, first 2 shown]
	s_and_saveexec_b64 s[2:3], vcc
	s_cbranch_execz .LBB77_31
; %bb.28:
	v_lshrrev_b32_e32 v1, 4, v0
	v_add_u32_e32 v1, 1, v1
	v_and_b32_e32 v1, 3, v1
	v_mov_b32_e32 v23, 0
	v_sub_u32_e32 v1, 0, v1
	s_mov_b64 s[10:11], 0
	s_mov_b64 s[18:19], 0x100
	v_mov_b32_e32 v22, v23
	v_mov_b32_e32 v25, v23
	;; [unrolled: 1-line block ×3, first 2 shown]
.LBB77_29:                              ; =>This Inner Loop Header: Depth=1
	v_ashrrev_i32_e32 v19, 31, v18
	v_lshl_add_u64 v[6:7], v[18:19], 2, s[8:9]
	global_load_dword v8, v[6:7], off
	global_load_dwordx4 v[2:5], v[20:21], off
	v_add_co_u32_e32 v1, vcc, 1, v1
	v_lshl_add_u64 v[20:21], v[20:21], 0, s[18:19]
	v_add_u32_e32 v18, 16, v18
	s_or_b64 s[10:11], vcc, s[10:11]
	s_waitcnt vmcnt(1)
	v_subrev_u32_e32 v6, s16, v8
	v_lshlrev_b32_e32 v6, 2, v6
	v_ashrrev_i32_e32 v7, 31, v6
	s_waitcnt lgkmcnt(0)
	v_lshl_add_u64 v[6:7], s[4:5], 0, v[6:7]
	global_load_dword v19, v[6:7], off
	s_waitcnt vmcnt(1)
	v_cvt_f32_i32_sdwa v7, sext(v2) dst_sel:DWORD dst_unused:UNUSED_PAD src0_sel:BYTE_1
	v_cvt_f32_i32_sdwa v6, sext(v2) dst_sel:DWORD dst_unused:UNUSED_PAD src0_sel:BYTE_0
	v_cvt_f32_i32_sdwa v9, sext(v2) dst_sel:DWORD dst_unused:UNUSED_PAD src0_sel:BYTE_3
	v_cvt_f32_i32_sdwa v8, sext(v2) dst_sel:DWORD dst_unused:UNUSED_PAD src0_sel:BYTE_2
	v_cvt_f32_i32_sdwa v11, sext(v3) dst_sel:DWORD dst_unused:UNUSED_PAD src0_sel:BYTE_1
	v_cvt_f32_i32_sdwa v10, sext(v3) dst_sel:DWORD dst_unused:UNUSED_PAD src0_sel:BYTE_0
	v_cvt_f32_i32_sdwa v13, sext(v4) dst_sel:DWORD dst_unused:UNUSED_PAD src0_sel:BYTE_1
	v_cvt_f32_i32_sdwa v12, sext(v4) dst_sel:DWORD dst_unused:UNUSED_PAD src0_sel:BYTE_0
	v_cvt_f32_i32_sdwa v29, sext(v3) dst_sel:DWORD dst_unused:UNUSED_PAD src0_sel:BYTE_3
	v_cvt_f32_i32_sdwa v28, sext(v3) dst_sel:DWORD dst_unused:UNUSED_PAD src0_sel:BYTE_2
	v_cvt_f32_i32_sdwa v3, sext(v4) dst_sel:DWORD dst_unused:UNUSED_PAD src0_sel:BYTE_3
	v_cvt_f32_i32_sdwa v2, sext(v4) dst_sel:DWORD dst_unused:UNUSED_PAD src0_sel:BYTE_2
	v_cvt_f32_i32_sdwa v15, sext(v5) dst_sel:DWORD dst_unused:UNUSED_PAD src0_sel:BYTE_1
	v_cvt_f32_i32_sdwa v14, sext(v5) dst_sel:DWORD dst_unused:UNUSED_PAD src0_sel:BYTE_0
	v_cvt_f32_i32_sdwa v31, sext(v5) dst_sel:DWORD dst_unused:UNUSED_PAD src0_sel:BYTE_3
	v_cvt_f32_i32_sdwa v30, sext(v5) dst_sel:DWORD dst_unused:UNUSED_PAD src0_sel:BYTE_2
	s_waitcnt vmcnt(0)
	v_cvt_f32_i32_sdwa v4, sext(v19) dst_sel:DWORD dst_unused:UNUSED_PAD src0_sel:BYTE_0
	v_cvt_f32_i32_sdwa v32, sext(v19) dst_sel:DWORD dst_unused:UNUSED_PAD src0_sel:BYTE_1
	v_cvt_f32_i32_sdwa v34, sext(v19) dst_sel:DWORD dst_unused:UNUSED_PAD src0_sel:BYTE_2
	v_cvt_f32_i32_sdwa v36, sext(v19) dst_sel:DWORD dst_unused:UNUSED_PAD src0_sel:BYTE_3
	v_pk_fma_f32 v[6:7], v[6:7], v[4:5], v[24:25] op_sel_hi:[1,0,1]
	v_pk_fma_f32 v[4:5], v[8:9], v[4:5], v[22:23] op_sel_hi:[1,0,1]
	v_pk_fma_f32 v[6:7], v[10:11], v[32:33], v[6:7] op_sel_hi:[1,0,1]
	v_pk_fma_f32 v[4:5], v[28:29], v[32:33], v[4:5] op_sel_hi:[1,0,1]
	v_pk_fma_f32 v[6:7], v[12:13], v[34:35], v[6:7] op_sel_hi:[1,0,1]
	v_pk_fma_f32 v[2:3], v[2:3], v[34:35], v[4:5] op_sel_hi:[1,0,1]
	v_pk_fma_f32 v[24:25], v[14:15], v[36:37], v[6:7] op_sel_hi:[1,0,1]
	v_pk_fma_f32 v[22:23], v[30:31], v[36:37], v[2:3] op_sel_hi:[1,0,1]
	s_andn2_b64 exec, exec, s[10:11]
	s_cbranch_execnz .LBB77_29
; %bb.30:
	s_or_b64 exec, exec, s[10:11]
.LBB77_31:
	s_or_b64 exec, exec, s[2:3]
	v_cmp_lt_u32_e32 vcc, 47, v0
	s_and_saveexec_b64 s[2:3], vcc
	s_cbranch_execz .LBB77_35
; %bb.32:
	s_mov_b64 s[10:11], 0
	s_mov_b64 s[18:19], 0x400
.LBB77_33:                              ; =>This Inner Loop Header: Depth=1
	v_ashrrev_i32_e32 v19, 31, v18
	v_lshl_add_u64 v[28:29], v[18:19], 2, s[8:9]
	global_load_dwordx4 v[0:3], v[20:21], off
	global_load_dwordx4 v[4:7], v[20:21], off offset:256
	global_load_dwordx4 v[8:11], v[20:21], off offset:512
	;; [unrolled: 1-line block ×3, first 2 shown]
	global_load_dword v19, v[28:29], off
	global_load_dword v27, v[28:29], off offset:64
	global_load_dword v48, v[28:29], off offset:128
	;; [unrolled: 1-line block ×3, first 2 shown]
	v_add_u32_e32 v18, 64, v18
	v_cmp_ge_i32_e32 vcc, v18, v26
	v_lshl_add_u64 v[20:21], v[20:21], 0, s[18:19]
	s_or_b64 s[10:11], vcc, s[10:11]
	s_waitcnt vmcnt(7)
	v_cvt_f32_i32_sdwa v29, sext(v0) dst_sel:DWORD dst_unused:UNUSED_PAD src0_sel:BYTE_1
	v_cvt_f32_i32_sdwa v28, sext(v0) dst_sel:DWORD dst_unused:UNUSED_PAD src0_sel:BYTE_0
	v_cvt_f32_i32_sdwa v31, sext(v0) dst_sel:DWORD dst_unused:UNUSED_PAD src0_sel:BYTE_3
	v_cvt_f32_i32_sdwa v30, sext(v0) dst_sel:DWORD dst_unused:UNUSED_PAD src0_sel:BYTE_2
	v_cvt_f32_i32_sdwa v33, sext(v1) dst_sel:DWORD dst_unused:UNUSED_PAD src0_sel:BYTE_1
	v_cvt_f32_i32_sdwa v32, sext(v1) dst_sel:DWORD dst_unused:UNUSED_PAD src0_sel:BYTE_0
	v_cvt_f32_i32_sdwa v35, sext(v2) dst_sel:DWORD dst_unused:UNUSED_PAD src0_sel:BYTE_1
	v_cvt_f32_i32_sdwa v34, sext(v2) dst_sel:DWORD dst_unused:UNUSED_PAD src0_sel:BYTE_0
	;; [unrolled: 2-line block ×3, first 2 shown]
	v_cvt_f32_i32_sdwa v39, sext(v1) dst_sel:DWORD dst_unused:UNUSED_PAD src0_sel:BYTE_3
	v_cvt_f32_i32_sdwa v38, sext(v1) dst_sel:DWORD dst_unused:UNUSED_PAD src0_sel:BYTE_2
	v_cvt_f32_i32_sdwa v1, sext(v2) dst_sel:DWORD dst_unused:UNUSED_PAD src0_sel:BYTE_3
	v_cvt_f32_i32_sdwa v0, sext(v2) dst_sel:DWORD dst_unused:UNUSED_PAD src0_sel:BYTE_2
	v_cvt_f32_i32_sdwa v41, sext(v3) dst_sel:DWORD dst_unused:UNUSED_PAD src0_sel:BYTE_3
	v_cvt_f32_i32_sdwa v40, sext(v3) dst_sel:DWORD dst_unused:UNUSED_PAD src0_sel:BYTE_2
	s_waitcnt vmcnt(6)
	v_cvt_f32_i32_sdwa v3, sext(v4) dst_sel:DWORD dst_unused:UNUSED_PAD src0_sel:BYTE_1
	v_cvt_f32_i32_sdwa v2, sext(v4) dst_sel:DWORD dst_unused:UNUSED_PAD src0_sel:BYTE_0
	v_cvt_f32_i32_sdwa v43, sext(v4) dst_sel:DWORD dst_unused:UNUSED_PAD src0_sel:BYTE_3
	v_cvt_f32_i32_sdwa v42, sext(v4) dst_sel:DWORD dst_unused:UNUSED_PAD src0_sel:BYTE_2
	s_waitcnt vmcnt(3)
	v_subrev_u32_e32 v4, s16, v19
	s_waitcnt vmcnt(2)
	v_subrev_u32_e32 v19, s16, v27
	;; [unrolled: 2-line block ×4, first 2 shown]
	v_lshlrev_b32_e32 v50, 2, v4
	v_lshlrev_b32_e32 v52, 2, v19
	;; [unrolled: 1-line block ×4, first 2 shown]
	v_ashrrev_i32_e32 v51, 31, v50
	v_ashrrev_i32_e32 v53, 31, v52
	;; [unrolled: 1-line block ×4, first 2 shown]
	s_waitcnt lgkmcnt(0)
	v_lshl_add_u64 v[50:51], s[4:5], 0, v[50:51]
	v_lshl_add_u64 v[52:53], s[4:5], 0, v[52:53]
	;; [unrolled: 1-line block ×4, first 2 shown]
	global_load_dword v19, v[50:51], off
	global_load_dword v27, v[52:53], off
	;; [unrolled: 1-line block ×4, first 2 shown]
	v_cvt_f32_i32_sdwa v45, sext(v5) dst_sel:DWORD dst_unused:UNUSED_PAD src0_sel:BYTE_1
	v_cvt_f32_i32_sdwa v44, sext(v5) dst_sel:DWORD dst_unused:UNUSED_PAD src0_sel:BYTE_0
	v_cvt_f32_i32_sdwa v47, sext(v6) dst_sel:DWORD dst_unused:UNUSED_PAD src0_sel:BYTE_1
	v_cvt_f32_i32_sdwa v46, sext(v6) dst_sel:DWORD dst_unused:UNUSED_PAD src0_sel:BYTE_0
	;; [unrolled: 2-line block ×3, first 2 shown]
	v_cvt_f32_i32_sdwa v51, sext(v5) dst_sel:DWORD dst_unused:UNUSED_PAD src0_sel:BYTE_3
	v_cvt_f32_i32_sdwa v50, sext(v5) dst_sel:DWORD dst_unused:UNUSED_PAD src0_sel:BYTE_2
	v_cvt_f32_i32_sdwa v5, sext(v6) dst_sel:DWORD dst_unused:UNUSED_PAD src0_sel:BYTE_3
	v_cvt_f32_i32_sdwa v4, sext(v6) dst_sel:DWORD dst_unused:UNUSED_PAD src0_sel:BYTE_2
	;; [unrolled: 2-line block ×3, first 2 shown]
	v_cvt_f32_i32_sdwa v7, sext(v8) dst_sel:DWORD dst_unused:UNUSED_PAD src0_sel:BYTE_1
	v_cvt_f32_i32_sdwa v6, sext(v8) dst_sel:DWORD dst_unused:UNUSED_PAD src0_sel:BYTE_0
	v_cvt_f32_i32_sdwa v55, sext(v8) dst_sel:DWORD dst_unused:UNUSED_PAD src0_sel:BYTE_3
	v_cvt_f32_i32_sdwa v54, sext(v8) dst_sel:DWORD dst_unused:UNUSED_PAD src0_sel:BYTE_2
	v_cvt_f32_i32_sdwa v57, sext(v9) dst_sel:DWORD dst_unused:UNUSED_PAD src0_sel:BYTE_1
	v_cvt_f32_i32_sdwa v56, sext(v9) dst_sel:DWORD dst_unused:UNUSED_PAD src0_sel:BYTE_0
	v_cvt_f32_i32_sdwa v59, sext(v10) dst_sel:DWORD dst_unused:UNUSED_PAD src0_sel:BYTE_1
	v_cvt_f32_i32_sdwa v58, sext(v10) dst_sel:DWORD dst_unused:UNUSED_PAD src0_sel:BYTE_0
	;; [unrolled: 2-line block ×3, first 2 shown]
	v_cvt_f32_i32_sdwa v63, sext(v9) dst_sel:DWORD dst_unused:UNUSED_PAD src0_sel:BYTE_3
	v_cvt_f32_i32_sdwa v62, sext(v9) dst_sel:DWORD dst_unused:UNUSED_PAD src0_sel:BYTE_2
	v_cvt_f32_i32_sdwa v9, sext(v10) dst_sel:DWORD dst_unused:UNUSED_PAD src0_sel:BYTE_3
	v_cvt_f32_i32_sdwa v8, sext(v10) dst_sel:DWORD dst_unused:UNUSED_PAD src0_sel:BYTE_2
	;; [unrolled: 2-line block ×3, first 2 shown]
	v_cvt_f32_i32_sdwa v11, sext(v12) dst_sel:DWORD dst_unused:UNUSED_PAD src0_sel:BYTE_1
	v_cvt_f32_i32_sdwa v10, sext(v12) dst_sel:DWORD dst_unused:UNUSED_PAD src0_sel:BYTE_0
	v_cvt_f32_i32_sdwa v67, sext(v12) dst_sel:DWORD dst_unused:UNUSED_PAD src0_sel:BYTE_3
	v_cvt_f32_i32_sdwa v66, sext(v12) dst_sel:DWORD dst_unused:UNUSED_PAD src0_sel:BYTE_2
	v_cvt_f32_i32_sdwa v69, sext(v13) dst_sel:DWORD dst_unused:UNUSED_PAD src0_sel:BYTE_1
	v_cvt_f32_i32_sdwa v68, sext(v13) dst_sel:DWORD dst_unused:UNUSED_PAD src0_sel:BYTE_0
	v_cvt_f32_i32_sdwa v71, sext(v14) dst_sel:DWORD dst_unused:UNUSED_PAD src0_sel:BYTE_1
	v_cvt_f32_i32_sdwa v70, sext(v14) dst_sel:DWORD dst_unused:UNUSED_PAD src0_sel:BYTE_0
	v_cvt_f32_i32_sdwa v75, sext(v13) dst_sel:DWORD dst_unused:UNUSED_PAD src0_sel:BYTE_3
	v_cvt_f32_i32_sdwa v74, sext(v13) dst_sel:DWORD dst_unused:UNUSED_PAD src0_sel:BYTE_2
	v_cvt_f32_i32_sdwa v13, sext(v14) dst_sel:DWORD dst_unused:UNUSED_PAD src0_sel:BYTE_3
	v_cvt_f32_i32_sdwa v12, sext(v14) dst_sel:DWORD dst_unused:UNUSED_PAD src0_sel:BYTE_2
	v_cvt_f32_i32_sdwa v73, sext(v15) dst_sel:DWORD dst_unused:UNUSED_PAD src0_sel:BYTE_1
	v_cvt_f32_i32_sdwa v72, sext(v15) dst_sel:DWORD dst_unused:UNUSED_PAD src0_sel:BYTE_0
	v_cvt_f32_i32_sdwa v77, sext(v15) dst_sel:DWORD dst_unused:UNUSED_PAD src0_sel:BYTE_3
	v_cvt_f32_i32_sdwa v76, sext(v15) dst_sel:DWORD dst_unused:UNUSED_PAD src0_sel:BYTE_2
	s_waitcnt vmcnt(3)
	v_cvt_f32_i32_sdwa v14, sext(v19) dst_sel:DWORD dst_unused:UNUSED_PAD src0_sel:BYTE_0
	v_cvt_f32_i32_sdwa v78, sext(v19) dst_sel:DWORD dst_unused:UNUSED_PAD src0_sel:BYTE_1
	v_cvt_f32_i32_sdwa v80, sext(v19) dst_sel:DWORD dst_unused:UNUSED_PAD src0_sel:BYTE_2
	v_cvt_f32_i32_sdwa v82, sext(v19) dst_sel:DWORD dst_unused:UNUSED_PAD src0_sel:BYTE_3
	s_waitcnt vmcnt(2)
	v_cvt_f32_i32_sdwa v84, sext(v27) dst_sel:DWORD dst_unused:UNUSED_PAD src0_sel:BYTE_0
	v_pk_fma_f32 v[24:25], v[28:29], v[14:15], v[24:25] op_sel_hi:[1,0,1]
	v_pk_fma_f32 v[14:15], v[30:31], v[14:15], v[22:23] op_sel_hi:[1,0,1]
	v_cvt_f32_i32_sdwa v86, sext(v27) dst_sel:DWORD dst_unused:UNUSED_PAD src0_sel:BYTE_1
	s_waitcnt vmcnt(1)
	v_pk_fma_f32 v[24:25], v[32:33], v[78:79], v[24:25] op_sel_hi:[1,0,1]
	v_pk_fma_f32 v[14:15], v[38:39], v[78:79], v[14:15] op_sel_hi:[1,0,1]
	v_cvt_f32_i32_sdwa v88, sext(v27) dst_sel:DWORD dst_unused:UNUSED_PAD src0_sel:BYTE_2
	s_waitcnt vmcnt(0)
	v_pk_fma_f32 v[24:25], v[34:35], v[80:81], v[24:25] op_sel_hi:[1,0,1]
	v_pk_fma_f32 v[0:1], v[0:1], v[80:81], v[14:15] op_sel_hi:[1,0,1]
	v_cvt_f32_i32_sdwa v90, sext(v27) dst_sel:DWORD dst_unused:UNUSED_PAD src0_sel:BYTE_3
	v_pk_fma_f32 v[14:15], v[36:37], v[82:83], v[24:25] op_sel_hi:[1,0,1]
	v_pk_fma_f32 v[0:1], v[40:41], v[82:83], v[0:1] op_sel_hi:[1,0,1]
	v_cvt_f32_i32_sdwa v28, sext(v79) dst_sel:DWORD dst_unused:UNUSED_PAD src0_sel:BYTE_0
	v_pk_fma_f32 v[2:3], v[2:3], v[84:85], v[14:15] op_sel_hi:[1,0,1]
	v_pk_fma_f32 v[0:1], v[42:43], v[84:85], v[0:1] op_sel_hi:[1,0,1]
	v_cvt_f32_i32_sdwa v22, sext(v79) dst_sel:DWORD dst_unused:UNUSED_PAD src0_sel:BYTE_1
	v_pk_fma_f32 v[2:3], v[44:45], v[86:87], v[2:3] op_sel_hi:[1,0,1]
	v_pk_fma_f32 v[0:1], v[50:51], v[86:87], v[0:1] op_sel_hi:[1,0,1]
	v_cvt_f32_i32_sdwa v30, sext(v79) dst_sel:DWORD dst_unused:UNUSED_PAD src0_sel:BYTE_2
	v_pk_fma_f32 v[2:3], v[46:47], v[88:89], v[2:3] op_sel_hi:[1,0,1]
	v_pk_fma_f32 v[0:1], v[4:5], v[88:89], v[0:1] op_sel_hi:[1,0,1]
	v_cvt_f32_i32_sdwa v92, sext(v79) dst_sel:DWORD dst_unused:UNUSED_PAD src0_sel:BYTE_3
	v_pk_fma_f32 v[2:3], v[48:49], v[90:91], v[2:3] op_sel_hi:[1,0,1]
	v_pk_fma_f32 v[0:1], v[52:53], v[90:91], v[0:1] op_sel_hi:[1,0,1]
	v_cvt_f32_i32_sdwa v32, sext(v81) dst_sel:DWORD dst_unused:UNUSED_PAD src0_sel:BYTE_0
	v_pk_fma_f32 v[2:3], v[6:7], v[28:29], v[2:3] op_sel_hi:[1,0,1]
	v_pk_fma_f32 v[0:1], v[54:55], v[28:29], v[0:1] op_sel_hi:[1,0,1]
	v_cvt_f32_i32_sdwa v38, sext(v81) dst_sel:DWORD dst_unused:UNUSED_PAD src0_sel:BYTE_1
	v_pk_fma_f32 v[2:3], v[56:57], v[22:23], v[2:3] op_sel_hi:[1,0,1]
	v_pk_fma_f32 v[0:1], v[62:63], v[22:23], v[0:1] op_sel_hi:[1,0,1]
	v_cvt_f32_i32_sdwa v78, sext(v81) dst_sel:DWORD dst_unused:UNUSED_PAD src0_sel:BYTE_2
	v_pk_fma_f32 v[2:3], v[58:59], v[30:31], v[2:3] op_sel_hi:[1,0,1]
	v_pk_fma_f32 v[0:1], v[8:9], v[30:31], v[0:1] op_sel_hi:[1,0,1]
	v_cvt_f32_i32_sdwa v34, sext(v81) dst_sel:DWORD dst_unused:UNUSED_PAD src0_sel:BYTE_3
	v_pk_fma_f32 v[2:3], v[60:61], v[92:93], v[2:3] op_sel_hi:[1,0,1]
	v_pk_fma_f32 v[0:1], v[64:65], v[92:93], v[0:1] op_sel_hi:[1,0,1]
	;; [unrolled: 1-line block ×10, first 2 shown]
	s_andn2_b64 exec, exec, s[10:11]
	s_cbranch_execnz .LBB77_33
; %bb.34:
	s_or_b64 exec, exec, s[10:11]
.LBB77_35:
	s_or_b64 exec, exec, s[2:3]
.LBB77_36:
	s_or_b64 exec, exec, s[6:7]
.LBB77_37:
	v_mov_b32_dpp v0, v24 row_shr:1 row_mask:0xf bank_mask:0xf
	v_mov_b32_dpp v1, v25 row_shr:1 row_mask:0xf bank_mask:0xf
	;; [unrolled: 1-line block ×4, first 2 shown]
	v_pk_add_f32 v[0:1], v[24:25], v[0:1]
	v_pk_add_f32 v[4:5], v[22:23], v[4:5]
	v_cmp_eq_u32_e32 vcc, 15, v17
	v_mov_b32_dpp v2, v0 row_shr:2 row_mask:0xf bank_mask:0xf
	v_mov_b32_dpp v3, v1 row_shr:2 row_mask:0xf bank_mask:0xf
	;; [unrolled: 1-line block ×4, first 2 shown]
	v_pk_add_f32 v[0:1], v[0:1], v[2:3]
	v_pk_add_f32 v[4:5], v[4:5], v[6:7]
	s_nop 0
	v_mov_b32_dpp v2, v0 row_shr:4 row_mask:0xf bank_mask:0xe
	v_mov_b32_dpp v3, v1 row_shr:4 row_mask:0xf bank_mask:0xe
	;; [unrolled: 1-line block ×4, first 2 shown]
	v_pk_add_f32 v[0:1], v[0:1], v[2:3]
	v_pk_add_f32 v[4:5], v[4:5], v[6:7]
	s_nop 0
	v_mov_b32_dpp v2, v0 row_shr:8 row_mask:0xf bank_mask:0xc
	v_mov_b32_dpp v3, v1 row_shr:8 row_mask:0xf bank_mask:0xc
	;; [unrolled: 1-line block ×4, first 2 shown]
	s_and_b64 exec, exec, vcc
	s_cbranch_execz .LBB77_10
; %bb.38:
	s_load_dwordx2 s[0:1], s[0:1], 0x50
	v_cmp_eq_f32_e64 s[2:3], s14, 0
	v_pk_add_f32 v[2:3], v[0:1], v[2:3]
	v_pk_add_f32 v[0:1], v[4:5], v[6:7]
	s_and_b64 vcc, exec, s[2:3]
	v_lshlrev_b32_e32 v4, 2, v16
	s_cbranch_vccz .LBB77_40
; %bb.39:
	v_ashrrev_i32_e32 v5, 31, v4
	s_waitcnt lgkmcnt(0)
	v_lshl_add_u64 v[10:11], v[4:5], 2, s[0:1]
	v_pk_mul_f32 v[6:7], s[12:13], v[2:3] op_sel_hi:[0,1]
	v_pk_mul_f32 v[8:9], s[12:13], v[0:1] op_sel_hi:[0,1]
	global_store_dwordx4 v[10:11], v[6:9], off
	s_cbranch_execnz .LBB77_10
	s_branch .LBB77_41
.LBB77_40:
.LBB77_41:
	v_ashrrev_i32_e32 v5, 31, v4
	s_waitcnt lgkmcnt(0)
	v_lshl_add_u64 v[8:9], v[4:5], 2, s[0:1]
	global_load_dwordx4 v[4:7], v[8:9], off
	v_pk_mul_f32 v[2:3], s[12:13], v[2:3] op_sel_hi:[0,1]
	v_pk_mul_f32 v[10:11], s[12:13], v[0:1] op_sel_hi:[0,1]
	s_waitcnt vmcnt(0)
	v_pk_fma_f32 v[0:1], s[14:15], v[4:5], v[2:3] op_sel_hi:[0,1,1]
	v_pk_fma_f32 v[2:3], s[14:15], v[6:7], v[10:11] op_sel_hi:[0,1,1]
	global_store_dwordx4 v[8:9], v[0:3], off
	s_endpgm
	.section	.rodata,"a",@progbits
	.p2align	6, 0x0
	.amdhsa_kernel _ZN9rocsparseL18bsrxmvn_4x4_kernelILj128ELj16EfiiaafEEvT3_20rocsparse_direction_NS_24const_host_device_scalarIT1_EES1_PKS1_PKT2_SA_S7_PKT4_PKT5_S5_PT6_21rocsparse_index_base_b
		.amdhsa_group_segment_fixed_size 0
		.amdhsa_private_segment_fixed_size 0
		.amdhsa_kernarg_size 96
		.amdhsa_user_sgpr_count 2
		.amdhsa_user_sgpr_dispatch_ptr 0
		.amdhsa_user_sgpr_queue_ptr 0
		.amdhsa_user_sgpr_kernarg_segment_ptr 1
		.amdhsa_user_sgpr_dispatch_id 0
		.amdhsa_user_sgpr_kernarg_preload_length 0
		.amdhsa_user_sgpr_kernarg_preload_offset 0
		.amdhsa_user_sgpr_private_segment_size 0
		.amdhsa_uses_dynamic_stack 0
		.amdhsa_enable_private_segment 0
		.amdhsa_system_sgpr_workgroup_id_x 1
		.amdhsa_system_sgpr_workgroup_id_y 0
		.amdhsa_system_sgpr_workgroup_id_z 0
		.amdhsa_system_sgpr_workgroup_info 0
		.amdhsa_system_vgpr_workitem_id 0
		.amdhsa_next_free_vgpr 100
		.amdhsa_next_free_sgpr 22
		.amdhsa_accum_offset 100
		.amdhsa_reserve_vcc 1
		.amdhsa_float_round_mode_32 0
		.amdhsa_float_round_mode_16_64 0
		.amdhsa_float_denorm_mode_32 3
		.amdhsa_float_denorm_mode_16_64 3
		.amdhsa_dx10_clamp 1
		.amdhsa_ieee_mode 1
		.amdhsa_fp16_overflow 0
		.amdhsa_tg_split 0
		.amdhsa_exception_fp_ieee_invalid_op 0
		.amdhsa_exception_fp_denorm_src 0
		.amdhsa_exception_fp_ieee_div_zero 0
		.amdhsa_exception_fp_ieee_overflow 0
		.amdhsa_exception_fp_ieee_underflow 0
		.amdhsa_exception_fp_ieee_inexact 0
		.amdhsa_exception_int_div_zero 0
	.end_amdhsa_kernel
	.section	.text._ZN9rocsparseL18bsrxmvn_4x4_kernelILj128ELj16EfiiaafEEvT3_20rocsparse_direction_NS_24const_host_device_scalarIT1_EES1_PKS1_PKT2_SA_S7_PKT4_PKT5_S5_PT6_21rocsparse_index_base_b,"axG",@progbits,_ZN9rocsparseL18bsrxmvn_4x4_kernelILj128ELj16EfiiaafEEvT3_20rocsparse_direction_NS_24const_host_device_scalarIT1_EES1_PKS1_PKT2_SA_S7_PKT4_PKT5_S5_PT6_21rocsparse_index_base_b,comdat
.Lfunc_end77:
	.size	_ZN9rocsparseL18bsrxmvn_4x4_kernelILj128ELj16EfiiaafEEvT3_20rocsparse_direction_NS_24const_host_device_scalarIT1_EES1_PKS1_PKT2_SA_S7_PKT4_PKT5_S5_PT6_21rocsparse_index_base_b, .Lfunc_end77-_ZN9rocsparseL18bsrxmvn_4x4_kernelILj128ELj16EfiiaafEEvT3_20rocsparse_direction_NS_24const_host_device_scalarIT1_EES1_PKS1_PKT2_SA_S7_PKT4_PKT5_S5_PT6_21rocsparse_index_base_b
                                        ; -- End function
	.set _ZN9rocsparseL18bsrxmvn_4x4_kernelILj128ELj16EfiiaafEEvT3_20rocsparse_direction_NS_24const_host_device_scalarIT1_EES1_PKS1_PKT2_SA_S7_PKT4_PKT5_S5_PT6_21rocsparse_index_base_b.num_vgpr, 100
	.set _ZN9rocsparseL18bsrxmvn_4x4_kernelILj128ELj16EfiiaafEEvT3_20rocsparse_direction_NS_24const_host_device_scalarIT1_EES1_PKS1_PKT2_SA_S7_PKT4_PKT5_S5_PT6_21rocsparse_index_base_b.num_agpr, 0
	.set _ZN9rocsparseL18bsrxmvn_4x4_kernelILj128ELj16EfiiaafEEvT3_20rocsparse_direction_NS_24const_host_device_scalarIT1_EES1_PKS1_PKT2_SA_S7_PKT4_PKT5_S5_PT6_21rocsparse_index_base_b.numbered_sgpr, 22
	.set _ZN9rocsparseL18bsrxmvn_4x4_kernelILj128ELj16EfiiaafEEvT3_20rocsparse_direction_NS_24const_host_device_scalarIT1_EES1_PKS1_PKT2_SA_S7_PKT4_PKT5_S5_PT6_21rocsparse_index_base_b.num_named_barrier, 0
	.set _ZN9rocsparseL18bsrxmvn_4x4_kernelILj128ELj16EfiiaafEEvT3_20rocsparse_direction_NS_24const_host_device_scalarIT1_EES1_PKS1_PKT2_SA_S7_PKT4_PKT5_S5_PT6_21rocsparse_index_base_b.private_seg_size, 0
	.set _ZN9rocsparseL18bsrxmvn_4x4_kernelILj128ELj16EfiiaafEEvT3_20rocsparse_direction_NS_24const_host_device_scalarIT1_EES1_PKS1_PKT2_SA_S7_PKT4_PKT5_S5_PT6_21rocsparse_index_base_b.uses_vcc, 1
	.set _ZN9rocsparseL18bsrxmvn_4x4_kernelILj128ELj16EfiiaafEEvT3_20rocsparse_direction_NS_24const_host_device_scalarIT1_EES1_PKS1_PKT2_SA_S7_PKT4_PKT5_S5_PT6_21rocsparse_index_base_b.uses_flat_scratch, 0
	.set _ZN9rocsparseL18bsrxmvn_4x4_kernelILj128ELj16EfiiaafEEvT3_20rocsparse_direction_NS_24const_host_device_scalarIT1_EES1_PKS1_PKT2_SA_S7_PKT4_PKT5_S5_PT6_21rocsparse_index_base_b.has_dyn_sized_stack, 0
	.set _ZN9rocsparseL18bsrxmvn_4x4_kernelILj128ELj16EfiiaafEEvT3_20rocsparse_direction_NS_24const_host_device_scalarIT1_EES1_PKS1_PKT2_SA_S7_PKT4_PKT5_S5_PT6_21rocsparse_index_base_b.has_recursion, 0
	.set _ZN9rocsparseL18bsrxmvn_4x4_kernelILj128ELj16EfiiaafEEvT3_20rocsparse_direction_NS_24const_host_device_scalarIT1_EES1_PKS1_PKT2_SA_S7_PKT4_PKT5_S5_PT6_21rocsparse_index_base_b.has_indirect_call, 0
	.section	.AMDGPU.csdata,"",@progbits
; Kernel info:
; codeLenInByte = 4088
; TotalNumSgprs: 28
; NumVgprs: 100
; NumAgprs: 0
; TotalNumVgprs: 100
; ScratchSize: 0
; MemoryBound: 0
; FloatMode: 240
; IeeeMode: 1
; LDSByteSize: 0 bytes/workgroup (compile time only)
; SGPRBlocks: 3
; VGPRBlocks: 12
; NumSGPRsForWavesPerEU: 28
; NumVGPRsForWavesPerEU: 100
; AccumOffset: 100
; Occupancy: 4
; WaveLimiterHint : 1
; COMPUTE_PGM_RSRC2:SCRATCH_EN: 0
; COMPUTE_PGM_RSRC2:USER_SGPR: 2
; COMPUTE_PGM_RSRC2:TRAP_HANDLER: 0
; COMPUTE_PGM_RSRC2:TGID_X_EN: 1
; COMPUTE_PGM_RSRC2:TGID_Y_EN: 0
; COMPUTE_PGM_RSRC2:TGID_Z_EN: 0
; COMPUTE_PGM_RSRC2:TIDIG_COMP_CNT: 0
; COMPUTE_PGM_RSRC3_GFX90A:ACCUM_OFFSET: 24
; COMPUTE_PGM_RSRC3_GFX90A:TG_SPLIT: 0
	.section	.text._ZN9rocsparseL18bsrxmvn_4x4_kernelILj128ELj32EfiiaafEEvT3_20rocsparse_direction_NS_24const_host_device_scalarIT1_EES1_PKS1_PKT2_SA_S7_PKT4_PKT5_S5_PT6_21rocsparse_index_base_b,"axG",@progbits,_ZN9rocsparseL18bsrxmvn_4x4_kernelILj128ELj32EfiiaafEEvT3_20rocsparse_direction_NS_24const_host_device_scalarIT1_EES1_PKS1_PKT2_SA_S7_PKT4_PKT5_S5_PT6_21rocsparse_index_base_b,comdat
	.globl	_ZN9rocsparseL18bsrxmvn_4x4_kernelILj128ELj32EfiiaafEEvT3_20rocsparse_direction_NS_24const_host_device_scalarIT1_EES1_PKS1_PKT2_SA_S7_PKT4_PKT5_S5_PT6_21rocsparse_index_base_b ; -- Begin function _ZN9rocsparseL18bsrxmvn_4x4_kernelILj128ELj32EfiiaafEEvT3_20rocsparse_direction_NS_24const_host_device_scalarIT1_EES1_PKS1_PKT2_SA_S7_PKT4_PKT5_S5_PT6_21rocsparse_index_base_b
	.p2align	8
	.type	_ZN9rocsparseL18bsrxmvn_4x4_kernelILj128ELj32EfiiaafEEvT3_20rocsparse_direction_NS_24const_host_device_scalarIT1_EES1_PKS1_PKT2_SA_S7_PKT4_PKT5_S5_PT6_21rocsparse_index_base_b,@function
_ZN9rocsparseL18bsrxmvn_4x4_kernelILj128ELj32EfiiaafEEvT3_20rocsparse_direction_NS_24const_host_device_scalarIT1_EES1_PKS1_PKT2_SA_S7_PKT4_PKT5_S5_PT6_21rocsparse_index_base_b: ; @_ZN9rocsparseL18bsrxmvn_4x4_kernelILj128ELj32EfiiaafEEvT3_20rocsparse_direction_NS_24const_host_device_scalarIT1_EES1_PKS1_PKT2_SA_S7_PKT4_PKT5_S5_PT6_21rocsparse_index_base_b
; %bb.0:
	s_load_dwordx2 s[16:17], s[0:1], 0x58
	s_load_dwordx2 s[12:13], s[0:1], 0x8
	;; [unrolled: 1-line block ×3, first 2 shown]
	s_waitcnt lgkmcnt(0)
	s_bitcmp1_b32 s17, 0
	s_cselect_b64 s[6:7], -1, 0
	s_xor_b64 s[4:5], s[6:7], -1
	s_and_b64 vcc, exec, s[6:7]
	s_cbranch_vccnz .LBB78_2
; %bb.1:
	s_load_dword s12, s[12:13], 0x0
.LBB78_2:
	s_andn2_b64 vcc, exec, s[4:5]
	s_cbranch_vccnz .LBB78_4
; %bb.3:
	s_load_dword s14, s[14:15], 0x0
.LBB78_4:
	s_waitcnt lgkmcnt(0)
	v_cmp_neq_f32_e64 s[4:5], s12, 0
	v_cmp_neq_f32_e64 s[6:7], s14, 1.0
	s_or_b64 s[4:5], s[4:5], s[6:7]
	s_andn2_b64 vcc, exec, s[4:5]
	s_cbranch_vccnz .LBB78_10
; %bb.5:
	s_load_dwordx2 s[4:5], s[0:1], 0x18
	s_load_dwordx2 s[18:19], s[0:1], 0x0
	v_lshrrev_b32_e32 v1, 5, v0
	v_lshl_or_b32 v4, s2, 2, v1
	s_mov_b64 s[2:3], 0
	s_waitcnt lgkmcnt(0)
	s_cmp_lg_u64 s[4:5], 0
	s_cbranch_scc0 .LBB78_11
; %bb.6:
	s_load_dword s6, s[0:1], 0x10
                                        ; implicit-def: $vgpr1
	s_waitcnt lgkmcnt(0)
	v_cmp_gt_i32_e32 vcc, s6, v4
	s_and_saveexec_b64 s[6:7], vcc
	s_xor_b64 s[6:7], exec, s[6:7]
	s_cbranch_execz .LBB78_8
; %bb.7:
	v_ashrrev_i32_e32 v5, 31, v4
	v_lshl_add_u64 v[2:3], v[4:5], 2, s[4:5]
	global_load_dword v1, v[2:3], off
	s_mov_b64 s[2:3], exec
	s_waitcnt vmcnt(0)
	v_subrev_u32_e32 v1, s16, v1
.LBB78_8:
	s_or_b64 exec, exec, s[6:7]
	s_branch .LBB78_12
.LBB78_9:
	v_cmp_gt_i32_e32 vcc, s18, v4
	s_andn2_b64 s[2:3], s[2:3], exec
	s_and_b64 s[4:5], vcc, exec
	s_or_b64 s[2:3], s[2:3], s[4:5]
	s_and_saveexec_b64 s[4:5], s[2:3]
	s_cbranch_execnz .LBB78_13
.LBB78_10:
	s_endpgm
.LBB78_11:
                                        ; implicit-def: $vgpr1
	s_cbranch_execnz .LBB78_9
.LBB78_12:
	v_mov_b32_e32 v4, v1
	s_and_saveexec_b64 s[4:5], s[2:3]
	s_cbranch_execz .LBB78_10
.LBB78_13:
	s_load_dwordx8 s[4:11], s[0:1], 0x20
	v_ashrrev_i32_e32 v5, 31, v4
	v_lshlrev_b64 v[2:3], 2, v[4:5]
	v_and_b32_e32 v5, 31, v0
	s_waitcnt lgkmcnt(0)
	v_lshl_add_u64 v[6:7], s[4:5], 0, v[2:3]
	s_cmp_eq_u64 s[6:7], 0
	global_load_dword v19, v[6:7], off
	v_lshl_add_u64 v[6:7], v[6:7], 0, 4
	v_lshl_add_u64 v[2:3], s[6:7], 0, v[2:3]
	s_cselect_b64 vcc, -1, 0
	v_cndmask_b32_e32 v3, v3, v7, vcc
	v_cndmask_b32_e32 v2, v2, v6, vcc
	global_load_dword v1, v[2:3], off
	s_load_dwordx2 s[4:5], s[0:1], 0x40
	s_cmp_eq_u32 s19, 1
	s_waitcnt vmcnt(1)
	v_subrev_u32_e32 v0, s16, v19
	v_add_u32_e32 v6, v0, v5
	v_ashrrev_i32_e32 v7, 31, v6
	v_lshl_add_u64 v[8:9], v[6:7], 4, s[10:11]
	s_waitcnt vmcnt(0)
	v_subrev_u32_e32 v18, s16, v1
	v_cmp_lt_i32_e64 s[2:3], v6, v18
	s_cbranch_scc1 .LBB78_25
; %bb.14:
	v_mov_b32_e32 v11, 0
	v_mov_b32_e32 v10, 0
	;; [unrolled: 1-line block ×4, first 2 shown]
	s_and_saveexec_b64 s[6:7], s[2:3]
	s_cbranch_execz .LBB78_24
; %bb.15:
	v_add_u32_e32 v0, v19, v5
	v_subrev_u32_e32 v0, s16, v0
	v_add_u32_e32 v0, 32, v0
	v_max_i32_e32 v0, v0, v18
	v_not_b32_e32 v1, v19
	v_add3_u32 v0, s16, v0, v1
	v_sub_u32_e32 v0, v0, v5
	s_movk_i32 s10, 0x60
	v_and_b32_e32 v1, 0x60, v0
	v_mov_b32_e32 v12, 0
	v_cmp_ne_u32_e32 vcc, s10, v1
	v_mov_b32_e32 v13, v12
	v_mov_b32_e32 v10, v12
	;; [unrolled: 1-line block ×4, first 2 shown]
	v_mov_b64_e32 v[16:17], v[8:9]
	s_and_saveexec_b64 s[10:11], vcc
	s_cbranch_execz .LBB78_19
; %bb.16:
	v_lshrrev_b32_e32 v1, 5, v0
	v_add_u32_e32 v1, 1, v1
	v_and_b32_e32 v1, 3, v1
	v_mov_b32_e32 v11, 0
	v_sub_u32_e32 v1, 0, v1
	s_mov_b64 s[18:19], 0
	s_mov_b64 s[20:21], 0x200
	v_mov_b64_e32 v[16:17], v[8:9]
	v_mov_b32_e32 v14, v6
	v_mov_b32_e32 v10, v11
	v_mov_b32_e32 v13, v11
	v_mov_b32_e32 v12, v11
.LBB78_17:                              ; =>This Inner Loop Header: Depth=1
	v_ashrrev_i32_e32 v15, 31, v14
	v_lshl_add_u64 v[2:3], v[14:15], 2, s[8:9]
	global_load_dword v7, v[2:3], off
	global_load_dwordx4 v[20:23], v[16:17], off
	v_add_co_u32_e32 v1, vcc, 1, v1
	v_lshl_add_u64 v[16:17], v[16:17], 0, s[20:21]
	v_add_u32_e32 v14, 32, v14
	s_or_b64 s[18:19], vcc, s[18:19]
	s_waitcnt vmcnt(1)
	v_subrev_u32_e32 v2, s16, v7
	v_lshlrev_b32_e32 v2, 2, v2
	v_ashrrev_i32_e32 v3, 31, v2
	s_waitcnt lgkmcnt(0)
	v_lshl_add_u64 v[2:3], s[4:5], 0, v[2:3]
	global_load_dword v7, v[2:3], off
	s_waitcnt vmcnt(1)
	v_cvt_f32_i32_sdwa v15, sext(v20) dst_sel:DWORD dst_unused:UNUSED_PAD src0_sel:BYTE_0
	v_cvt_f32_i32_sdwa v31, sext(v21) dst_sel:DWORD dst_unused:UNUSED_PAD src0_sel:BYTE_0
	;; [unrolled: 1-line block ×4, first 2 shown]
	v_cvt_f32_i32_sdwa v2, sext(v20) dst_sel:DWORD dst_unused:UNUSED_PAD src0_sel:BYTE_1
	v_cvt_f32_i32_sdwa v3, sext(v21) dst_sel:DWORD dst_unused:UNUSED_PAD src0_sel:BYTE_1
	;; [unrolled: 1-line block ×4, first 2 shown]
	v_cvt_f32_i32_sdwa v25, sext(v21) dst_sel:DWORD dst_unused:UNUSED_PAD src0_sel:BYTE_2
	v_cvt_f32_i32_sdwa v24, sext(v20) dst_sel:DWORD dst_unused:UNUSED_PAD src0_sel:BYTE_2
	;; [unrolled: 1-line block ×4, first 2 shown]
	v_cvt_f32_i32_sdwa v21, sext(v21) dst_sel:DWORD dst_unused:UNUSED_PAD src0_sel:BYTE_3
	v_cvt_f32_i32_sdwa v20, sext(v20) dst_sel:DWORD dst_unused:UNUSED_PAD src0_sel:BYTE_3
	;; [unrolled: 1-line block ×4, first 2 shown]
	s_waitcnt vmcnt(0)
	v_cvt_f32_i32_sdwa v36, sext(v7) dst_sel:DWORD dst_unused:UNUSED_PAD src0_sel:BYTE_0
	v_cvt_f32_i32_sdwa v30, sext(v7) dst_sel:DWORD dst_unused:UNUSED_PAD src0_sel:BYTE_1
	v_cvt_f32_i32_sdwa v32, sext(v7) dst_sel:DWORD dst_unused:UNUSED_PAD src0_sel:BYTE_2
	v_cvt_f32_i32_sdwa v34, sext(v7) dst_sel:DWORD dst_unused:UNUSED_PAD src0_sel:BYTE_3
	v_fmac_f32_e32 v12, v15, v36
	v_fmac_f32_e32 v13, v31, v36
	;; [unrolled: 1-line block ×4, first 2 shown]
	v_pk_fma_f32 v[2:3], v[2:3], v[30:31], v[12:13] op_sel_hi:[1,0,1]
	v_pk_fma_f32 v[10:11], v[26:27], v[30:31], v[10:11] op_sel_hi:[1,0,1]
	;; [unrolled: 1-line block ×6, first 2 shown]
	s_andn2_b64 exec, exec, s[18:19]
	s_cbranch_execnz .LBB78_17
; %bb.18:
	s_or_b64 exec, exec, s[18:19]
.LBB78_19:
	s_or_b64 exec, exec, s[10:11]
	s_movk_i32 s10, 0x5f
	v_cmp_lt_u32_e32 vcc, s10, v0
	s_and_saveexec_b64 s[10:11], vcc
	s_cbranch_execz .LBB78_23
; %bb.20:
	s_mov_b64 s[18:19], 0
	s_mov_b64 s[20:21], 0x800
.LBB78_21:                              ; =>This Inner Loop Header: Depth=1
	v_ashrrev_i32_e32 v15, 31, v14
	v_lshl_add_u64 v[32:33], v[14:15], 2, s[8:9]
	global_load_dwordx4 v[0:3], v[16:17], off
	global_load_dwordx4 v[20:23], v[16:17], off offset:512
	global_load_dwordx4 v[24:27], v[16:17], off offset:1024
	;; [unrolled: 1-line block ×3, first 2 shown]
	global_load_dword v7, v[32:33], off
	global_load_dword v15, v[32:33], off offset:128
	global_load_dword v48, v[32:33], off offset:256
	global_load_dword v49, v[32:33], off offset:384
	v_add_u32_e32 v14, 0x80, v14
	v_cmp_ge_i32_e32 vcc, v14, v18
	v_lshl_add_u64 v[16:17], v[16:17], 0, s[20:21]
	s_or_b64 s[18:19], vcc, s[18:19]
	s_waitcnt vmcnt(3)
	v_subrev_u32_e32 v7, s16, v7
	s_waitcnt vmcnt(2)
	v_subrev_u32_e32 v15, s16, v15
	;; [unrolled: 2-line block ×4, first 2 shown]
	v_lshlrev_b32_e32 v48, 2, v7
	v_lshlrev_b32_e32 v50, 2, v15
	;; [unrolled: 1-line block ×4, first 2 shown]
	v_ashrrev_i32_e32 v49, 31, v48
	v_ashrrev_i32_e32 v51, 31, v50
	;; [unrolled: 1-line block ×4, first 2 shown]
	s_waitcnt lgkmcnt(0)
	v_lshl_add_u64 v[48:49], s[4:5], 0, v[48:49]
	v_lshl_add_u64 v[50:51], s[4:5], 0, v[50:51]
	;; [unrolled: 1-line block ×4, first 2 shown]
	global_load_dword v7, v[48:49], off
	global_load_dword v15, v[50:51], off
	;; [unrolled: 1-line block ×4, first 2 shown]
	v_cvt_f32_i32_sdwa v65, sext(v0) dst_sel:DWORD dst_unused:UNUSED_PAD src0_sel:BYTE_0
	v_cvt_f32_i32_sdwa v67, sext(v1) dst_sel:DWORD dst_unused:UNUSED_PAD src0_sel:BYTE_0
	v_cvt_f32_i32_sdwa v69, sext(v2) dst_sel:DWORD dst_unused:UNUSED_PAD src0_sel:BYTE_0
	v_cvt_f32_i32_sdwa v71, sext(v3) dst_sel:DWORD dst_unused:UNUSED_PAD src0_sel:BYTE_0
	v_cvt_f32_i32_sdwa v32, sext(v0) dst_sel:DWORD dst_unused:UNUSED_PAD src0_sel:BYTE_1
	v_cvt_f32_i32_sdwa v33, sext(v1) dst_sel:DWORD dst_unused:UNUSED_PAD src0_sel:BYTE_1
	v_cvt_f32_i32_sdwa v36, sext(v2) dst_sel:DWORD dst_unused:UNUSED_PAD src0_sel:BYTE_1
	v_cvt_f32_i32_sdwa v37, sext(v3) dst_sel:DWORD dst_unused:UNUSED_PAD src0_sel:BYTE_1
	v_cvt_f32_i32_sdwa v35, sext(v1) dst_sel:DWORD dst_unused:UNUSED_PAD src0_sel:BYTE_2
	v_cvt_f32_i32_sdwa v34, sext(v0) dst_sel:DWORD dst_unused:UNUSED_PAD src0_sel:BYTE_2
	v_cvt_f32_i32_sdwa v39, sext(v3) dst_sel:DWORD dst_unused:UNUSED_PAD src0_sel:BYTE_2
	v_cvt_f32_i32_sdwa v38, sext(v2) dst_sel:DWORD dst_unused:UNUSED_PAD src0_sel:BYTE_2
	v_cvt_f32_i32_sdwa v1, sext(v1) dst_sel:DWORD dst_unused:UNUSED_PAD src0_sel:BYTE_3
	v_cvt_f32_i32_sdwa v0, sext(v0) dst_sel:DWORD dst_unused:UNUSED_PAD src0_sel:BYTE_3
	v_cvt_f32_i32_sdwa v3, sext(v3) dst_sel:DWORD dst_unused:UNUSED_PAD src0_sel:BYTE_3
	v_cvt_f32_i32_sdwa v2, sext(v2) dst_sel:DWORD dst_unused:UNUSED_PAD src0_sel:BYTE_3
	v_cvt_f32_i32_sdwa v73, sext(v20) dst_sel:DWORD dst_unused:UNUSED_PAD src0_sel:BYTE_0
	v_cvt_f32_i32_sdwa v75, sext(v21) dst_sel:DWORD dst_unused:UNUSED_PAD src0_sel:BYTE_0
	v_cvt_f32_i32_sdwa v77, sext(v22) dst_sel:DWORD dst_unused:UNUSED_PAD src0_sel:BYTE_0
	v_cvt_f32_i32_sdwa v79, sext(v23) dst_sel:DWORD dst_unused:UNUSED_PAD src0_sel:BYTE_0
	v_cvt_f32_i32_sdwa v40, sext(v20) dst_sel:DWORD dst_unused:UNUSED_PAD src0_sel:BYTE_1
	v_cvt_f32_i32_sdwa v41, sext(v21) dst_sel:DWORD dst_unused:UNUSED_PAD src0_sel:BYTE_1
	v_cvt_f32_i32_sdwa v44, sext(v22) dst_sel:DWORD dst_unused:UNUSED_PAD src0_sel:BYTE_1
	v_cvt_f32_i32_sdwa v45, sext(v23) dst_sel:DWORD dst_unused:UNUSED_PAD src0_sel:BYTE_1
	v_cvt_f32_i32_sdwa v43, sext(v21) dst_sel:DWORD dst_unused:UNUSED_PAD src0_sel:BYTE_2
	v_cvt_f32_i32_sdwa v42, sext(v20) dst_sel:DWORD dst_unused:UNUSED_PAD src0_sel:BYTE_2
	v_cvt_f32_i32_sdwa v47, sext(v23) dst_sel:DWORD dst_unused:UNUSED_PAD src0_sel:BYTE_2
	v_cvt_f32_i32_sdwa v46, sext(v22) dst_sel:DWORD dst_unused:UNUSED_PAD src0_sel:BYTE_2
	v_cvt_f32_i32_sdwa v21, sext(v21) dst_sel:DWORD dst_unused:UNUSED_PAD src0_sel:BYTE_3
	v_cvt_f32_i32_sdwa v20, sext(v20) dst_sel:DWORD dst_unused:UNUSED_PAD src0_sel:BYTE_3
	v_cvt_f32_i32_sdwa v23, sext(v23) dst_sel:DWORD dst_unused:UNUSED_PAD src0_sel:BYTE_3
	v_cvt_f32_i32_sdwa v22, sext(v22) dst_sel:DWORD dst_unused:UNUSED_PAD src0_sel:BYTE_3
	;; [unrolled: 16-line block ×4, first 2 shown]
	s_waitcnt vmcnt(3)
	v_cvt_f32_i32_sdwa v90, sext(v7) dst_sel:DWORD dst_unused:UNUSED_PAD src0_sel:BYTE_0
	v_cvt_f32_i32_sdwa v64, sext(v7) dst_sel:DWORD dst_unused:UNUSED_PAD src0_sel:BYTE_1
	v_cvt_f32_i32_sdwa v66, sext(v7) dst_sel:DWORD dst_unused:UNUSED_PAD src0_sel:BYTE_2
	v_cvt_f32_i32_sdwa v68, sext(v7) dst_sel:DWORD dst_unused:UNUSED_PAD src0_sel:BYTE_3
	v_fmac_f32_e32 v12, v65, v90
	s_waitcnt vmcnt(0)
	v_cvt_f32_i32_sdwa v65, sext(v82) dst_sel:DWORD dst_unused:UNUSED_PAD src0_sel:BYTE_0
	v_cvt_f32_i32_sdwa v7, sext(v15) dst_sel:DWORD dst_unused:UNUSED_PAD src0_sel:BYTE_0
	v_fmac_f32_e32 v13, v67, v90
	v_fmac_f32_e32 v10, v69, v90
	;; [unrolled: 1-line block ×3, first 2 shown]
	v_cvt_f32_i32_sdwa v70, sext(v15) dst_sel:DWORD dst_unused:UNUSED_PAD src0_sel:BYTE_1
	v_pk_fma_f32 v[12:13], v[32:33], v[64:65], v[12:13] op_sel_hi:[1,0,1]
	v_pk_fma_f32 v[10:11], v[36:37], v[64:65], v[10:11] op_sel_hi:[1,0,1]
	v_cvt_f32_i32_sdwa v72, sext(v15) dst_sel:DWORD dst_unused:UNUSED_PAD src0_sel:BYTE_2
	v_pk_fma_f32 v[12:13], v[34:35], v[66:67], v[12:13] op_sel_hi:[1,0,1]
	v_pk_fma_f32 v[10:11], v[38:39], v[66:67], v[10:11] op_sel_hi:[1,0,1]
	v_cvt_f32_i32_sdwa v74, sext(v15) dst_sel:DWORD dst_unused:UNUSED_PAD src0_sel:BYTE_3
	v_pk_fma_f32 v[0:1], v[0:1], v[68:69], v[12:13] op_sel_hi:[1,0,1]
	v_pk_fma_f32 v[2:3], v[2:3], v[68:69], v[10:11] op_sel_hi:[1,0,1]
	v_cvt_f32_i32_sdwa v15, sext(v80) dst_sel:DWORD dst_unused:UNUSED_PAD src0_sel:BYTE_0
	v_fma_f32 v0, v73, v7, v0
	v_fmac_f32_e32 v1, v75, v7
	v_fma_f32 v2, v77, v7, v2
	v_fmac_f32_e32 v3, v79, v7
	v_cvt_f32_i32_sdwa v76, sext(v80) dst_sel:DWORD dst_unused:UNUSED_PAD src0_sel:BYTE_1
	v_pk_fma_f32 v[0:1], v[40:41], v[70:71], v[0:1] op_sel_hi:[1,0,1]
	v_pk_fma_f32 v[2:3], v[44:45], v[70:71], v[2:3] op_sel_hi:[1,0,1]
	v_cvt_f32_i32_sdwa v78, sext(v80) dst_sel:DWORD dst_unused:UNUSED_PAD src0_sel:BYTE_2
	v_pk_fma_f32 v[0:1], v[42:43], v[72:73], v[0:1] op_sel_hi:[1,0,1]
	v_pk_fma_f32 v[2:3], v[46:47], v[72:73], v[2:3] op_sel_hi:[1,0,1]
	v_cvt_f32_i32_sdwa v80, sext(v80) dst_sel:DWORD dst_unused:UNUSED_PAD src0_sel:BYTE_3
	v_pk_fma_f32 v[0:1], v[20:21], v[74:75], v[0:1] op_sel_hi:[1,0,1]
	v_pk_fma_f32 v[2:3], v[22:23], v[74:75], v[2:3] op_sel_hi:[1,0,1]
	v_fma_f32 v0, v81, v15, v0
	v_fmac_f32_e32 v1, v83, v15
	v_fma_f32 v2, v84, v15, v2
	v_fmac_f32_e32 v3, v85, v15
	v_cvt_f32_i32_sdwa v32, sext(v82) dst_sel:DWORD dst_unused:UNUSED_PAD src0_sel:BYTE_1
	v_pk_fma_f32 v[0:1], v[48:49], v[76:77], v[0:1] op_sel_hi:[1,0,1]
	v_pk_fma_f32 v[2:3], v[52:53], v[76:77], v[2:3] op_sel_hi:[1,0,1]
	v_cvt_f32_i32_sdwa v36, sext(v82) dst_sel:DWORD dst_unused:UNUSED_PAD src0_sel:BYTE_2
	v_pk_fma_f32 v[0:1], v[50:51], v[78:79], v[0:1] op_sel_hi:[1,0,1]
	v_pk_fma_f32 v[2:3], v[54:55], v[78:79], v[2:3] op_sel_hi:[1,0,1]
	v_cvt_f32_i32_sdwa v64, sext(v82) dst_sel:DWORD dst_unused:UNUSED_PAD src0_sel:BYTE_3
	v_pk_fma_f32 v[0:1], v[24:25], v[80:81], v[0:1] op_sel_hi:[1,0,1]
	v_pk_fma_f32 v[2:3], v[26:27], v[80:81], v[2:3] op_sel_hi:[1,0,1]
	v_fma_f32 v0, v86, v65, v0
	v_fmac_f32_e32 v1, v87, v65
	v_fma_f32 v2, v88, v65, v2
	v_fmac_f32_e32 v3, v89, v65
	v_pk_fma_f32 v[0:1], v[56:57], v[32:33], v[0:1] op_sel_hi:[1,0,1]
	v_pk_fma_f32 v[2:3], v[60:61], v[32:33], v[2:3] op_sel_hi:[1,0,1]
	;; [unrolled: 1-line block ×6, first 2 shown]
	s_andn2_b64 exec, exec, s[18:19]
	s_cbranch_execnz .LBB78_21
; %bb.22:
	s_or_b64 exec, exec, s[18:19]
.LBB78_23:
	s_or_b64 exec, exec, s[10:11]
.LBB78_24:
	s_or_b64 exec, exec, s[6:7]
	s_cbranch_execz .LBB78_26
	s_branch .LBB78_37
.LBB78_25:
                                        ; implicit-def: $vgpr11
                                        ; implicit-def: $vgpr13
.LBB78_26:
	v_mov_b32_e32 v11, 0
	v_mov_b32_e32 v10, 0
	;; [unrolled: 1-line block ×4, first 2 shown]
	s_and_saveexec_b64 s[6:7], s[2:3]
	s_cbranch_execz .LBB78_36
; %bb.27:
	v_add_u32_e32 v0, v19, v5
	v_subrev_u32_e32 v0, s16, v0
	v_add_u32_e32 v0, 32, v0
	v_max_i32_e32 v0, v0, v18
	v_not_b32_e32 v1, v19
	v_add3_u32 v0, s16, v0, v1
	v_sub_u32_e32 v0, v0, v5
	v_mov_b32_e32 v10, 0
	s_movk_i32 s2, 0x60
	v_and_b32_e32 v1, 0x60, v0
	v_mov_b32_e32 v11, v10
	v_cmp_ne_u32_e32 vcc, s2, v1
	v_mov_b64_e32 v[12:13], v[10:11]
	s_and_saveexec_b64 s[2:3], vcc
	s_cbranch_execz .LBB78_31
; %bb.28:
	v_lshrrev_b32_e32 v1, 5, v0
	v_add_u32_e32 v1, 1, v1
	v_and_b32_e32 v1, 3, v1
	v_sub_u32_e32 v1, 0, v1
	s_mov_b64 s[10:11], 0
	s_mov_b64 s[18:19], 0x200
	v_mov_b32_e32 v11, v10
	v_mov_b32_e32 v12, v10
	;; [unrolled: 1-line block ×3, first 2 shown]
.LBB78_29:                              ; =>This Inner Loop Header: Depth=1
	v_ashrrev_i32_e32 v7, 31, v6
	v_lshl_add_u64 v[2:3], v[6:7], 2, s[8:9]
	global_load_dword v7, v[2:3], off
	global_load_dwordx4 v[14:17], v[8:9], off
	v_add_co_u32_e32 v1, vcc, 1, v1
	v_lshl_add_u64 v[8:9], v[8:9], 0, s[18:19]
	v_add_u32_e32 v6, 32, v6
	s_or_b64 s[10:11], vcc, s[10:11]
	s_waitcnt vmcnt(1)
	v_subrev_u32_e32 v2, s16, v7
	v_lshlrev_b32_e32 v2, 2, v2
	v_ashrrev_i32_e32 v3, 31, v2
	s_waitcnt lgkmcnt(0)
	v_lshl_add_u64 v[2:3], s[4:5], 0, v[2:3]
	global_load_dword v7, v[2:3], off
	s_waitcnt vmcnt(1)
	v_cvt_f32_i32_sdwa v3, sext(v14) dst_sel:DWORD dst_unused:UNUSED_PAD src0_sel:BYTE_1
	v_cvt_f32_i32_sdwa v2, sext(v14) dst_sel:DWORD dst_unused:UNUSED_PAD src0_sel:BYTE_0
	v_cvt_f32_i32_sdwa v21, sext(v14) dst_sel:DWORD dst_unused:UNUSED_PAD src0_sel:BYTE_3
	v_cvt_f32_i32_sdwa v20, sext(v14) dst_sel:DWORD dst_unused:UNUSED_PAD src0_sel:BYTE_2
	v_cvt_f32_i32_sdwa v23, sext(v15) dst_sel:DWORD dst_unused:UNUSED_PAD src0_sel:BYTE_1
	v_cvt_f32_i32_sdwa v22, sext(v15) dst_sel:DWORD dst_unused:UNUSED_PAD src0_sel:BYTE_0
	v_cvt_f32_i32_sdwa v25, sext(v15) dst_sel:DWORD dst_unused:UNUSED_PAD src0_sel:BYTE_3
	v_cvt_f32_i32_sdwa v24, sext(v15) dst_sel:DWORD dst_unused:UNUSED_PAD src0_sel:BYTE_2
	;; [unrolled: 4-line block ×4, first 2 shown]
	s_waitcnt vmcnt(0)
	v_cvt_f32_i32_sdwa v16, sext(v7) dst_sel:DWORD dst_unused:UNUSED_PAD src0_sel:BYTE_0
	v_cvt_f32_i32_sdwa v32, sext(v7) dst_sel:DWORD dst_unused:UNUSED_PAD src0_sel:BYTE_1
	v_cvt_f32_i32_sdwa v34, sext(v7) dst_sel:DWORD dst_unused:UNUSED_PAD src0_sel:BYTE_2
	v_cvt_f32_i32_sdwa v36, sext(v7) dst_sel:DWORD dst_unused:UNUSED_PAD src0_sel:BYTE_3
	v_pk_fma_f32 v[2:3], v[2:3], v[16:17], v[12:13] op_sel_hi:[1,0,1]
	v_pk_fma_f32 v[10:11], v[20:21], v[16:17], v[10:11] op_sel_hi:[1,0,1]
	;; [unrolled: 1-line block ×8, first 2 shown]
	s_andn2_b64 exec, exec, s[10:11]
	s_cbranch_execnz .LBB78_29
; %bb.30:
	s_or_b64 exec, exec, s[10:11]
.LBB78_31:
	s_or_b64 exec, exec, s[2:3]
	s_movk_i32 s2, 0x5f
	v_cmp_lt_u32_e32 vcc, s2, v0
	s_and_saveexec_b64 s[2:3], vcc
	s_cbranch_execz .LBB78_35
; %bb.32:
	s_mov_b64 s[10:11], 0
	s_mov_b64 s[18:19], 0x800
.LBB78_33:                              ; =>This Inner Loop Header: Depth=1
	global_load_dwordx4 v[0:3], v[8:9], off
	global_load_dwordx4 v[14:17], v[8:9], off offset:512
	global_load_dwordx4 v[20:23], v[8:9], off offset:1024
	;; [unrolled: 1-line block ×3, first 2 shown]
	v_ashrrev_i32_e32 v7, 31, v6
	v_lshl_add_u64 v[8:9], v[8:9], 0, s[18:19]
	s_waitcnt vmcnt(3)
	v_cvt_f32_i32_sdwa v29, sext(v0) dst_sel:DWORD dst_unused:UNUSED_PAD src0_sel:BYTE_1
	v_cvt_f32_i32_sdwa v28, sext(v0) dst_sel:DWORD dst_unused:UNUSED_PAD src0_sel:BYTE_0
	v_cvt_f32_i32_sdwa v31, sext(v0) dst_sel:DWORD dst_unused:UNUSED_PAD src0_sel:BYTE_3
	v_cvt_f32_i32_sdwa v30, sext(v0) dst_sel:DWORD dst_unused:UNUSED_PAD src0_sel:BYTE_2
	v_cvt_f32_i32_sdwa v33, sext(v1) dst_sel:DWORD dst_unused:UNUSED_PAD src0_sel:BYTE_1
	v_cvt_f32_i32_sdwa v32, sext(v1) dst_sel:DWORD dst_unused:UNUSED_PAD src0_sel:BYTE_0
	v_cvt_f32_i32_sdwa v35, sext(v1) dst_sel:DWORD dst_unused:UNUSED_PAD src0_sel:BYTE_3
	v_cvt_f32_i32_sdwa v34, sext(v1) dst_sel:DWORD dst_unused:UNUSED_PAD src0_sel:BYTE_2
	v_cvt_f32_i32_sdwa v1, sext(v2) dst_sel:DWORD dst_unused:UNUSED_PAD src0_sel:BYTE_1
	v_cvt_f32_i32_sdwa v0, sext(v2) dst_sel:DWORD dst_unused:UNUSED_PAD src0_sel:BYTE_0
	v_cvt_f32_i32_sdwa v37, sext(v3) dst_sel:DWORD dst_unused:UNUSED_PAD src0_sel:BYTE_1
	v_cvt_f32_i32_sdwa v36, sext(v3) dst_sel:DWORD dst_unused:UNUSED_PAD src0_sel:BYTE_0
	v_cvt_f32_i32_sdwa v39, sext(v2) dst_sel:DWORD dst_unused:UNUSED_PAD src0_sel:BYTE_3
	v_cvt_f32_i32_sdwa v38, sext(v2) dst_sel:DWORD dst_unused:UNUSED_PAD src0_sel:BYTE_2
	v_cvt_f32_i32_sdwa v41, sext(v3) dst_sel:DWORD dst_unused:UNUSED_PAD src0_sel:BYTE_3
	v_cvt_f32_i32_sdwa v40, sext(v3) dst_sel:DWORD dst_unused:UNUSED_PAD src0_sel:BYTE_2
	s_waitcnt vmcnt(2)
	v_cvt_f32_i32_sdwa v3, sext(v14) dst_sel:DWORD dst_unused:UNUSED_PAD src0_sel:BYTE_1
	v_cvt_f32_i32_sdwa v2, sext(v14) dst_sel:DWORD dst_unused:UNUSED_PAD src0_sel:BYTE_0
	v_cvt_f32_i32_sdwa v43, sext(v14) dst_sel:DWORD dst_unused:UNUSED_PAD src0_sel:BYTE_3
	v_cvt_f32_i32_sdwa v42, sext(v14) dst_sel:DWORD dst_unused:UNUSED_PAD src0_sel:BYTE_2
	v_cvt_f32_i32_sdwa v45, sext(v15) dst_sel:DWORD dst_unused:UNUSED_PAD src0_sel:BYTE_1
	v_cvt_f32_i32_sdwa v44, sext(v15) dst_sel:DWORD dst_unused:UNUSED_PAD src0_sel:BYTE_0
	v_cvt_f32_i32_sdwa v47, sext(v15) dst_sel:DWORD dst_unused:UNUSED_PAD src0_sel:BYTE_3
	v_cvt_f32_i32_sdwa v46, sext(v15) dst_sel:DWORD dst_unused:UNUSED_PAD src0_sel:BYTE_2
	v_cvt_f32_i32_sdwa v15, sext(v16) dst_sel:DWORD dst_unused:UNUSED_PAD src0_sel:BYTE_1
	v_cvt_f32_i32_sdwa v14, sext(v16) dst_sel:DWORD dst_unused:UNUSED_PAD src0_sel:BYTE_0
	v_cvt_f32_i32_sdwa v49, sext(v17) dst_sel:DWORD dst_unused:UNUSED_PAD src0_sel:BYTE_1
	v_cvt_f32_i32_sdwa v48, sext(v17) dst_sel:DWORD dst_unused:UNUSED_PAD src0_sel:BYTE_0
	v_cvt_f32_i32_sdwa v51, sext(v16) dst_sel:DWORD dst_unused:UNUSED_PAD src0_sel:BYTE_3
	v_cvt_f32_i32_sdwa v50, sext(v16) dst_sel:DWORD dst_unused:UNUSED_PAD src0_sel:BYTE_2
	v_cvt_f32_i32_sdwa v53, sext(v17) dst_sel:DWORD dst_unused:UNUSED_PAD src0_sel:BYTE_3
	v_cvt_f32_i32_sdwa v52, sext(v17) dst_sel:DWORD dst_unused:UNUSED_PAD src0_sel:BYTE_2
	;; [unrolled: 17-line block ×4, first 2 shown]
	v_lshl_add_u64 v[26:27], v[6:7], 2, s[8:9]
	global_load_dword v7, v[26:27], off
	global_load_dword v19, v[26:27], off offset:128
	global_load_dword v78, v[26:27], off offset:256
	;; [unrolled: 1-line block ×3, first 2 shown]
	v_add_u32_e32 v6, 0x80, v6
	v_cmp_ge_i32_e32 vcc, v6, v18
	s_or_b64 s[10:11], vcc, s[10:11]
	s_waitcnt vmcnt(3)
	v_subrev_u32_e32 v7, s16, v7
	v_lshlrev_b32_e32 v26, 2, v7
	v_ashrrev_i32_e32 v27, 31, v26
	s_waitcnt lgkmcnt(0)
	v_lshl_add_u64 v[26:27], s[4:5], 0, v[26:27]
	s_waitcnt vmcnt(2)
	v_subrev_u32_e32 v19, s16, v19
	global_load_dword v7, v[26:27], off
	v_lshlrev_b32_e32 v26, 2, v19
	v_ashrrev_i32_e32 v27, 31, v26
	v_lshl_add_u64 v[26:27], s[4:5], 0, v[26:27]
	global_load_dword v19, v[26:27], off
	s_waitcnt vmcnt(3)
	v_subrev_u32_e32 v26, s16, v78
	v_lshlrev_b32_e32 v26, 2, v26
	v_ashrrev_i32_e32 v27, 31, v26
	v_lshl_add_u64 v[26:27], s[4:5], 0, v[26:27]
	global_load_dword v78, v[26:27], off
	s_waitcnt vmcnt(3)
	v_subrev_u32_e32 v26, s16, v79
	v_lshlrev_b32_e32 v26, 2, v26
	v_ashrrev_i32_e32 v27, 31, v26
	v_lshl_add_u64 v[26:27], s[4:5], 0, v[26:27]
	global_load_dword v27, v[26:27], off
	s_waitcnt vmcnt(3)
	v_cvt_f32_i32_sdwa v26, sext(v7) dst_sel:DWORD dst_unused:UNUSED_PAD src0_sel:BYTE_0
	s_waitcnt vmcnt(0)
	v_pk_fma_f32 v[12:13], v[28:29], v[26:27], v[12:13] op_sel_hi:[1,0,1]
	v_pk_fma_f32 v[10:11], v[30:31], v[26:27], v[10:11] op_sel_hi:[1,0,1]
	v_cvt_f32_i32_sdwa v26, sext(v7) dst_sel:DWORD dst_unused:UNUSED_PAD src0_sel:BYTE_1
	v_cvt_f32_i32_sdwa v28, sext(v7) dst_sel:DWORD dst_unused:UNUSED_PAD src0_sel:BYTE_2
	v_cvt_f32_i32_sdwa v30, sext(v7) dst_sel:DWORD dst_unused:UNUSED_PAD src0_sel:BYTE_3
	v_pk_fma_f32 v[12:13], v[32:33], v[26:27], v[12:13] op_sel_hi:[1,0,1]
	v_pk_fma_f32 v[10:11], v[34:35], v[26:27], v[10:11] op_sel_hi:[1,0,1]
	v_cvt_f32_i32_sdwa v26, sext(v19) dst_sel:DWORD dst_unused:UNUSED_PAD src0_sel:BYTE_0
	v_cvt_f32_i32_sdwa v32, sext(v19) dst_sel:DWORD dst_unused:UNUSED_PAD src0_sel:BYTE_1
	v_pk_fma_f32 v[0:1], v[0:1], v[28:29], v[12:13] op_sel_hi:[1,0,1]
	v_cvt_f32_i32_sdwa v12, sext(v19) dst_sel:DWORD dst_unused:UNUSED_PAD src0_sel:BYTE_2
	v_pk_fma_f32 v[10:11], v[38:39], v[28:29], v[10:11] op_sel_hi:[1,0,1]
	v_cvt_f32_i32_sdwa v28, sext(v19) dst_sel:DWORD dst_unused:UNUSED_PAD src0_sel:BYTE_3
	v_pk_fma_f32 v[0:1], v[36:37], v[30:31], v[0:1] op_sel_hi:[1,0,1]
	v_pk_fma_f32 v[10:11], v[40:41], v[30:31], v[10:11] op_sel_hi:[1,0,1]
	v_cvt_f32_i32_sdwa v34, sext(v78) dst_sel:DWORD dst_unused:UNUSED_PAD src0_sel:BYTE_0
	v_pk_fma_f32 v[0:1], v[2:3], v[26:27], v[0:1] op_sel_hi:[1,0,1]
	v_pk_fma_f32 v[10:11], v[42:43], v[26:27], v[10:11] op_sel_hi:[1,0,1]
	v_cvt_f32_i32_sdwa v36, sext(v78) dst_sel:DWORD dst_unused:UNUSED_PAD src0_sel:BYTE_1
	v_pk_fma_f32 v[0:1], v[44:45], v[32:33], v[0:1] op_sel_hi:[1,0,1]
	v_pk_fma_f32 v[10:11], v[46:47], v[32:33], v[10:11] op_sel_hi:[1,0,1]
	v_cvt_f32_i32_sdwa v30, sext(v78) dst_sel:DWORD dst_unused:UNUSED_PAD src0_sel:BYTE_2
	v_pk_fma_f32 v[0:1], v[14:15], v[12:13], v[0:1] op_sel_hi:[1,0,1]
	v_pk_fma_f32 v[10:11], v[50:51], v[12:13], v[10:11] op_sel_hi:[1,0,1]
	v_cvt_f32_i32_sdwa v38, sext(v78) dst_sel:DWORD dst_unused:UNUSED_PAD src0_sel:BYTE_3
	v_pk_fma_f32 v[0:1], v[48:49], v[28:29], v[0:1] op_sel_hi:[1,0,1]
	v_pk_fma_f32 v[10:11], v[52:53], v[28:29], v[10:11] op_sel_hi:[1,0,1]
	v_cvt_f32_i32_sdwa v40, sext(v27) dst_sel:DWORD dst_unused:UNUSED_PAD src0_sel:BYTE_0
	v_pk_fma_f32 v[0:1], v[16:17], v[34:35], v[0:1] op_sel_hi:[1,0,1]
	v_pk_fma_f32 v[10:11], v[54:55], v[34:35], v[10:11] op_sel_hi:[1,0,1]
	v_cvt_f32_i32_sdwa v2, sext(v27) dst_sel:DWORD dst_unused:UNUSED_PAD src0_sel:BYTE_1
	v_pk_fma_f32 v[0:1], v[56:57], v[36:37], v[0:1] op_sel_hi:[1,0,1]
	v_pk_fma_f32 v[10:11], v[58:59], v[36:37], v[10:11] op_sel_hi:[1,0,1]
	v_cvt_f32_i32_sdwa v26, sext(v27) dst_sel:DWORD dst_unused:UNUSED_PAD src0_sel:BYTE_2
	v_pk_fma_f32 v[0:1], v[20:21], v[30:31], v[0:1] op_sel_hi:[1,0,1]
	v_pk_fma_f32 v[10:11], v[62:63], v[30:31], v[10:11] op_sel_hi:[1,0,1]
	v_cvt_f32_i32_sdwa v42, sext(v27) dst_sel:DWORD dst_unused:UNUSED_PAD src0_sel:BYTE_3
	v_pk_fma_f32 v[0:1], v[60:61], v[38:39], v[0:1] op_sel_hi:[1,0,1]
	v_pk_fma_f32 v[10:11], v[64:65], v[38:39], v[10:11] op_sel_hi:[1,0,1]
	;; [unrolled: 1-line block ×10, first 2 shown]
	s_andn2_b64 exec, exec, s[10:11]
	s_cbranch_execnz .LBB78_33
; %bb.34:
	s_or_b64 exec, exec, s[10:11]
.LBB78_35:
	s_or_b64 exec, exec, s[2:3]
.LBB78_36:
	s_or_b64 exec, exec, s[6:7]
.LBB78_37:
	v_mov_b32_dpp v0, v12 row_shr:1 row_mask:0xf bank_mask:0xf
	v_mov_b32_dpp v1, v13 row_shr:1 row_mask:0xf bank_mask:0xf
	;; [unrolled: 1-line block ×4, first 2 shown]
	v_pk_add_f32 v[0:1], v[12:13], v[0:1]
	v_pk_add_f32 v[6:7], v[10:11], v[6:7]
	v_cmp_eq_u32_e32 vcc, 31, v5
	v_mov_b32_dpp v2, v0 row_shr:2 row_mask:0xf bank_mask:0xf
	v_mov_b32_dpp v3, v1 row_shr:2 row_mask:0xf bank_mask:0xf
	v_mov_b32_dpp v8, v6 row_shr:2 row_mask:0xf bank_mask:0xf
	v_mov_b32_dpp v9, v7 row_shr:2 row_mask:0xf bank_mask:0xf
	v_pk_add_f32 v[0:1], v[0:1], v[2:3]
	v_pk_add_f32 v[6:7], v[6:7], v[8:9]
	s_nop 0
	v_mov_b32_dpp v2, v0 row_shr:4 row_mask:0xf bank_mask:0xe
	v_mov_b32_dpp v3, v1 row_shr:4 row_mask:0xf bank_mask:0xe
	v_mov_b32_dpp v8, v6 row_shr:4 row_mask:0xf bank_mask:0xe
	v_mov_b32_dpp v9, v7 row_shr:4 row_mask:0xf bank_mask:0xe
	v_pk_add_f32 v[0:1], v[0:1], v[2:3]
	v_pk_add_f32 v[6:7], v[6:7], v[8:9]
	s_nop 0
	;; [unrolled: 7-line block ×3, first 2 shown]
	v_mov_b32_dpp v2, v0 row_bcast:15 row_mask:0xa bank_mask:0xf
	v_mov_b32_dpp v3, v1 row_bcast:15 row_mask:0xa bank_mask:0xf
	;; [unrolled: 1-line block ×4, first 2 shown]
	s_and_b64 exec, exec, vcc
	s_cbranch_execz .LBB78_10
; %bb.38:
	s_load_dwordx2 s[0:1], s[0:1], 0x50
	v_cmp_eq_f32_e64 s[2:3], s14, 0
	v_pk_add_f32 v[2:3], v[0:1], v[2:3]
	v_pk_add_f32 v[0:1], v[6:7], v[8:9]
	s_and_b64 vcc, exec, s[2:3]
	v_lshlrev_b32_e32 v4, 2, v4
	s_cbranch_vccz .LBB78_40
; %bb.39:
	v_ashrrev_i32_e32 v5, 31, v4
	s_waitcnt lgkmcnt(0)
	v_lshl_add_u64 v[10:11], v[4:5], 2, s[0:1]
	v_pk_mul_f32 v[6:7], s[12:13], v[2:3] op_sel_hi:[0,1]
	v_pk_mul_f32 v[8:9], s[12:13], v[0:1] op_sel_hi:[0,1]
	global_store_dwordx4 v[10:11], v[6:9], off
	s_cbranch_execnz .LBB78_10
	s_branch .LBB78_41
.LBB78_40:
.LBB78_41:
	v_ashrrev_i32_e32 v5, 31, v4
	s_waitcnt lgkmcnt(0)
	v_lshl_add_u64 v[8:9], v[4:5], 2, s[0:1]
	global_load_dwordx4 v[4:7], v[8:9], off
	v_pk_mul_f32 v[2:3], s[12:13], v[2:3] op_sel_hi:[0,1]
	v_pk_mul_f32 v[10:11], s[12:13], v[0:1] op_sel_hi:[0,1]
	s_waitcnt vmcnt(0)
	v_pk_fma_f32 v[0:1], s[14:15], v[4:5], v[2:3] op_sel_hi:[0,1,1]
	v_pk_fma_f32 v[2:3], s[14:15], v[6:7], v[10:11] op_sel_hi:[0,1,1]
	global_store_dwordx4 v[8:9], v[0:3], off
	s_endpgm
	.section	.rodata,"a",@progbits
	.p2align	6, 0x0
	.amdhsa_kernel _ZN9rocsparseL18bsrxmvn_4x4_kernelILj128ELj32EfiiaafEEvT3_20rocsparse_direction_NS_24const_host_device_scalarIT1_EES1_PKS1_PKT2_SA_S7_PKT4_PKT5_S5_PT6_21rocsparse_index_base_b
		.amdhsa_group_segment_fixed_size 0
		.amdhsa_private_segment_fixed_size 0
		.amdhsa_kernarg_size 96
		.amdhsa_user_sgpr_count 2
		.amdhsa_user_sgpr_dispatch_ptr 0
		.amdhsa_user_sgpr_queue_ptr 0
		.amdhsa_user_sgpr_kernarg_segment_ptr 1
		.amdhsa_user_sgpr_dispatch_id 0
		.amdhsa_user_sgpr_kernarg_preload_length 0
		.amdhsa_user_sgpr_kernarg_preload_offset 0
		.amdhsa_user_sgpr_private_segment_size 0
		.amdhsa_uses_dynamic_stack 0
		.amdhsa_enable_private_segment 0
		.amdhsa_system_sgpr_workgroup_id_x 1
		.amdhsa_system_sgpr_workgroup_id_y 0
		.amdhsa_system_sgpr_workgroup_id_z 0
		.amdhsa_system_sgpr_workgroup_info 0
		.amdhsa_system_vgpr_workitem_id 0
		.amdhsa_next_free_vgpr 91
		.amdhsa_next_free_sgpr 22
		.amdhsa_accum_offset 92
		.amdhsa_reserve_vcc 1
		.amdhsa_float_round_mode_32 0
		.amdhsa_float_round_mode_16_64 0
		.amdhsa_float_denorm_mode_32 3
		.amdhsa_float_denorm_mode_16_64 3
		.amdhsa_dx10_clamp 1
		.amdhsa_ieee_mode 1
		.amdhsa_fp16_overflow 0
		.amdhsa_tg_split 0
		.amdhsa_exception_fp_ieee_invalid_op 0
		.amdhsa_exception_fp_denorm_src 0
		.amdhsa_exception_fp_ieee_div_zero 0
		.amdhsa_exception_fp_ieee_overflow 0
		.amdhsa_exception_fp_ieee_underflow 0
		.amdhsa_exception_fp_ieee_inexact 0
		.amdhsa_exception_int_div_zero 0
	.end_amdhsa_kernel
	.section	.text._ZN9rocsparseL18bsrxmvn_4x4_kernelILj128ELj32EfiiaafEEvT3_20rocsparse_direction_NS_24const_host_device_scalarIT1_EES1_PKS1_PKT2_SA_S7_PKT4_PKT5_S5_PT6_21rocsparse_index_base_b,"axG",@progbits,_ZN9rocsparseL18bsrxmvn_4x4_kernelILj128ELj32EfiiaafEEvT3_20rocsparse_direction_NS_24const_host_device_scalarIT1_EES1_PKS1_PKT2_SA_S7_PKT4_PKT5_S5_PT6_21rocsparse_index_base_b,comdat
.Lfunc_end78:
	.size	_ZN9rocsparseL18bsrxmvn_4x4_kernelILj128ELj32EfiiaafEEvT3_20rocsparse_direction_NS_24const_host_device_scalarIT1_EES1_PKS1_PKT2_SA_S7_PKT4_PKT5_S5_PT6_21rocsparse_index_base_b, .Lfunc_end78-_ZN9rocsparseL18bsrxmvn_4x4_kernelILj128ELj32EfiiaafEEvT3_20rocsparse_direction_NS_24const_host_device_scalarIT1_EES1_PKS1_PKT2_SA_S7_PKT4_PKT5_S5_PT6_21rocsparse_index_base_b
                                        ; -- End function
	.set _ZN9rocsparseL18bsrxmvn_4x4_kernelILj128ELj32EfiiaafEEvT3_20rocsparse_direction_NS_24const_host_device_scalarIT1_EES1_PKS1_PKT2_SA_S7_PKT4_PKT5_S5_PT6_21rocsparse_index_base_b.num_vgpr, 91
	.set _ZN9rocsparseL18bsrxmvn_4x4_kernelILj128ELj32EfiiaafEEvT3_20rocsparse_direction_NS_24const_host_device_scalarIT1_EES1_PKS1_PKT2_SA_S7_PKT4_PKT5_S5_PT6_21rocsparse_index_base_b.num_agpr, 0
	.set _ZN9rocsparseL18bsrxmvn_4x4_kernelILj128ELj32EfiiaafEEvT3_20rocsparse_direction_NS_24const_host_device_scalarIT1_EES1_PKS1_PKT2_SA_S7_PKT4_PKT5_S5_PT6_21rocsparse_index_base_b.numbered_sgpr, 22
	.set _ZN9rocsparseL18bsrxmvn_4x4_kernelILj128ELj32EfiiaafEEvT3_20rocsparse_direction_NS_24const_host_device_scalarIT1_EES1_PKS1_PKT2_SA_S7_PKT4_PKT5_S5_PT6_21rocsparse_index_base_b.num_named_barrier, 0
	.set _ZN9rocsparseL18bsrxmvn_4x4_kernelILj128ELj32EfiiaafEEvT3_20rocsparse_direction_NS_24const_host_device_scalarIT1_EES1_PKS1_PKT2_SA_S7_PKT4_PKT5_S5_PT6_21rocsparse_index_base_b.private_seg_size, 0
	.set _ZN9rocsparseL18bsrxmvn_4x4_kernelILj128ELj32EfiiaafEEvT3_20rocsparse_direction_NS_24const_host_device_scalarIT1_EES1_PKS1_PKT2_SA_S7_PKT4_PKT5_S5_PT6_21rocsparse_index_base_b.uses_vcc, 1
	.set _ZN9rocsparseL18bsrxmvn_4x4_kernelILj128ELj32EfiiaafEEvT3_20rocsparse_direction_NS_24const_host_device_scalarIT1_EES1_PKS1_PKT2_SA_S7_PKT4_PKT5_S5_PT6_21rocsparse_index_base_b.uses_flat_scratch, 0
	.set _ZN9rocsparseL18bsrxmvn_4x4_kernelILj128ELj32EfiiaafEEvT3_20rocsparse_direction_NS_24const_host_device_scalarIT1_EES1_PKS1_PKT2_SA_S7_PKT4_PKT5_S5_PT6_21rocsparse_index_base_b.has_dyn_sized_stack, 0
	.set _ZN9rocsparseL18bsrxmvn_4x4_kernelILj128ELj32EfiiaafEEvT3_20rocsparse_direction_NS_24const_host_device_scalarIT1_EES1_PKS1_PKT2_SA_S7_PKT4_PKT5_S5_PT6_21rocsparse_index_base_b.has_recursion, 0
	.set _ZN9rocsparseL18bsrxmvn_4x4_kernelILj128ELj32EfiiaafEEvT3_20rocsparse_direction_NS_24const_host_device_scalarIT1_EES1_PKS1_PKT2_SA_S7_PKT4_PKT5_S5_PT6_21rocsparse_index_base_b.has_indirect_call, 0
	.section	.AMDGPU.csdata,"",@progbits
; Kernel info:
; codeLenInByte = 4180
; TotalNumSgprs: 28
; NumVgprs: 91
; NumAgprs: 0
; TotalNumVgprs: 91
; ScratchSize: 0
; MemoryBound: 0
; FloatMode: 240
; IeeeMode: 1
; LDSByteSize: 0 bytes/workgroup (compile time only)
; SGPRBlocks: 3
; VGPRBlocks: 11
; NumSGPRsForWavesPerEU: 28
; NumVGPRsForWavesPerEU: 91
; AccumOffset: 92
; Occupancy: 5
; WaveLimiterHint : 1
; COMPUTE_PGM_RSRC2:SCRATCH_EN: 0
; COMPUTE_PGM_RSRC2:USER_SGPR: 2
; COMPUTE_PGM_RSRC2:TRAP_HANDLER: 0
; COMPUTE_PGM_RSRC2:TGID_X_EN: 1
; COMPUTE_PGM_RSRC2:TGID_Y_EN: 0
; COMPUTE_PGM_RSRC2:TGID_Z_EN: 0
; COMPUTE_PGM_RSRC2:TIDIG_COMP_CNT: 0
; COMPUTE_PGM_RSRC3_GFX90A:ACCUM_OFFSET: 22
; COMPUTE_PGM_RSRC3_GFX90A:TG_SPLIT: 0
	.section	.text._ZN9rocsparseL18bsrxmvn_4x4_kernelILj128ELj64EfiiaafEEvT3_20rocsparse_direction_NS_24const_host_device_scalarIT1_EES1_PKS1_PKT2_SA_S7_PKT4_PKT5_S5_PT6_21rocsparse_index_base_b,"axG",@progbits,_ZN9rocsparseL18bsrxmvn_4x4_kernelILj128ELj64EfiiaafEEvT3_20rocsparse_direction_NS_24const_host_device_scalarIT1_EES1_PKS1_PKT2_SA_S7_PKT4_PKT5_S5_PT6_21rocsparse_index_base_b,comdat
	.globl	_ZN9rocsparseL18bsrxmvn_4x4_kernelILj128ELj64EfiiaafEEvT3_20rocsparse_direction_NS_24const_host_device_scalarIT1_EES1_PKS1_PKT2_SA_S7_PKT4_PKT5_S5_PT6_21rocsparse_index_base_b ; -- Begin function _ZN9rocsparseL18bsrxmvn_4x4_kernelILj128ELj64EfiiaafEEvT3_20rocsparse_direction_NS_24const_host_device_scalarIT1_EES1_PKS1_PKT2_SA_S7_PKT4_PKT5_S5_PT6_21rocsparse_index_base_b
	.p2align	8
	.type	_ZN9rocsparseL18bsrxmvn_4x4_kernelILj128ELj64EfiiaafEEvT3_20rocsparse_direction_NS_24const_host_device_scalarIT1_EES1_PKS1_PKT2_SA_S7_PKT4_PKT5_S5_PT6_21rocsparse_index_base_b,@function
_ZN9rocsparseL18bsrxmvn_4x4_kernelILj128ELj64EfiiaafEEvT3_20rocsparse_direction_NS_24const_host_device_scalarIT1_EES1_PKS1_PKT2_SA_S7_PKT4_PKT5_S5_PT6_21rocsparse_index_base_b: ; @_ZN9rocsparseL18bsrxmvn_4x4_kernelILj128ELj64EfiiaafEEvT3_20rocsparse_direction_NS_24const_host_device_scalarIT1_EES1_PKS1_PKT2_SA_S7_PKT4_PKT5_S5_PT6_21rocsparse_index_base_b
; %bb.0:
	s_load_dwordx2 s[16:17], s[0:1], 0x58
	s_load_dwordx2 s[12:13], s[0:1], 0x8
	;; [unrolled: 1-line block ×3, first 2 shown]
	s_waitcnt lgkmcnt(0)
	s_bitcmp1_b32 s17, 0
	s_cselect_b64 s[6:7], -1, 0
	s_xor_b64 s[4:5], s[6:7], -1
	s_and_b64 vcc, exec, s[6:7]
	s_cbranch_vccnz .LBB79_2
; %bb.1:
	s_load_dword s12, s[12:13], 0x0
.LBB79_2:
	s_andn2_b64 vcc, exec, s[4:5]
	s_cbranch_vccnz .LBB79_4
; %bb.3:
	s_load_dword s14, s[14:15], 0x0
.LBB79_4:
	s_waitcnt lgkmcnt(0)
	v_cmp_neq_f32_e64 s[4:5], s12, 0
	v_cmp_neq_f32_e64 s[6:7], s14, 1.0
	s_or_b64 s[4:5], s[4:5], s[6:7]
	s_andn2_b64 vcc, exec, s[4:5]
	s_cbranch_vccnz .LBB79_10
; %bb.5:
	s_load_dwordx2 s[4:5], s[0:1], 0x18
	s_load_dwordx2 s[18:19], s[0:1], 0x0
	v_lshrrev_b32_e32 v1, 6, v0
	v_lshl_or_b32 v12, s2, 1, v1
	s_mov_b64 s[2:3], 0
	s_waitcnt lgkmcnt(0)
	s_cmp_lg_u64 s[4:5], 0
	s_cbranch_scc0 .LBB79_11
; %bb.6:
	s_load_dword s6, s[0:1], 0x10
                                        ; implicit-def: $vgpr1
	s_waitcnt lgkmcnt(0)
	v_cmp_gt_i32_e32 vcc, s6, v12
	s_and_saveexec_b64 s[6:7], vcc
	s_xor_b64 s[6:7], exec, s[6:7]
	s_cbranch_execz .LBB79_8
; %bb.7:
	v_ashrrev_i32_e32 v13, 31, v12
	v_lshl_add_u64 v[2:3], v[12:13], 2, s[4:5]
	global_load_dword v1, v[2:3], off
	s_mov_b64 s[2:3], exec
	s_waitcnt vmcnt(0)
	v_subrev_u32_e32 v1, s16, v1
.LBB79_8:
	s_or_b64 exec, exec, s[6:7]
	s_branch .LBB79_12
.LBB79_9:
	v_cmp_gt_i32_e32 vcc, s18, v12
	s_andn2_b64 s[2:3], s[2:3], exec
	s_and_b64 s[4:5], vcc, exec
	s_or_b64 s[2:3], s[2:3], s[4:5]
	s_and_saveexec_b64 s[4:5], s[2:3]
	s_cbranch_execnz .LBB79_13
.LBB79_10:
	s_endpgm
.LBB79_11:
                                        ; implicit-def: $vgpr1
	s_cbranch_execnz .LBB79_9
.LBB79_12:
	v_mov_b32_e32 v12, v1
	s_and_saveexec_b64 s[4:5], s[2:3]
	s_cbranch_execz .LBB79_10
.LBB79_13:
	s_load_dwordx8 s[4:11], s[0:1], 0x20
	v_ashrrev_i32_e32 v13, 31, v12
	v_lshlrev_b64 v[2:3], 2, v[12:13]
	v_and_b32_e32 v13, 63, v0
	s_waitcnt lgkmcnt(0)
	v_lshl_add_u64 v[4:5], s[4:5], 0, v[2:3]
	s_cmp_eq_u64 s[6:7], 0
	global_load_dword v8, v[4:5], off
	v_lshl_add_u64 v[4:5], v[4:5], 0, 4
	v_lshl_add_u64 v[2:3], s[6:7], 0, v[2:3]
	s_cselect_b64 vcc, -1, 0
	v_cndmask_b32_e32 v3, v3, v5, vcc
	v_cndmask_b32_e32 v2, v2, v4, vcc
	global_load_dword v1, v[2:3], off
	s_load_dwordx2 s[4:5], s[0:1], 0x40
	s_cmp_eq_u32 s19, 1
	s_waitcnt vmcnt(1)
	v_subrev_u32_e32 v0, s16, v8
	v_add_u32_e32 v14, v0, v13
	v_ashrrev_i32_e32 v15, 31, v14
	v_lshl_add_u64 v[16:17], v[14:15], 4, s[10:11]
	s_waitcnt vmcnt(0)
	v_subrev_u32_e32 v22, s16, v1
	v_cmp_lt_i32_e64 s[2:3], v14, v22
	s_cbranch_scc1 .LBB79_25
; %bb.14:
	v_mov_b32_e32 v19, 0
	v_mov_b32_e32 v18, 0
	;; [unrolled: 1-line block ×4, first 2 shown]
	s_and_saveexec_b64 s[6:7], s[2:3]
	s_cbranch_execz .LBB79_24
; %bb.15:
	v_add_u32_e32 v0, v8, v13
	v_subrev_u32_e32 v0, s16, v0
	v_add_u32_e32 v0, 64, v0
	v_max_i32_e32 v0, v0, v22
	v_not_b32_e32 v1, v8
	v_add3_u32 v0, s16, v0, v1
	v_sub_u32_e32 v0, v0, v13
	s_movk_i32 s10, 0xc0
	v_and_b32_e32 v1, 0xc0, v0
	v_mov_b32_e32 v20, 0
	v_cmp_ne_u32_e32 vcc, s10, v1
	v_mov_b32_e32 v21, v20
	v_mov_b32_e32 v18, v20
	;; [unrolled: 1-line block ×4, first 2 shown]
	v_mov_b64_e32 v[6:7], v[16:17]
	s_and_saveexec_b64 s[10:11], vcc
	s_cbranch_execz .LBB79_19
; %bb.16:
	v_lshrrev_b32_e32 v1, 6, v0
	v_add_u32_e32 v1, 1, v1
	v_and_b32_e32 v1, 3, v1
	v_mov_b32_e32 v19, 0
	v_sub_u32_e32 v1, 0, v1
	s_mov_b64 s[18:19], 0
	s_mov_b64 s[20:21], 0x400
	v_mov_b64_e32 v[6:7], v[16:17]
	v_mov_b32_e32 v4, v14
	v_mov_b32_e32 v18, v19
	;; [unrolled: 1-line block ×4, first 2 shown]
.LBB79_17:                              ; =>This Inner Loop Header: Depth=1
	v_ashrrev_i32_e32 v5, 31, v4
	v_lshl_add_u64 v[2:3], v[4:5], 2, s[8:9]
	global_load_dword v5, v[2:3], off
	global_load_dwordx4 v[24:27], v[6:7], off
	v_add_co_u32_e32 v1, vcc, 1, v1
	v_lshl_add_u64 v[6:7], v[6:7], 0, s[20:21]
	v_add_u32_e32 v4, 64, v4
	s_or_b64 s[18:19], vcc, s[18:19]
	s_waitcnt vmcnt(1)
	v_subrev_u32_e32 v2, s16, v5
	v_lshlrev_b32_e32 v2, 2, v2
	v_ashrrev_i32_e32 v3, 31, v2
	s_waitcnt lgkmcnt(0)
	v_lshl_add_u64 v[2:3], s[4:5], 0, v[2:3]
	global_load_dword v5, v[2:3], off
	s_waitcnt vmcnt(1)
	v_cvt_f32_i32_sdwa v9, sext(v24) dst_sel:DWORD dst_unused:UNUSED_PAD src0_sel:BYTE_0
	v_cvt_f32_i32_sdwa v23, sext(v25) dst_sel:DWORD dst_unused:UNUSED_PAD src0_sel:BYTE_0
	;; [unrolled: 1-line block ×4, first 2 shown]
	v_cvt_f32_i32_sdwa v15, sext(v24) dst_sel:DWORD dst_unused:UNUSED_PAD src0_sel:BYTE_1
	v_cvt_f32_i32_sdwa v29, sext(v25) dst_sel:DWORD dst_unused:UNUSED_PAD src0_sel:BYTE_1
	;; [unrolled: 1-line block ×4, first 2 shown]
	v_cvt_f32_i32_sdwa v2, sext(v24) dst_sel:DWORD dst_unused:UNUSED_PAD src0_sel:BYTE_2
	v_cvt_f32_i32_sdwa v3, sext(v25) dst_sel:DWORD dst_unused:UNUSED_PAD src0_sel:BYTE_2
	v_cvt_f32_i32_sdwa v11, sext(v25) dst_sel:DWORD dst_unused:UNUSED_PAD src0_sel:BYTE_3
	v_cvt_f32_i32_sdwa v10, sext(v24) dst_sel:DWORD dst_unused:UNUSED_PAD src0_sel:BYTE_3
	v_cvt_f32_i32_sdwa v24, sext(v26) dst_sel:DWORD dst_unused:UNUSED_PAD src0_sel:BYTE_2
	v_cvt_f32_i32_sdwa v25, sext(v27) dst_sel:DWORD dst_unused:UNUSED_PAD src0_sel:BYTE_2
	v_cvt_f32_i32_sdwa v27, sext(v27) dst_sel:DWORD dst_unused:UNUSED_PAD src0_sel:BYTE_3
	v_cvt_f32_i32_sdwa v26, sext(v26) dst_sel:DWORD dst_unused:UNUSED_PAD src0_sel:BYTE_3
	s_waitcnt vmcnt(0)
	v_cvt_f32_i32_sdwa v35, sext(v5) dst_sel:DWORD dst_unused:UNUSED_PAD src0_sel:BYTE_0
	v_cvt_f32_i32_sdwa v36, sext(v5) dst_sel:DWORD dst_unused:UNUSED_PAD src0_sel:BYTE_1
	v_cvt_f32_i32_sdwa v28, sext(v5) dst_sel:DWORD dst_unused:UNUSED_PAD src0_sel:BYTE_2
	v_cvt_f32_i32_sdwa v30, sext(v5) dst_sel:DWORD dst_unused:UNUSED_PAD src0_sel:BYTE_3
	v_fmac_f32_e32 v20, v9, v35
	v_fmac_f32_e32 v21, v23, v35
	v_fmac_f32_e32 v18, v31, v35
	v_fmac_f32_e32 v19, v33, v35
	v_fmac_f32_e32 v20, v15, v36
	v_fmac_f32_e32 v21, v29, v36
	v_fmac_f32_e32 v18, v32, v36
	v_fmac_f32_e32 v19, v34, v36
	v_pk_fma_f32 v[2:3], v[2:3], v[28:29], v[20:21] op_sel_hi:[1,0,1]
	v_pk_fma_f32 v[18:19], v[24:25], v[28:29], v[18:19] op_sel_hi:[1,0,1]
	;; [unrolled: 1-line block ×4, first 2 shown]
	s_andn2_b64 exec, exec, s[18:19]
	s_cbranch_execnz .LBB79_17
; %bb.18:
	s_or_b64 exec, exec, s[18:19]
.LBB79_19:
	s_or_b64 exec, exec, s[10:11]
	s_movk_i32 s10, 0xbf
	v_cmp_lt_u32_e32 vcc, s10, v0
	s_and_saveexec_b64 s[10:11], vcc
	s_cbranch_execz .LBB79_23
; %bb.20:
	s_mov_b64 s[18:19], 0
	s_mov_b64 s[20:21], 0x1000
.LBB79_21:                              ; =>This Inner Loop Header: Depth=1
	v_ashrrev_i32_e32 v5, 31, v4
	v_lshl_add_u64 v[10:11], v[4:5], 2, s[8:9]
	global_load_dwordx4 v[0:3], v[6:7], off
	global_load_dwordx4 v[24:27], v[6:7], off offset:1024
	global_load_dwordx4 v[28:31], v[6:7], off offset:2048
	;; [unrolled: 1-line block ×3, first 2 shown]
	global_load_dword v5, v[10:11], off
	global_load_dword v9, v[10:11], off offset:256
	global_load_dword v15, v[10:11], off offset:512
	;; [unrolled: 1-line block ×3, first 2 shown]
	v_add_u32_e32 v4, 0x100, v4
	v_cmp_ge_i32_e32 vcc, v4, v22
	v_lshl_add_u64 v[6:7], v[6:7], 0, s[20:21]
	s_or_b64 s[18:19], vcc, s[18:19]
	s_waitcnt vmcnt(7)
	v_cvt_f32_i32_sdwa v53, sext(v0) dst_sel:DWORD dst_unused:UNUSED_PAD src0_sel:BYTE_0
	s_waitcnt vmcnt(3)
	v_subrev_u32_e32 v5, s16, v5
	s_waitcnt vmcnt(2)
	v_subrev_u32_e32 v9, s16, v9
	;; [unrolled: 2-line block ×4, first 2 shown]
	v_lshlrev_b32_e32 v44, 2, v5
	v_lshlrev_b32_e32 v46, 2, v9
	;; [unrolled: 1-line block ×4, first 2 shown]
	v_ashrrev_i32_e32 v45, 31, v44
	v_ashrrev_i32_e32 v47, 31, v46
	;; [unrolled: 1-line block ×4, first 2 shown]
	s_waitcnt lgkmcnt(0)
	v_lshl_add_u64 v[44:45], s[4:5], 0, v[44:45]
	v_lshl_add_u64 v[46:47], s[4:5], 0, v[46:47]
	;; [unrolled: 1-line block ×4, first 2 shown]
	global_load_dword v5, v[44:45], off
	global_load_dword v9, v[46:47], off
	;; [unrolled: 1-line block ×4, first 2 shown]
	v_cvt_f32_i32_sdwa v57, sext(v1) dst_sel:DWORD dst_unused:UNUSED_PAD src0_sel:BYTE_0
	v_cvt_f32_i32_sdwa v61, sext(v2) dst_sel:DWORD dst_unused:UNUSED_PAD src0_sel:BYTE_0
	;; [unrolled: 1-line block ×3, first 2 shown]
	v_cvt_f32_i32_sdwa v55, sext(v0) dst_sel:DWORD dst_unused:UNUSED_PAD src0_sel:BYTE_1
	v_cvt_f32_i32_sdwa v59, sext(v1) dst_sel:DWORD dst_unused:UNUSED_PAD src0_sel:BYTE_1
	;; [unrolled: 1-line block ×4, first 2 shown]
	v_cvt_f32_i32_sdwa v10, sext(v0) dst_sel:DWORD dst_unused:UNUSED_PAD src0_sel:BYTE_2
	v_cvt_f32_i32_sdwa v11, sext(v1) dst_sel:DWORD dst_unused:UNUSED_PAD src0_sel:BYTE_2
	v_cvt_f32_i32_sdwa v36, sext(v2) dst_sel:DWORD dst_unused:UNUSED_PAD src0_sel:BYTE_2
	v_cvt_f32_i32_sdwa v37, sext(v3) dst_sel:DWORD dst_unused:UNUSED_PAD src0_sel:BYTE_2
	v_cvt_f32_i32_sdwa v51, sext(v30) dst_sel:DWORD dst_unused:UNUSED_PAD src0_sel:BYTE_1
	v_cvt_f32_i32_sdwa v1, sext(v1) dst_sel:DWORD dst_unused:UNUSED_PAD src0_sel:BYTE_3
	v_cvt_f32_i32_sdwa v0, sext(v0) dst_sel:DWORD dst_unused:UNUSED_PAD src0_sel:BYTE_3
	;; [unrolled: 1-line block ×4, first 2 shown]
	v_cvt_f32_i32_sdwa v66, sext(v24) dst_sel:DWORD dst_unused:UNUSED_PAD src0_sel:BYTE_0
	v_cvt_f32_i32_sdwa v68, sext(v25) dst_sel:DWORD dst_unused:UNUSED_PAD src0_sel:BYTE_0
	;; [unrolled: 1-line block ×4, first 2 shown]
	v_cvt_f32_i32_sdwa v67, sext(v24) dst_sel:DWORD dst_unused:UNUSED_PAD src0_sel:BYTE_1
	v_cvt_f32_i32_sdwa v69, sext(v25) dst_sel:DWORD dst_unused:UNUSED_PAD src0_sel:BYTE_1
	;; [unrolled: 1-line block ×4, first 2 shown]
	v_cvt_f32_i32_sdwa v38, sext(v24) dst_sel:DWORD dst_unused:UNUSED_PAD src0_sel:BYTE_2
	v_cvt_f32_i32_sdwa v39, sext(v25) dst_sel:DWORD dst_unused:UNUSED_PAD src0_sel:BYTE_2
	;; [unrolled: 1-line block ×4, first 2 shown]
	v_cvt_f32_i32_sdwa v25, sext(v25) dst_sel:DWORD dst_unused:UNUSED_PAD src0_sel:BYTE_3
	v_cvt_f32_i32_sdwa v24, sext(v24) dst_sel:DWORD dst_unused:UNUSED_PAD src0_sel:BYTE_3
	;; [unrolled: 1-line block ×4, first 2 shown]
	v_cvt_f32_i32_sdwa v74, sext(v28) dst_sel:DWORD dst_unused:UNUSED_PAD src0_sel:BYTE_0
	v_cvt_f32_i32_sdwa v76, sext(v29) dst_sel:DWORD dst_unused:UNUSED_PAD src0_sel:BYTE_0
	;; [unrolled: 1-line block ×4, first 2 shown]
	v_cvt_f32_i32_sdwa v75, sext(v28) dst_sel:DWORD dst_unused:UNUSED_PAD src0_sel:BYTE_1
	v_cvt_f32_i32_sdwa v77, sext(v29) dst_sel:DWORD dst_unused:UNUSED_PAD src0_sel:BYTE_1
	;; [unrolled: 1-line block ×3, first 2 shown]
	v_cvt_f32_i32_sdwa v42, sext(v28) dst_sel:DWORD dst_unused:UNUSED_PAD src0_sel:BYTE_2
	v_cvt_f32_i32_sdwa v43, sext(v29) dst_sel:DWORD dst_unused:UNUSED_PAD src0_sel:BYTE_2
	;; [unrolled: 1-line block ×4, first 2 shown]
	v_cvt_f32_i32_sdwa v29, sext(v29) dst_sel:DWORD dst_unused:UNUSED_PAD src0_sel:BYTE_3
	v_cvt_f32_i32_sdwa v28, sext(v28) dst_sel:DWORD dst_unused:UNUSED_PAD src0_sel:BYTE_3
	;; [unrolled: 1-line block ×4, first 2 shown]
	v_cvt_f32_i32_sdwa v81, sext(v32) dst_sel:DWORD dst_unused:UNUSED_PAD src0_sel:BYTE_0
	v_cvt_f32_i32_sdwa v83, sext(v33) dst_sel:DWORD dst_unused:UNUSED_PAD src0_sel:BYTE_0
	;; [unrolled: 1-line block ×4, first 2 shown]
	v_cvt_f32_i32_sdwa v82, sext(v32) dst_sel:DWORD dst_unused:UNUSED_PAD src0_sel:BYTE_1
	v_cvt_f32_i32_sdwa v84, sext(v33) dst_sel:DWORD dst_unused:UNUSED_PAD src0_sel:BYTE_1
	v_cvt_f32_i32_sdwa v86, sext(v34) dst_sel:DWORD dst_unused:UNUSED_PAD src0_sel:BYTE_1
	v_cvt_f32_i32_sdwa v88, sext(v35) dst_sel:DWORD dst_unused:UNUSED_PAD src0_sel:BYTE_1
	v_cvt_f32_i32_sdwa v46, sext(v32) dst_sel:DWORD dst_unused:UNUSED_PAD src0_sel:BYTE_2
	v_cvt_f32_i32_sdwa v47, sext(v33) dst_sel:DWORD dst_unused:UNUSED_PAD src0_sel:BYTE_2
	;; [unrolled: 1-line block ×4, first 2 shown]
	v_cvt_f32_i32_sdwa v33, sext(v33) dst_sel:DWORD dst_unused:UNUSED_PAD src0_sel:BYTE_3
	v_cvt_f32_i32_sdwa v32, sext(v32) dst_sel:DWORD dst_unused:UNUSED_PAD src0_sel:BYTE_3
	;; [unrolled: 1-line block ×4, first 2 shown]
	s_waitcnt vmcnt(3)
	v_cvt_f32_i32_sdwa v64, sext(v5) dst_sel:DWORD dst_unused:UNUSED_PAD src0_sel:BYTE_0
	v_cvt_f32_i32_sdwa v89, sext(v5) dst_sel:DWORD dst_unused:UNUSED_PAD src0_sel:BYTE_1
	v_cvt_f32_i32_sdwa v50, sext(v5) dst_sel:DWORD dst_unused:UNUSED_PAD src0_sel:BYTE_2
	v_cvt_f32_i32_sdwa v52, sext(v5) dst_sel:DWORD dst_unused:UNUSED_PAD src0_sel:BYTE_3
	v_fmac_f32_e32 v20, v53, v64
	s_waitcnt vmcnt(0)
	v_cvt_f32_i32_sdwa v53, sext(v23) dst_sel:DWORD dst_unused:UNUSED_PAD src0_sel:BYTE_1
	v_cvt_f32_i32_sdwa v5, sext(v9) dst_sel:DWORD dst_unused:UNUSED_PAD src0_sel:BYTE_0
	v_fmac_f32_e32 v21, v57, v64
	v_fmac_f32_e32 v18, v61, v64
	;; [unrolled: 1-line block ×3, first 2 shown]
	v_cvt_f32_i32_sdwa v90, sext(v9) dst_sel:DWORD dst_unused:UNUSED_PAD src0_sel:BYTE_1
	v_fmac_f32_e32 v20, v55, v89
	v_fmac_f32_e32 v21, v59, v89
	;; [unrolled: 1-line block ×4, first 2 shown]
	v_cvt_f32_i32_sdwa v54, sext(v9) dst_sel:DWORD dst_unused:UNUSED_PAD src0_sel:BYTE_2
	v_pk_fma_f32 v[10:11], v[10:11], v[50:51], v[20:21] op_sel_hi:[1,0,1]
	v_pk_fma_f32 v[18:19], v[36:37], v[50:51], v[18:19] op_sel_hi:[1,0,1]
	v_cvt_f32_i32_sdwa v56, sext(v9) dst_sel:DWORD dst_unused:UNUSED_PAD src0_sel:BYTE_3
	v_pk_fma_f32 v[0:1], v[0:1], v[52:53], v[10:11] op_sel_hi:[1,0,1]
	v_pk_fma_f32 v[2:3], v[2:3], v[52:53], v[18:19] op_sel_hi:[1,0,1]
	v_cvt_f32_i32_sdwa v9, sext(v15) dst_sel:DWORD dst_unused:UNUSED_PAD src0_sel:BYTE_0
	v_fma_f32 v0, v66, v5, v0
	v_fmac_f32_e32 v1, v68, v5
	v_fma_f32 v2, v70, v5, v2
	v_fmac_f32_e32 v3, v72, v5
	v_cvt_f32_i32_sdwa v91, sext(v15) dst_sel:DWORD dst_unused:UNUSED_PAD src0_sel:BYTE_1
	v_fmac_f32_e32 v0, v67, v90
	v_fmac_f32_e32 v1, v69, v90
	;; [unrolled: 1-line block ×4, first 2 shown]
	v_cvt_f32_i32_sdwa v58, sext(v15) dst_sel:DWORD dst_unused:UNUSED_PAD src0_sel:BYTE_2
	v_pk_fma_f32 v[0:1], v[38:39], v[54:55], v[0:1] op_sel_hi:[1,0,1]
	v_pk_fma_f32 v[2:3], v[40:41], v[54:55], v[2:3] op_sel_hi:[1,0,1]
	v_cvt_f32_i32_sdwa v60, sext(v15) dst_sel:DWORD dst_unused:UNUSED_PAD src0_sel:BYTE_3
	v_pk_fma_f32 v[0:1], v[24:25], v[56:57], v[0:1] op_sel_hi:[1,0,1]
	v_pk_fma_f32 v[2:3], v[26:27], v[56:57], v[2:3] op_sel_hi:[1,0,1]
	v_cvt_f32_i32_sdwa v15, sext(v23) dst_sel:DWORD dst_unused:UNUSED_PAD src0_sel:BYTE_0
	v_fma_f32 v0, v74, v9, v0
	v_fmac_f32_e32 v1, v76, v9
	v_fma_f32 v2, v78, v9, v2
	v_fmac_f32_e32 v3, v79, v9
	v_fmac_f32_e32 v0, v75, v91
	;; [unrolled: 1-line block ×5, first 2 shown]
	v_cvt_f32_i32_sdwa v62, sext(v23) dst_sel:DWORD dst_unused:UNUSED_PAD src0_sel:BYTE_2
	v_pk_fma_f32 v[0:1], v[42:43], v[58:59], v[0:1] op_sel_hi:[1,0,1]
	v_pk_fma_f32 v[2:3], v[44:45], v[58:59], v[2:3] op_sel_hi:[1,0,1]
	v_cvt_f32_i32_sdwa v64, sext(v23) dst_sel:DWORD dst_unused:UNUSED_PAD src0_sel:BYTE_3
	v_pk_fma_f32 v[0:1], v[28:29], v[60:61], v[0:1] op_sel_hi:[1,0,1]
	v_pk_fma_f32 v[2:3], v[30:31], v[60:61], v[2:3] op_sel_hi:[1,0,1]
	v_fma_f32 v0, v81, v15, v0
	v_fmac_f32_e32 v1, v83, v15
	v_fma_f32 v2, v85, v15, v2
	v_fmac_f32_e32 v3, v87, v15
	v_fmac_f32_e32 v0, v82, v53
	;; [unrolled: 1-line block ×5, first 2 shown]
	v_pk_fma_f32 v[0:1], v[46:47], v[62:63], v[0:1] op_sel_hi:[1,0,1]
	v_pk_fma_f32 v[2:3], v[48:49], v[62:63], v[2:3] op_sel_hi:[1,0,1]
	;; [unrolled: 1-line block ×4, first 2 shown]
	s_andn2_b64 exec, exec, s[18:19]
	s_cbranch_execnz .LBB79_21
; %bb.22:
	s_or_b64 exec, exec, s[18:19]
.LBB79_23:
	s_or_b64 exec, exec, s[10:11]
.LBB79_24:
	s_or_b64 exec, exec, s[6:7]
	s_cbranch_execz .LBB79_26
	s_branch .LBB79_37
.LBB79_25:
                                        ; implicit-def: $vgpr19
                                        ; implicit-def: $vgpr21
.LBB79_26:
	v_mov_b32_e32 v19, 0
	v_mov_b32_e32 v18, 0
	;; [unrolled: 1-line block ×4, first 2 shown]
	s_and_saveexec_b64 s[6:7], s[2:3]
	s_cbranch_execz .LBB79_36
; %bb.27:
	v_add_u32_e32 v0, v8, v13
	v_subrev_u32_e32 v0, s16, v0
	v_add_u32_e32 v0, 64, v0
	v_max_i32_e32 v0, v0, v22
	v_not_b32_e32 v1, v8
	v_add3_u32 v0, s16, v0, v1
	v_sub_u32_e32 v0, v0, v13
	v_mov_b32_e32 v18, 0
	s_movk_i32 s2, 0xc0
	v_and_b32_e32 v1, 0xc0, v0
	v_mov_b32_e32 v19, v18
	v_cmp_ne_u32_e32 vcc, s2, v1
	v_mov_b64_e32 v[20:21], v[18:19]
	s_and_saveexec_b64 s[2:3], vcc
	s_cbranch_execz .LBB79_31
; %bb.28:
	v_lshrrev_b32_e32 v1, 6, v0
	v_add_u32_e32 v1, 1, v1
	v_and_b32_e32 v1, 3, v1
	v_sub_u32_e32 v1, 0, v1
	s_mov_b64 s[10:11], 0
	s_mov_b64 s[18:19], 0x400
	v_mov_b32_e32 v19, v18
	v_mov_b32_e32 v20, v18
	;; [unrolled: 1-line block ×3, first 2 shown]
.LBB79_29:                              ; =>This Inner Loop Header: Depth=1
	v_ashrrev_i32_e32 v15, 31, v14
	v_lshl_add_u64 v[6:7], v[14:15], 2, s[8:9]
	global_load_dword v8, v[6:7], off
	global_load_dwordx4 v[2:5], v[16:17], off
	v_add_co_u32_e32 v1, vcc, 1, v1
	v_lshl_add_u64 v[16:17], v[16:17], 0, s[18:19]
	v_add_u32_e32 v14, 64, v14
	s_or_b64 s[10:11], vcc, s[10:11]
	s_waitcnt vmcnt(1)
	v_subrev_u32_e32 v6, s16, v8
	v_lshlrev_b32_e32 v6, 2, v6
	v_ashrrev_i32_e32 v7, 31, v6
	s_waitcnt lgkmcnt(0)
	v_lshl_add_u64 v[6:7], s[4:5], 0, v[6:7]
	global_load_dword v15, v[6:7], off
	s_waitcnt vmcnt(1)
	v_cvt_f32_i32_sdwa v7, sext(v2) dst_sel:DWORD dst_unused:UNUSED_PAD src0_sel:BYTE_1
	v_cvt_f32_i32_sdwa v6, sext(v2) dst_sel:DWORD dst_unused:UNUSED_PAD src0_sel:BYTE_0
	v_cvt_f32_i32_sdwa v9, sext(v3) dst_sel:DWORD dst_unused:UNUSED_PAD src0_sel:BYTE_1
	v_cvt_f32_i32_sdwa v8, sext(v3) dst_sel:DWORD dst_unused:UNUSED_PAD src0_sel:BYTE_0
	v_cvt_f32_i32_sdwa v11, sext(v2) dst_sel:DWORD dst_unused:UNUSED_PAD src0_sel:BYTE_3
	v_cvt_f32_i32_sdwa v10, sext(v2) dst_sel:DWORD dst_unused:UNUSED_PAD src0_sel:BYTE_2
	v_cvt_f32_i32_sdwa v25, sext(v3) dst_sel:DWORD dst_unused:UNUSED_PAD src0_sel:BYTE_3
	v_cvt_f32_i32_sdwa v24, sext(v3) dst_sel:DWORD dst_unused:UNUSED_PAD src0_sel:BYTE_2
	v_cvt_f32_i32_sdwa v3, sext(v4) dst_sel:DWORD dst_unused:UNUSED_PAD src0_sel:BYTE_1
	v_cvt_f32_i32_sdwa v2, sext(v4) dst_sel:DWORD dst_unused:UNUSED_PAD src0_sel:BYTE_0
	v_cvt_f32_i32_sdwa v27, sext(v4) dst_sel:DWORD dst_unused:UNUSED_PAD src0_sel:BYTE_3
	v_cvt_f32_i32_sdwa v26, sext(v4) dst_sel:DWORD dst_unused:UNUSED_PAD src0_sel:BYTE_2
	v_cvt_f32_i32_sdwa v29, sext(v5) dst_sel:DWORD dst_unused:UNUSED_PAD src0_sel:BYTE_1
	v_cvt_f32_i32_sdwa v28, sext(v5) dst_sel:DWORD dst_unused:UNUSED_PAD src0_sel:BYTE_0
	v_cvt_f32_i32_sdwa v31, sext(v5) dst_sel:DWORD dst_unused:UNUSED_PAD src0_sel:BYTE_3
	v_cvt_f32_i32_sdwa v30, sext(v5) dst_sel:DWORD dst_unused:UNUSED_PAD src0_sel:BYTE_2
	s_waitcnt vmcnt(0)
	v_cvt_f32_i32_sdwa v4, sext(v15) dst_sel:DWORD dst_unused:UNUSED_PAD src0_sel:BYTE_0
	v_cvt_f32_i32_sdwa v32, sext(v15) dst_sel:DWORD dst_unused:UNUSED_PAD src0_sel:BYTE_1
	v_cvt_f32_i32_sdwa v34, sext(v15) dst_sel:DWORD dst_unused:UNUSED_PAD src0_sel:BYTE_2
	v_cvt_f32_i32_sdwa v36, sext(v15) dst_sel:DWORD dst_unused:UNUSED_PAD src0_sel:BYTE_3
	v_pk_fma_f32 v[6:7], v[6:7], v[4:5], v[20:21] op_sel_hi:[1,0,1]
	v_pk_fma_f32 v[4:5], v[10:11], v[4:5], v[18:19] op_sel_hi:[1,0,1]
	;; [unrolled: 1-line block ×8, first 2 shown]
	s_andn2_b64 exec, exec, s[10:11]
	s_cbranch_execnz .LBB79_29
; %bb.30:
	s_or_b64 exec, exec, s[10:11]
.LBB79_31:
	s_or_b64 exec, exec, s[2:3]
	s_movk_i32 s2, 0xbf
	v_cmp_lt_u32_e32 vcc, s2, v0
	s_and_saveexec_b64 s[2:3], vcc
	s_cbranch_execz .LBB79_35
; %bb.32:
	s_mov_b64 s[10:11], 0
	s_mov_b64 s[18:19], 0x1000
.LBB79_33:                              ; =>This Inner Loop Header: Depth=1
	v_ashrrev_i32_e32 v15, 31, v14
	v_lshl_add_u64 v[28:29], v[14:15], 2, s[8:9]
	global_load_dwordx4 v[0:3], v[16:17], off
	global_load_dwordx4 v[4:7], v[16:17], off offset:1024
	global_load_dwordx4 v[8:11], v[16:17], off offset:2048
	global_load_dwordx4 v[24:27], v[16:17], off offset:3072
	global_load_dword v15, v[28:29], off
	global_load_dword v23, v[28:29], off offset:256
	global_load_dword v48, v[28:29], off offset:512
	;; [unrolled: 1-line block ×3, first 2 shown]
	v_add_u32_e32 v14, 0x100, v14
	v_cmp_ge_i32_e32 vcc, v14, v22
	v_lshl_add_u64 v[16:17], v[16:17], 0, s[18:19]
	s_or_b64 s[10:11], vcc, s[10:11]
	s_waitcnt vmcnt(7)
	v_cvt_f32_i32_sdwa v29, sext(v0) dst_sel:DWORD dst_unused:UNUSED_PAD src0_sel:BYTE_1
	v_cvt_f32_i32_sdwa v28, sext(v0) dst_sel:DWORD dst_unused:UNUSED_PAD src0_sel:BYTE_0
	v_cvt_f32_i32_sdwa v31, sext(v1) dst_sel:DWORD dst_unused:UNUSED_PAD src0_sel:BYTE_1
	v_cvt_f32_i32_sdwa v30, sext(v1) dst_sel:DWORD dst_unused:UNUSED_PAD src0_sel:BYTE_0
	v_cvt_f32_i32_sdwa v33, sext(v0) dst_sel:DWORD dst_unused:UNUSED_PAD src0_sel:BYTE_3
	v_cvt_f32_i32_sdwa v32, sext(v0) dst_sel:DWORD dst_unused:UNUSED_PAD src0_sel:BYTE_2
	v_cvt_f32_i32_sdwa v35, sext(v1) dst_sel:DWORD dst_unused:UNUSED_PAD src0_sel:BYTE_3
	v_cvt_f32_i32_sdwa v34, sext(v1) dst_sel:DWORD dst_unused:UNUSED_PAD src0_sel:BYTE_2
	v_cvt_f32_i32_sdwa v1, sext(v2) dst_sel:DWORD dst_unused:UNUSED_PAD src0_sel:BYTE_1
	v_cvt_f32_i32_sdwa v0, sext(v2) dst_sel:DWORD dst_unused:UNUSED_PAD src0_sel:BYTE_0
	v_cvt_f32_i32_sdwa v37, sext(v2) dst_sel:DWORD dst_unused:UNUSED_PAD src0_sel:BYTE_3
	v_cvt_f32_i32_sdwa v36, sext(v2) dst_sel:DWORD dst_unused:UNUSED_PAD src0_sel:BYTE_2
	v_cvt_f32_i32_sdwa v39, sext(v3) dst_sel:DWORD dst_unused:UNUSED_PAD src0_sel:BYTE_1
	v_cvt_f32_i32_sdwa v38, sext(v3) dst_sel:DWORD dst_unused:UNUSED_PAD src0_sel:BYTE_0
	v_cvt_f32_i32_sdwa v41, sext(v3) dst_sel:DWORD dst_unused:UNUSED_PAD src0_sel:BYTE_3
	v_cvt_f32_i32_sdwa v40, sext(v3) dst_sel:DWORD dst_unused:UNUSED_PAD src0_sel:BYTE_2
	s_waitcnt vmcnt(6)
	v_cvt_f32_i32_sdwa v3, sext(v4) dst_sel:DWORD dst_unused:UNUSED_PAD src0_sel:BYTE_1
	v_cvt_f32_i32_sdwa v2, sext(v4) dst_sel:DWORD dst_unused:UNUSED_PAD src0_sel:BYTE_0
	v_cvt_f32_i32_sdwa v45, sext(v4) dst_sel:DWORD dst_unused:UNUSED_PAD src0_sel:BYTE_3
	v_cvt_f32_i32_sdwa v44, sext(v4) dst_sel:DWORD dst_unused:UNUSED_PAD src0_sel:BYTE_2
	s_waitcnt vmcnt(3)
	v_subrev_u32_e32 v4, s16, v15
	s_waitcnt vmcnt(2)
	v_subrev_u32_e32 v15, s16, v23
	;; [unrolled: 2-line block ×4, first 2 shown]
	v_lshlrev_b32_e32 v48, 2, v4
	v_lshlrev_b32_e32 v50, 2, v15
	;; [unrolled: 1-line block ×4, first 2 shown]
	v_ashrrev_i32_e32 v49, 31, v48
	v_ashrrev_i32_e32 v51, 31, v50
	;; [unrolled: 1-line block ×4, first 2 shown]
	s_waitcnt lgkmcnt(0)
	v_lshl_add_u64 v[48:49], s[4:5], 0, v[48:49]
	v_lshl_add_u64 v[50:51], s[4:5], 0, v[50:51]
	;; [unrolled: 1-line block ×4, first 2 shown]
	global_load_dword v15, v[48:49], off
	global_load_dword v23, v[50:51], off
	;; [unrolled: 1-line block ×4, first 2 shown]
	v_cvt_f32_i32_sdwa v43, sext(v5) dst_sel:DWORD dst_unused:UNUSED_PAD src0_sel:BYTE_1
	v_cvt_f32_i32_sdwa v42, sext(v5) dst_sel:DWORD dst_unused:UNUSED_PAD src0_sel:BYTE_0
	v_cvt_f32_i32_sdwa v47, sext(v5) dst_sel:DWORD dst_unused:UNUSED_PAD src0_sel:BYTE_3
	v_cvt_f32_i32_sdwa v46, sext(v5) dst_sel:DWORD dst_unused:UNUSED_PAD src0_sel:BYTE_2
	v_cvt_f32_i32_sdwa v5, sext(v6) dst_sel:DWORD dst_unused:UNUSED_PAD src0_sel:BYTE_1
	v_cvt_f32_i32_sdwa v4, sext(v6) dst_sel:DWORD dst_unused:UNUSED_PAD src0_sel:BYTE_0
	v_cvt_f32_i32_sdwa v49, sext(v6) dst_sel:DWORD dst_unused:UNUSED_PAD src0_sel:BYTE_3
	v_cvt_f32_i32_sdwa v48, sext(v6) dst_sel:DWORD dst_unused:UNUSED_PAD src0_sel:BYTE_2
	;; [unrolled: 4-line block ×3, first 2 shown]
	v_cvt_f32_i32_sdwa v7, sext(v8) dst_sel:DWORD dst_unused:UNUSED_PAD src0_sel:BYTE_1
	v_cvt_f32_i32_sdwa v6, sext(v8) dst_sel:DWORD dst_unused:UNUSED_PAD src0_sel:BYTE_0
	v_cvt_f32_i32_sdwa v55, sext(v9) dst_sel:DWORD dst_unused:UNUSED_PAD src0_sel:BYTE_1
	v_cvt_f32_i32_sdwa v54, sext(v9) dst_sel:DWORD dst_unused:UNUSED_PAD src0_sel:BYTE_0
	v_cvt_f32_i32_sdwa v57, sext(v8) dst_sel:DWORD dst_unused:UNUSED_PAD src0_sel:BYTE_3
	v_cvt_f32_i32_sdwa v56, sext(v8) dst_sel:DWORD dst_unused:UNUSED_PAD src0_sel:BYTE_2
	v_cvt_f32_i32_sdwa v59, sext(v9) dst_sel:DWORD dst_unused:UNUSED_PAD src0_sel:BYTE_3
	v_cvt_f32_i32_sdwa v58, sext(v9) dst_sel:DWORD dst_unused:UNUSED_PAD src0_sel:BYTE_2
	v_cvt_f32_i32_sdwa v9, sext(v10) dst_sel:DWORD dst_unused:UNUSED_PAD src0_sel:BYTE_1
	v_cvt_f32_i32_sdwa v8, sext(v10) dst_sel:DWORD dst_unused:UNUSED_PAD src0_sel:BYTE_0
	v_cvt_f32_i32_sdwa v61, sext(v10) dst_sel:DWORD dst_unused:UNUSED_PAD src0_sel:BYTE_3
	v_cvt_f32_i32_sdwa v60, sext(v10) dst_sel:DWORD dst_unused:UNUSED_PAD src0_sel:BYTE_2
	v_cvt_f32_i32_sdwa v63, sext(v11) dst_sel:DWORD dst_unused:UNUSED_PAD src0_sel:BYTE_1
	v_cvt_f32_i32_sdwa v62, sext(v11) dst_sel:DWORD dst_unused:UNUSED_PAD src0_sel:BYTE_0
	;; [unrolled: 4-line block ×3, first 2 shown]
	v_cvt_f32_i32_sdwa v67, sext(v25) dst_sel:DWORD dst_unused:UNUSED_PAD src0_sel:BYTE_1
	v_cvt_f32_i32_sdwa v66, sext(v25) dst_sel:DWORD dst_unused:UNUSED_PAD src0_sel:BYTE_0
	v_cvt_f32_i32_sdwa v69, sext(v24) dst_sel:DWORD dst_unused:UNUSED_PAD src0_sel:BYTE_3
	v_cvt_f32_i32_sdwa v68, sext(v24) dst_sel:DWORD dst_unused:UNUSED_PAD src0_sel:BYTE_2
	v_cvt_f32_i32_sdwa v71, sext(v25) dst_sel:DWORD dst_unused:UNUSED_PAD src0_sel:BYTE_3
	v_cvt_f32_i32_sdwa v70, sext(v25) dst_sel:DWORD dst_unused:UNUSED_PAD src0_sel:BYTE_2
	v_cvt_f32_i32_sdwa v25, sext(v26) dst_sel:DWORD dst_unused:UNUSED_PAD src0_sel:BYTE_1
	v_cvt_f32_i32_sdwa v24, sext(v26) dst_sel:DWORD dst_unused:UNUSED_PAD src0_sel:BYTE_0
	v_cvt_f32_i32_sdwa v73, sext(v26) dst_sel:DWORD dst_unused:UNUSED_PAD src0_sel:BYTE_3
	v_cvt_f32_i32_sdwa v72, sext(v26) dst_sel:DWORD dst_unused:UNUSED_PAD src0_sel:BYTE_2
	v_cvt_f32_i32_sdwa v75, sext(v27) dst_sel:DWORD dst_unused:UNUSED_PAD src0_sel:BYTE_1
	v_cvt_f32_i32_sdwa v74, sext(v27) dst_sel:DWORD dst_unused:UNUSED_PAD src0_sel:BYTE_0
	v_cvt_f32_i32_sdwa v77, sext(v27) dst_sel:DWORD dst_unused:UNUSED_PAD src0_sel:BYTE_3
	v_cvt_f32_i32_sdwa v76, sext(v27) dst_sel:DWORD dst_unused:UNUSED_PAD src0_sel:BYTE_2
	s_waitcnt vmcnt(3)
	v_cvt_f32_i32_sdwa v26, sext(v15) dst_sel:DWORD dst_unused:UNUSED_PAD src0_sel:BYTE_0
	v_cvt_f32_i32_sdwa v78, sext(v15) dst_sel:DWORD dst_unused:UNUSED_PAD src0_sel:BYTE_1
	v_cvt_f32_i32_sdwa v80, sext(v15) dst_sel:DWORD dst_unused:UNUSED_PAD src0_sel:BYTE_2
	v_cvt_f32_i32_sdwa v82, sext(v15) dst_sel:DWORD dst_unused:UNUSED_PAD src0_sel:BYTE_3
	s_waitcnt vmcnt(2)
	v_cvt_f32_i32_sdwa v84, sext(v23) dst_sel:DWORD dst_unused:UNUSED_PAD src0_sel:BYTE_0
	v_pk_fma_f32 v[20:21], v[28:29], v[26:27], v[20:21] op_sel_hi:[1,0,1]
	v_pk_fma_f32 v[18:19], v[32:33], v[26:27], v[18:19] op_sel_hi:[1,0,1]
	v_cvt_f32_i32_sdwa v86, sext(v23) dst_sel:DWORD dst_unused:UNUSED_PAD src0_sel:BYTE_1
	s_waitcnt vmcnt(1)
	v_pk_fma_f32 v[20:21], v[30:31], v[78:79], v[20:21] op_sel_hi:[1,0,1]
	v_pk_fma_f32 v[18:19], v[34:35], v[78:79], v[18:19] op_sel_hi:[1,0,1]
	v_cvt_f32_i32_sdwa v88, sext(v23) dst_sel:DWORD dst_unused:UNUSED_PAD src0_sel:BYTE_2
	s_waitcnt vmcnt(0)
	v_pk_fma_f32 v[0:1], v[0:1], v[80:81], v[20:21] op_sel_hi:[1,0,1]
	v_pk_fma_f32 v[18:19], v[36:37], v[80:81], v[18:19] op_sel_hi:[1,0,1]
	v_cvt_f32_i32_sdwa v90, sext(v23) dst_sel:DWORD dst_unused:UNUSED_PAD src0_sel:BYTE_3
	v_pk_fma_f32 v[0:1], v[38:39], v[82:83], v[0:1] op_sel_hi:[1,0,1]
	v_pk_fma_f32 v[18:19], v[40:41], v[82:83], v[18:19] op_sel_hi:[1,0,1]
	v_cvt_f32_i32_sdwa v28, sext(v79) dst_sel:DWORD dst_unused:UNUSED_PAD src0_sel:BYTE_0
	v_pk_fma_f32 v[0:1], v[2:3], v[84:85], v[0:1] op_sel_hi:[1,0,1]
	v_pk_fma_f32 v[2:3], v[44:45], v[84:85], v[18:19] op_sel_hi:[1,0,1]
	v_cvt_f32_i32_sdwa v26, sext(v79) dst_sel:DWORD dst_unused:UNUSED_PAD src0_sel:BYTE_1
	v_pk_fma_f32 v[0:1], v[42:43], v[86:87], v[0:1] op_sel_hi:[1,0,1]
	v_pk_fma_f32 v[2:3], v[46:47], v[86:87], v[2:3] op_sel_hi:[1,0,1]
	v_cvt_f32_i32_sdwa v32, sext(v79) dst_sel:DWORD dst_unused:UNUSED_PAD src0_sel:BYTE_2
	v_pk_fma_f32 v[0:1], v[4:5], v[88:89], v[0:1] op_sel_hi:[1,0,1]
	v_pk_fma_f32 v[2:3], v[48:49], v[88:89], v[2:3] op_sel_hi:[1,0,1]
	v_cvt_f32_i32_sdwa v92, sext(v79) dst_sel:DWORD dst_unused:UNUSED_PAD src0_sel:BYTE_3
	v_pk_fma_f32 v[0:1], v[50:51], v[90:91], v[0:1] op_sel_hi:[1,0,1]
	v_pk_fma_f32 v[2:3], v[52:53], v[90:91], v[2:3] op_sel_hi:[1,0,1]
	v_cvt_f32_i32_sdwa v30, sext(v81) dst_sel:DWORD dst_unused:UNUSED_PAD src0_sel:BYTE_0
	v_pk_fma_f32 v[0:1], v[6:7], v[28:29], v[0:1] op_sel_hi:[1,0,1]
	v_pk_fma_f32 v[2:3], v[56:57], v[28:29], v[2:3] op_sel_hi:[1,0,1]
	v_cvt_f32_i32_sdwa v34, sext(v81) dst_sel:DWORD dst_unused:UNUSED_PAD src0_sel:BYTE_1
	v_pk_fma_f32 v[0:1], v[54:55], v[26:27], v[0:1] op_sel_hi:[1,0,1]
	v_pk_fma_f32 v[2:3], v[58:59], v[26:27], v[2:3] op_sel_hi:[1,0,1]
	v_cvt_f32_i32_sdwa v78, sext(v81) dst_sel:DWORD dst_unused:UNUSED_PAD src0_sel:BYTE_2
	v_pk_fma_f32 v[0:1], v[8:9], v[32:33], v[0:1] op_sel_hi:[1,0,1]
	v_pk_fma_f32 v[2:3], v[60:61], v[32:33], v[2:3] op_sel_hi:[1,0,1]
	v_cvt_f32_i32_sdwa v94, sext(v81) dst_sel:DWORD dst_unused:UNUSED_PAD src0_sel:BYTE_3
	v_pk_fma_f32 v[0:1], v[62:63], v[92:93], v[0:1] op_sel_hi:[1,0,1]
	v_pk_fma_f32 v[2:3], v[64:65], v[92:93], v[2:3] op_sel_hi:[1,0,1]
	v_pk_fma_f32 v[0:1], v[10:11], v[30:31], v[0:1] op_sel_hi:[1,0,1]
	v_pk_fma_f32 v[2:3], v[68:69], v[30:31], v[2:3] op_sel_hi:[1,0,1]
	v_pk_fma_f32 v[0:1], v[66:67], v[34:35], v[0:1] op_sel_hi:[1,0,1]
	v_pk_fma_f32 v[2:3], v[70:71], v[34:35], v[2:3] op_sel_hi:[1,0,1]
	v_pk_fma_f32 v[0:1], v[24:25], v[78:79], v[0:1] op_sel_hi:[1,0,1]
	v_pk_fma_f32 v[2:3], v[72:73], v[78:79], v[2:3] op_sel_hi:[1,0,1]
	v_pk_fma_f32 v[20:21], v[74:75], v[94:95], v[0:1] op_sel_hi:[1,0,1]
	v_pk_fma_f32 v[18:19], v[76:77], v[94:95], v[2:3] op_sel_hi:[1,0,1]
	s_andn2_b64 exec, exec, s[10:11]
	s_cbranch_execnz .LBB79_33
; %bb.34:
	s_or_b64 exec, exec, s[10:11]
.LBB79_35:
	s_or_b64 exec, exec, s[2:3]
.LBB79_36:
	s_or_b64 exec, exec, s[6:7]
.LBB79_37:
	v_mov_b32_dpp v0, v20 row_shr:1 row_mask:0xf bank_mask:0xf
	v_mov_b32_dpp v1, v21 row_shr:1 row_mask:0xf bank_mask:0xf
	;; [unrolled: 1-line block ×4, first 2 shown]
	v_pk_add_f32 v[0:1], v[20:21], v[0:1]
	v_pk_add_f32 v[4:5], v[18:19], v[4:5]
	v_cmp_eq_u32_e32 vcc, 63, v13
	v_mov_b32_dpp v2, v0 row_shr:2 row_mask:0xf bank_mask:0xf
	v_mov_b32_dpp v3, v1 row_shr:2 row_mask:0xf bank_mask:0xf
	v_mov_b32_dpp v6, v4 row_shr:2 row_mask:0xf bank_mask:0xf
	v_mov_b32_dpp v7, v5 row_shr:2 row_mask:0xf bank_mask:0xf
	v_pk_add_f32 v[0:1], v[0:1], v[2:3]
	v_pk_add_f32 v[4:5], v[4:5], v[6:7]
	s_nop 0
	v_mov_b32_dpp v2, v0 row_shr:4 row_mask:0xf bank_mask:0xe
	v_mov_b32_dpp v3, v1 row_shr:4 row_mask:0xf bank_mask:0xe
	v_mov_b32_dpp v6, v4 row_shr:4 row_mask:0xf bank_mask:0xe
	v_mov_b32_dpp v7, v5 row_shr:4 row_mask:0xf bank_mask:0xe
	v_pk_add_f32 v[0:1], v[0:1], v[2:3]
	v_pk_add_f32 v[4:5], v[4:5], v[6:7]
	s_nop 0
	;; [unrolled: 7-line block ×3, first 2 shown]
	v_mov_b32_dpp v2, v0 row_bcast:15 row_mask:0xa bank_mask:0xf
	v_mov_b32_dpp v3, v1 row_bcast:15 row_mask:0xa bank_mask:0xf
	;; [unrolled: 1-line block ×4, first 2 shown]
	v_pk_add_f32 v[0:1], v[0:1], v[2:3]
	v_pk_add_f32 v[4:5], v[4:5], v[6:7]
	s_nop 0
	v_mov_b32_dpp v2, v0 row_bcast:31 row_mask:0xc bank_mask:0xf
	v_mov_b32_dpp v3, v1 row_bcast:31 row_mask:0xc bank_mask:0xf
	;; [unrolled: 1-line block ×4, first 2 shown]
	s_and_b64 exec, exec, vcc
	s_cbranch_execz .LBB79_10
; %bb.38:
	s_load_dwordx2 s[0:1], s[0:1], 0x50
	v_cmp_eq_f32_e64 s[2:3], s14, 0
	v_pk_add_f32 v[2:3], v[0:1], v[2:3]
	v_pk_add_f32 v[0:1], v[4:5], v[6:7]
	s_and_b64 vcc, exec, s[2:3]
	v_lshlrev_b32_e32 v4, 2, v12
	s_cbranch_vccz .LBB79_40
; %bb.39:
	v_ashrrev_i32_e32 v5, 31, v4
	s_waitcnt lgkmcnt(0)
	v_lshl_add_u64 v[10:11], v[4:5], 2, s[0:1]
	v_pk_mul_f32 v[6:7], s[12:13], v[2:3] op_sel_hi:[0,1]
	v_pk_mul_f32 v[8:9], s[12:13], v[0:1] op_sel_hi:[0,1]
	global_store_dwordx4 v[10:11], v[6:9], off
	s_cbranch_execnz .LBB79_10
	s_branch .LBB79_41
.LBB79_40:
.LBB79_41:
	v_ashrrev_i32_e32 v5, 31, v4
	s_waitcnt lgkmcnt(0)
	v_lshl_add_u64 v[8:9], v[4:5], 2, s[0:1]
	global_load_dwordx4 v[4:7], v[8:9], off
	v_pk_mul_f32 v[2:3], s[12:13], v[2:3] op_sel_hi:[0,1]
	v_pk_mul_f32 v[10:11], s[12:13], v[0:1] op_sel_hi:[0,1]
	s_waitcnt vmcnt(0)
	v_pk_fma_f32 v[0:1], s[14:15], v[4:5], v[2:3] op_sel_hi:[0,1,1]
	v_pk_fma_f32 v[2:3], s[14:15], v[6:7], v[10:11] op_sel_hi:[0,1,1]
	global_store_dwordx4 v[8:9], v[0:3], off
	s_endpgm
	.section	.rodata,"a",@progbits
	.p2align	6, 0x0
	.amdhsa_kernel _ZN9rocsparseL18bsrxmvn_4x4_kernelILj128ELj64EfiiaafEEvT3_20rocsparse_direction_NS_24const_host_device_scalarIT1_EES1_PKS1_PKT2_SA_S7_PKT4_PKT5_S5_PT6_21rocsparse_index_base_b
		.amdhsa_group_segment_fixed_size 0
		.amdhsa_private_segment_fixed_size 0
		.amdhsa_kernarg_size 96
		.amdhsa_user_sgpr_count 2
		.amdhsa_user_sgpr_dispatch_ptr 0
		.amdhsa_user_sgpr_queue_ptr 0
		.amdhsa_user_sgpr_kernarg_segment_ptr 1
		.amdhsa_user_sgpr_dispatch_id 0
		.amdhsa_user_sgpr_kernarg_preload_length 0
		.amdhsa_user_sgpr_kernarg_preload_offset 0
		.amdhsa_user_sgpr_private_segment_size 0
		.amdhsa_uses_dynamic_stack 0
		.amdhsa_enable_private_segment 0
		.amdhsa_system_sgpr_workgroup_id_x 1
		.amdhsa_system_sgpr_workgroup_id_y 0
		.amdhsa_system_sgpr_workgroup_id_z 0
		.amdhsa_system_sgpr_workgroup_info 0
		.amdhsa_system_vgpr_workitem_id 0
		.amdhsa_next_free_vgpr 96
		.amdhsa_next_free_sgpr 22
		.amdhsa_accum_offset 96
		.amdhsa_reserve_vcc 1
		.amdhsa_float_round_mode_32 0
		.amdhsa_float_round_mode_16_64 0
		.amdhsa_float_denorm_mode_32 3
		.amdhsa_float_denorm_mode_16_64 3
		.amdhsa_dx10_clamp 1
		.amdhsa_ieee_mode 1
		.amdhsa_fp16_overflow 0
		.amdhsa_tg_split 0
		.amdhsa_exception_fp_ieee_invalid_op 0
		.amdhsa_exception_fp_denorm_src 0
		.amdhsa_exception_fp_ieee_div_zero 0
		.amdhsa_exception_fp_ieee_overflow 0
		.amdhsa_exception_fp_ieee_underflow 0
		.amdhsa_exception_fp_ieee_inexact 0
		.amdhsa_exception_int_div_zero 0
	.end_amdhsa_kernel
	.section	.text._ZN9rocsparseL18bsrxmvn_4x4_kernelILj128ELj64EfiiaafEEvT3_20rocsparse_direction_NS_24const_host_device_scalarIT1_EES1_PKS1_PKT2_SA_S7_PKT4_PKT5_S5_PT6_21rocsparse_index_base_b,"axG",@progbits,_ZN9rocsparseL18bsrxmvn_4x4_kernelILj128ELj64EfiiaafEEvT3_20rocsparse_direction_NS_24const_host_device_scalarIT1_EES1_PKS1_PKT2_SA_S7_PKT4_PKT5_S5_PT6_21rocsparse_index_base_b,comdat
.Lfunc_end79:
	.size	_ZN9rocsparseL18bsrxmvn_4x4_kernelILj128ELj64EfiiaafEEvT3_20rocsparse_direction_NS_24const_host_device_scalarIT1_EES1_PKS1_PKT2_SA_S7_PKT4_PKT5_S5_PT6_21rocsparse_index_base_b, .Lfunc_end79-_ZN9rocsparseL18bsrxmvn_4x4_kernelILj128ELj64EfiiaafEEvT3_20rocsparse_direction_NS_24const_host_device_scalarIT1_EES1_PKS1_PKT2_SA_S7_PKT4_PKT5_S5_PT6_21rocsparse_index_base_b
                                        ; -- End function
	.set _ZN9rocsparseL18bsrxmvn_4x4_kernelILj128ELj64EfiiaafEEvT3_20rocsparse_direction_NS_24const_host_device_scalarIT1_EES1_PKS1_PKT2_SA_S7_PKT4_PKT5_S5_PT6_21rocsparse_index_base_b.num_vgpr, 96
	.set _ZN9rocsparseL18bsrxmvn_4x4_kernelILj128ELj64EfiiaafEEvT3_20rocsparse_direction_NS_24const_host_device_scalarIT1_EES1_PKS1_PKT2_SA_S7_PKT4_PKT5_S5_PT6_21rocsparse_index_base_b.num_agpr, 0
	.set _ZN9rocsparseL18bsrxmvn_4x4_kernelILj128ELj64EfiiaafEEvT3_20rocsparse_direction_NS_24const_host_device_scalarIT1_EES1_PKS1_PKT2_SA_S7_PKT4_PKT5_S5_PT6_21rocsparse_index_base_b.numbered_sgpr, 22
	.set _ZN9rocsparseL18bsrxmvn_4x4_kernelILj128ELj64EfiiaafEEvT3_20rocsparse_direction_NS_24const_host_device_scalarIT1_EES1_PKS1_PKT2_SA_S7_PKT4_PKT5_S5_PT6_21rocsparse_index_base_b.num_named_barrier, 0
	.set _ZN9rocsparseL18bsrxmvn_4x4_kernelILj128ELj64EfiiaafEEvT3_20rocsparse_direction_NS_24const_host_device_scalarIT1_EES1_PKS1_PKT2_SA_S7_PKT4_PKT5_S5_PT6_21rocsparse_index_base_b.private_seg_size, 0
	.set _ZN9rocsparseL18bsrxmvn_4x4_kernelILj128ELj64EfiiaafEEvT3_20rocsparse_direction_NS_24const_host_device_scalarIT1_EES1_PKS1_PKT2_SA_S7_PKT4_PKT5_S5_PT6_21rocsparse_index_base_b.uses_vcc, 1
	.set _ZN9rocsparseL18bsrxmvn_4x4_kernelILj128ELj64EfiiaafEEvT3_20rocsparse_direction_NS_24const_host_device_scalarIT1_EES1_PKS1_PKT2_SA_S7_PKT4_PKT5_S5_PT6_21rocsparse_index_base_b.uses_flat_scratch, 0
	.set _ZN9rocsparseL18bsrxmvn_4x4_kernelILj128ELj64EfiiaafEEvT3_20rocsparse_direction_NS_24const_host_device_scalarIT1_EES1_PKS1_PKT2_SA_S7_PKT4_PKT5_S5_PT6_21rocsparse_index_base_b.has_dyn_sized_stack, 0
	.set _ZN9rocsparseL18bsrxmvn_4x4_kernelILj128ELj64EfiiaafEEvT3_20rocsparse_direction_NS_24const_host_device_scalarIT1_EES1_PKS1_PKT2_SA_S7_PKT4_PKT5_S5_PT6_21rocsparse_index_base_b.has_recursion, 0
	.set _ZN9rocsparseL18bsrxmvn_4x4_kernelILj128ELj64EfiiaafEEvT3_20rocsparse_direction_NS_24const_host_device_scalarIT1_EES1_PKS1_PKT2_SA_S7_PKT4_PKT5_S5_PT6_21rocsparse_index_base_b.has_indirect_call, 0
	.section	.AMDGPU.csdata,"",@progbits
; Kernel info:
; codeLenInByte = 4236
; TotalNumSgprs: 28
; NumVgprs: 96
; NumAgprs: 0
; TotalNumVgprs: 96
; ScratchSize: 0
; MemoryBound: 0
; FloatMode: 240
; IeeeMode: 1
; LDSByteSize: 0 bytes/workgroup (compile time only)
; SGPRBlocks: 3
; VGPRBlocks: 11
; NumSGPRsForWavesPerEU: 28
; NumVGPRsForWavesPerEU: 96
; AccumOffset: 96
; Occupancy: 5
; WaveLimiterHint : 1
; COMPUTE_PGM_RSRC2:SCRATCH_EN: 0
; COMPUTE_PGM_RSRC2:USER_SGPR: 2
; COMPUTE_PGM_RSRC2:TRAP_HANDLER: 0
; COMPUTE_PGM_RSRC2:TGID_X_EN: 1
; COMPUTE_PGM_RSRC2:TGID_Y_EN: 0
; COMPUTE_PGM_RSRC2:TGID_Z_EN: 0
; COMPUTE_PGM_RSRC2:TIDIG_COMP_CNT: 0
; COMPUTE_PGM_RSRC3_GFX90A:ACCUM_OFFSET: 23
; COMPUTE_PGM_RSRC3_GFX90A:TG_SPLIT: 0
	.section	.text._ZN9rocsparseL18bsrxmvn_4x4_kernelILj128ELj4EfliaafEEvT3_20rocsparse_direction_NS_24const_host_device_scalarIT1_EES1_PKS1_PKT2_SA_S7_PKT4_PKT5_S5_PT6_21rocsparse_index_base_b,"axG",@progbits,_ZN9rocsparseL18bsrxmvn_4x4_kernelILj128ELj4EfliaafEEvT3_20rocsparse_direction_NS_24const_host_device_scalarIT1_EES1_PKS1_PKT2_SA_S7_PKT4_PKT5_S5_PT6_21rocsparse_index_base_b,comdat
	.globl	_ZN9rocsparseL18bsrxmvn_4x4_kernelILj128ELj4EfliaafEEvT3_20rocsparse_direction_NS_24const_host_device_scalarIT1_EES1_PKS1_PKT2_SA_S7_PKT4_PKT5_S5_PT6_21rocsparse_index_base_b ; -- Begin function _ZN9rocsparseL18bsrxmvn_4x4_kernelILj128ELj4EfliaafEEvT3_20rocsparse_direction_NS_24const_host_device_scalarIT1_EES1_PKS1_PKT2_SA_S7_PKT4_PKT5_S5_PT6_21rocsparse_index_base_b
	.p2align	8
	.type	_ZN9rocsparseL18bsrxmvn_4x4_kernelILj128ELj4EfliaafEEvT3_20rocsparse_direction_NS_24const_host_device_scalarIT1_EES1_PKS1_PKT2_SA_S7_PKT4_PKT5_S5_PT6_21rocsparse_index_base_b,@function
_ZN9rocsparseL18bsrxmvn_4x4_kernelILj128ELj4EfliaafEEvT3_20rocsparse_direction_NS_24const_host_device_scalarIT1_EES1_PKS1_PKT2_SA_S7_PKT4_PKT5_S5_PT6_21rocsparse_index_base_b: ; @_ZN9rocsparseL18bsrxmvn_4x4_kernelILj128ELj4EfliaafEEvT3_20rocsparse_direction_NS_24const_host_device_scalarIT1_EES1_PKS1_PKT2_SA_S7_PKT4_PKT5_S5_PT6_21rocsparse_index_base_b
; %bb.0:
	s_load_dwordx2 s[16:17], s[0:1], 0x58
	s_load_dwordx2 s[12:13], s[0:1], 0x8
	;; [unrolled: 1-line block ×3, first 2 shown]
	s_waitcnt lgkmcnt(0)
	s_bitcmp1_b32 s17, 0
	s_cselect_b64 s[6:7], -1, 0
	s_xor_b64 s[4:5], s[6:7], -1
	s_and_b64 vcc, exec, s[6:7]
	s_cbranch_vccnz .LBB80_2
; %bb.1:
	s_load_dword s12, s[12:13], 0x0
.LBB80_2:
	s_andn2_b64 vcc, exec, s[4:5]
	s_cbranch_vccnz .LBB80_4
; %bb.3:
	s_load_dword s14, s[14:15], 0x0
.LBB80_4:
	s_waitcnt lgkmcnt(0)
	v_cmp_neq_f32_e64 s[4:5], s12, 0
	v_cmp_neq_f32_e64 s[6:7], s14, 1.0
	s_or_b64 s[4:5], s[4:5], s[6:7]
	s_andn2_b64 vcc, exec, s[4:5]
	s_cbranch_vccnz .LBB80_10
; %bb.5:
	s_load_dwordx2 s[4:5], s[0:1], 0x18
	s_load_dwordx2 s[18:19], s[0:1], 0x0
	v_lshrrev_b32_e32 v1, 2, v0
	v_lshl_or_b32 v12, s2, 5, v1
	s_mov_b64 s[2:3], 0
	s_waitcnt lgkmcnt(0)
	s_cmp_lg_u64 s[4:5], 0
	s_cbranch_scc0 .LBB80_11
; %bb.6:
	s_load_dword s6, s[0:1], 0x10
                                        ; implicit-def: $vgpr1
	s_waitcnt lgkmcnt(0)
	v_cmp_gt_i32_e32 vcc, s6, v12
	s_and_saveexec_b64 s[6:7], vcc
	s_xor_b64 s[6:7], exec, s[6:7]
	s_cbranch_execz .LBB80_8
; %bb.7:
	v_ashrrev_i32_e32 v13, 31, v12
	v_lshl_add_u64 v[2:3], v[12:13], 2, s[4:5]
	global_load_dword v1, v[2:3], off
	s_mov_b64 s[2:3], exec
	s_waitcnt vmcnt(0)
	v_subrev_u32_e32 v1, s16, v1
.LBB80_8:
	s_or_b64 exec, exec, s[6:7]
	s_branch .LBB80_12
.LBB80_9:
	v_cmp_gt_i32_e32 vcc, s18, v12
	s_andn2_b64 s[2:3], s[2:3], exec
	s_and_b64 s[4:5], vcc, exec
	s_or_b64 s[2:3], s[2:3], s[4:5]
	s_and_saveexec_b64 s[4:5], s[2:3]
	s_cbranch_execnz .LBB80_13
.LBB80_10:
	s_endpgm
.LBB80_11:
                                        ; implicit-def: $vgpr1
	s_cbranch_execnz .LBB80_9
.LBB80_12:
	v_mov_b32_e32 v12, v1
	s_and_saveexec_b64 s[4:5], s[2:3]
	s_cbranch_execz .LBB80_10
.LBB80_13:
	s_load_dwordx8 s[4:11], s[0:1], 0x20
	v_ashrrev_i32_e32 v13, 31, v12
	v_lshlrev_b64 v[2:3], 3, v[12:13]
	v_and_b32_e32 v14, 3, v0
	v_mov_b32_e32 v15, 0
	s_waitcnt lgkmcnt(0)
	v_lshl_add_u64 v[6:7], s[4:5], 0, v[2:3]
	s_cmp_eq_u64 s[6:7], 0
	v_lshl_add_u64 v[2:3], s[6:7], 0, v[2:3]
	global_load_dwordx2 v[4:5], v[6:7], off
	v_lshl_add_u64 v[6:7], v[6:7], 0, 8
	s_cselect_b64 vcc, -1, 0
	v_cndmask_b32_e32 v3, v3, v7, vcc
	v_cndmask_b32_e32 v2, v2, v6, vcc
	global_load_dwordx2 v[2:3], v[2:3], off
	s_load_dwordx2 s[4:5], s[0:1], 0x40
	s_cmp_eq_u32 s19, 1
	s_waitcnt vmcnt(1)
	v_subrev_co_u32_e32 v0, vcc, s16, v4
	s_nop 1
	v_subbrev_co_u32_e32 v1, vcc, 0, v5, vcc
	v_lshl_add_u64 v[16:17], v[0:1], 0, v[14:15]
	s_waitcnt vmcnt(0)
	v_subrev_co_u32_e32 v18, vcc, s16, v2
	v_lshl_add_u64 v[20:21], v[16:17], 4, s[10:11]
	s_nop 0
	v_subbrev_co_u32_e32 v19, vcc, 0, v3, vcc
	v_cmp_lt_i64_e64 s[2:3], v[16:17], v[18:19]
	s_cbranch_scc1 .LBB80_25
; %bb.14:
	v_mov_b32_e32 v24, v15
	v_mov_b32_e32 v23, v15
	;; [unrolled: 1-line block ×3, first 2 shown]
	s_and_saveexec_b64 s[6:7], s[2:3]
	s_cbranch_execz .LBB80_24
; %bb.15:
	v_or_b32_e32 v0, 4, v14
	v_subrev_co_u32_e32 v0, vcc, s16, v0
	v_not_b32_e32 v3, v5
	s_nop 0
	v_subb_co_u32_e64 v1, s[10:11], 0, 0, vcc
	v_lshl_add_u64 v[0:1], v[0:1], 0, v[4:5]
	v_cmp_gt_i64_e32 vcc, v[0:1], v[18:19]
	v_not_b32_e32 v2, v4
	v_mov_b32_e32 v23, 0
	v_cndmask_b32_e32 v1, v19, v1, vcc
	v_cndmask_b32_e32 v0, v18, v0, vcc
	v_sub_co_u32_e32 v6, vcc, s16, v14
	v_mov_b32_e32 v24, v23
	s_nop 0
	v_subb_co_u32_e64 v7, s[10:11], 0, 0, vcc
	v_lshl_add_u64 v[2:3], v[6:7], 0, v[2:3]
	v_lshl_add_u64 v[0:1], v[2:3], 0, v[0:1]
	v_and_b32_e32 v22, 12, v0
	v_cmp_ne_u64_e32 vcc, 12, v[22:23]
	v_mov_b32_e32 v22, v23
	v_mov_b32_e32 v25, v23
	v_mov_b64_e32 v[6:7], v[16:17]
	v_mov_b64_e32 v[8:9], v[20:21]
	s_and_saveexec_b64 s[10:11], vcc
	s_cbranch_execz .LBB80_19
; %bb.16:
	v_lshrrev_b32_e32 v2, 2, v0
	v_add_u32_e32 v2, 1, v2
	v_and_b32_e32 v6, 3, v2
	v_mov_b32_e32 v22, 0
	v_sub_co_u32_e32 v10, vcc, 0, v6
	v_lshl_add_u64 v[2:3], v[16:17], 2, s[8:9]
	s_mov_b64 s[18:19], 0
	v_subb_co_u32_e64 v11, s[20:21], 0, 0, vcc
	v_mov_b64_e32 v[8:9], v[20:21]
	v_mov_b64_e32 v[6:7], v[16:17]
	v_mov_b32_e32 v23, v22
	v_mov_b32_e32 v24, v22
	;; [unrolled: 1-line block ×3, first 2 shown]
.LBB80_17:                              ; =>This Inner Loop Header: Depth=1
	global_load_dword v13, v[2:3], off
	global_load_dwordx4 v[26:29], v[8:9], off
	v_lshl_add_u64 v[10:11], v[10:11], 0, 1
	v_cmp_eq_u64_e32 vcc, 0, v[10:11]
	v_lshl_add_u64 v[8:9], v[8:9], 0, 64
	v_lshl_add_u64 v[6:7], v[6:7], 0, 4
	v_lshl_add_u64 v[2:3], v[2:3], 0, 16
	s_or_b64 s[18:19], vcc, s[18:19]
	s_waitcnt vmcnt(1)
	v_subrev_u32_e32 v13, s16, v13
	v_lshlrev_b32_e32 v30, 2, v13
	v_ashrrev_i32_e32 v31, 31, v30
	s_waitcnt lgkmcnt(0)
	v_lshl_add_u64 v[30:31], s[4:5], 0, v[30:31]
	global_load_dword v13, v[30:31], off
	s_waitcnt vmcnt(1)
	v_cvt_f32_i32_sdwa v31, sext(v27) dst_sel:DWORD dst_unused:UNUSED_PAD src0_sel:BYTE_0
	v_cvt_f32_i32_sdwa v30, sext(v26) dst_sel:DWORD dst_unused:UNUSED_PAD src0_sel:BYTE_0
	;; [unrolled: 1-line block ×4, first 2 shown]
	v_cvt_f32_i32_sdwa v33, sext(v27) dst_sel:DWORD dst_unused:UNUSED_PAD src0_sel:BYTE_1
	v_cvt_f32_i32_sdwa v32, sext(v26) dst_sel:DWORD dst_unused:UNUSED_PAD src0_sel:BYTE_1
	v_cvt_f32_i32_sdwa v39, sext(v29) dst_sel:DWORD dst_unused:UNUSED_PAD src0_sel:BYTE_1
	v_cvt_f32_i32_sdwa v38, sext(v28) dst_sel:DWORD dst_unused:UNUSED_PAD src0_sel:BYTE_1
	v_cvt_f32_i32_sdwa v35, sext(v27) dst_sel:DWORD dst_unused:UNUSED_PAD src0_sel:BYTE_2
	v_cvt_f32_i32_sdwa v34, sext(v26) dst_sel:DWORD dst_unused:UNUSED_PAD src0_sel:BYTE_2
	;; [unrolled: 1-line block ×4, first 2 shown]
	v_cvt_f32_i32_sdwa v27, sext(v27) dst_sel:DWORD dst_unused:UNUSED_PAD src0_sel:BYTE_3
	v_cvt_f32_i32_sdwa v26, sext(v26) dst_sel:DWORD dst_unused:UNUSED_PAD src0_sel:BYTE_3
	;; [unrolled: 1-line block ×4, first 2 shown]
	s_waitcnt vmcnt(0)
	v_cvt_f32_i32_sdwa v42, sext(v13) dst_sel:DWORD dst_unused:UNUSED_PAD src0_sel:BYTE_0
	v_cvt_f32_i32_sdwa v44, sext(v13) dst_sel:DWORD dst_unused:UNUSED_PAD src0_sel:BYTE_1
	v_cvt_f32_i32_sdwa v46, sext(v13) dst_sel:DWORD dst_unused:UNUSED_PAD src0_sel:BYTE_2
	v_cvt_f32_i32_sdwa v48, sext(v13) dst_sel:DWORD dst_unused:UNUSED_PAD src0_sel:BYTE_3
	v_pk_fma_f32 v[22:23], v[30:31], v[42:43], v[22:23] op_sel_hi:[1,0,1]
	v_pk_fma_f32 v[24:25], v[36:37], v[42:43], v[24:25] op_sel_hi:[1,0,1]
	;; [unrolled: 1-line block ×8, first 2 shown]
	s_andn2_b64 exec, exec, s[18:19]
	s_cbranch_execnz .LBB80_17
; %bb.18:
	s_or_b64 exec, exec, s[18:19]
.LBB80_19:
	s_or_b64 exec, exec, s[10:11]
	v_cmp_lt_u64_e32 vcc, 11, v[0:1]
	s_and_saveexec_b64 s[10:11], vcc
	s_cbranch_execz .LBB80_23
; %bb.20:
	v_lshl_add_u64 v[0:1], v[6:7], 2, s[8:9]
	v_lshl_add_u64 v[10:11], v[0:1], 0, 32
	s_mov_b64 s[18:19], 0
	s_mov_b64 s[20:21], 0x100
.LBB80_21:                              ; =>This Inner Loop Header: Depth=1
	global_load_dword v13, v[10:11], off offset:-32
	global_load_dword v15, v[10:11], off offset:-16
	global_load_dword v38, v[10:11], off
	global_load_dwordx4 v[0:3], v[8:9], off offset:128
	global_load_dwordx4 v[26:29], v[8:9], off
	global_load_dwordx4 v[30:33], v[8:9], off offset:64
	global_load_dword v57, v[10:11], off offset:16
	global_load_dwordx4 v[34:37], v[8:9], off offset:192
	v_lshl_add_u64 v[6:7], v[6:7], 0, 16
	v_cmp_ge_i64_e32 vcc, v[6:7], v[18:19]
	v_lshl_add_u64 v[8:9], v[8:9], 0, s[20:21]
	v_lshl_add_u64 v[10:11], v[10:11], 0, 64
	s_or_b64 s[18:19], vcc, s[18:19]
	s_waitcnt vmcnt(7)
	v_subrev_u32_e32 v13, s16, v13
	s_waitcnt vmcnt(6)
	v_subrev_u32_e32 v15, s16, v15
	;; [unrolled: 2-line block ×3, first 2 shown]
	v_lshlrev_b32_e32 v60, 2, v13
	v_lshlrev_b32_e32 v62, 2, v15
	;; [unrolled: 1-line block ×3, first 2 shown]
	s_waitcnt vmcnt(1)
	v_subrev_u32_e32 v57, s16, v57
	v_lshlrev_b32_e32 v66, 2, v57
	v_ashrrev_i32_e32 v61, 31, v60
	v_ashrrev_i32_e32 v63, 31, v62
	;; [unrolled: 1-line block ×4, first 2 shown]
	s_waitcnt lgkmcnt(0)
	v_lshl_add_u64 v[60:61], s[4:5], 0, v[60:61]
	v_lshl_add_u64 v[62:63], s[4:5], 0, v[62:63]
	;; [unrolled: 1-line block ×4, first 2 shown]
	global_load_dword v13, v[60:61], off
	global_load_dword v15, v[62:63], off
	;; [unrolled: 1-line block ×4, first 2 shown]
	v_cvt_f32_i32_sdwa v41, sext(v27) dst_sel:DWORD dst_unused:UNUSED_PAD src0_sel:BYTE_0
	v_cvt_f32_i32_sdwa v40, sext(v26) dst_sel:DWORD dst_unused:UNUSED_PAD src0_sel:BYTE_0
	v_cvt_f32_i32_sdwa v59, sext(v29) dst_sel:DWORD dst_unused:UNUSED_PAD src0_sel:BYTE_0
	v_cvt_f32_i32_sdwa v58, sext(v28) dst_sel:DWORD dst_unused:UNUSED_PAD src0_sel:BYTE_0
	v_cvt_f32_i32_sdwa v43, sext(v27) dst_sel:DWORD dst_unused:UNUSED_PAD src0_sel:BYTE_1
	v_cvt_f32_i32_sdwa v42, sext(v26) dst_sel:DWORD dst_unused:UNUSED_PAD src0_sel:BYTE_1
	v_cvt_f32_i32_sdwa v61, sext(v29) dst_sel:DWORD dst_unused:UNUSED_PAD src0_sel:BYTE_1
	v_cvt_f32_i32_sdwa v60, sext(v28) dst_sel:DWORD dst_unused:UNUSED_PAD src0_sel:BYTE_1
	v_cvt_f32_i32_sdwa v45, sext(v27) dst_sel:DWORD dst_unused:UNUSED_PAD src0_sel:BYTE_2
	v_cvt_f32_i32_sdwa v44, sext(v26) dst_sel:DWORD dst_unused:UNUSED_PAD src0_sel:BYTE_2
	v_cvt_f32_i32_sdwa v63, sext(v29) dst_sel:DWORD dst_unused:UNUSED_PAD src0_sel:BYTE_2
	v_cvt_f32_i32_sdwa v62, sext(v28) dst_sel:DWORD dst_unused:UNUSED_PAD src0_sel:BYTE_2
	v_cvt_f32_i32_sdwa v27, sext(v27) dst_sel:DWORD dst_unused:UNUSED_PAD src0_sel:BYTE_3
	v_cvt_f32_i32_sdwa v26, sext(v26) dst_sel:DWORD dst_unused:UNUSED_PAD src0_sel:BYTE_3
	v_cvt_f32_i32_sdwa v29, sext(v29) dst_sel:DWORD dst_unused:UNUSED_PAD src0_sel:BYTE_3
	v_cvt_f32_i32_sdwa v28, sext(v28) dst_sel:DWORD dst_unused:UNUSED_PAD src0_sel:BYTE_3
	v_cvt_f32_i32_sdwa v47, sext(v31) dst_sel:DWORD dst_unused:UNUSED_PAD src0_sel:BYTE_0
	v_cvt_f32_i32_sdwa v46, sext(v30) dst_sel:DWORD dst_unused:UNUSED_PAD src0_sel:BYTE_0
	v_cvt_f32_i32_sdwa v65, sext(v33) dst_sel:DWORD dst_unused:UNUSED_PAD src0_sel:BYTE_0
	v_cvt_f32_i32_sdwa v64, sext(v32) dst_sel:DWORD dst_unused:UNUSED_PAD src0_sel:BYTE_0
	v_cvt_f32_i32_sdwa v49, sext(v31) dst_sel:DWORD dst_unused:UNUSED_PAD src0_sel:BYTE_1
	v_cvt_f32_i32_sdwa v48, sext(v30) dst_sel:DWORD dst_unused:UNUSED_PAD src0_sel:BYTE_1
	v_cvt_f32_i32_sdwa v67, sext(v33) dst_sel:DWORD dst_unused:UNUSED_PAD src0_sel:BYTE_1
	v_cvt_f32_i32_sdwa v66, sext(v32) dst_sel:DWORD dst_unused:UNUSED_PAD src0_sel:BYTE_1
	v_cvt_f32_i32_sdwa v51, sext(v31) dst_sel:DWORD dst_unused:UNUSED_PAD src0_sel:BYTE_2
	v_cvt_f32_i32_sdwa v50, sext(v30) dst_sel:DWORD dst_unused:UNUSED_PAD src0_sel:BYTE_2
	v_cvt_f32_i32_sdwa v69, sext(v33) dst_sel:DWORD dst_unused:UNUSED_PAD src0_sel:BYTE_2
	v_cvt_f32_i32_sdwa v68, sext(v32) dst_sel:DWORD dst_unused:UNUSED_PAD src0_sel:BYTE_2
	v_cvt_f32_i32_sdwa v31, sext(v31) dst_sel:DWORD dst_unused:UNUSED_PAD src0_sel:BYTE_3
	v_cvt_f32_i32_sdwa v30, sext(v30) dst_sel:DWORD dst_unused:UNUSED_PAD src0_sel:BYTE_3
	v_cvt_f32_i32_sdwa v33, sext(v33) dst_sel:DWORD dst_unused:UNUSED_PAD src0_sel:BYTE_3
	v_cvt_f32_i32_sdwa v32, sext(v32) dst_sel:DWORD dst_unused:UNUSED_PAD src0_sel:BYTE_3
	;; [unrolled: 16-line block ×3, first 2 shown]
	s_waitcnt vmcnt(4)
	v_cvt_f32_i32_sdwa v75, sext(v35) dst_sel:DWORD dst_unused:UNUSED_PAD src0_sel:BYTE_0
	v_cvt_f32_i32_sdwa v74, sext(v34) dst_sel:DWORD dst_unused:UNUSED_PAD src0_sel:BYTE_0
	;; [unrolled: 1-line block ×4, first 2 shown]
	v_cvt_f32_i32_sdwa v77, sext(v35) dst_sel:DWORD dst_unused:UNUSED_PAD src0_sel:BYTE_1
	v_cvt_f32_i32_sdwa v76, sext(v34) dst_sel:DWORD dst_unused:UNUSED_PAD src0_sel:BYTE_1
	v_cvt_f32_i32_sdwa v83, sext(v37) dst_sel:DWORD dst_unused:UNUSED_PAD src0_sel:BYTE_1
	v_cvt_f32_i32_sdwa v82, sext(v36) dst_sel:DWORD dst_unused:UNUSED_PAD src0_sel:BYTE_1
	v_cvt_f32_i32_sdwa v79, sext(v35) dst_sel:DWORD dst_unused:UNUSED_PAD src0_sel:BYTE_2
	v_cvt_f32_i32_sdwa v78, sext(v34) dst_sel:DWORD dst_unused:UNUSED_PAD src0_sel:BYTE_2
	;; [unrolled: 1-line block ×4, first 2 shown]
	v_cvt_f32_i32_sdwa v35, sext(v35) dst_sel:DWORD dst_unused:UNUSED_PAD src0_sel:BYTE_3
	v_cvt_f32_i32_sdwa v34, sext(v34) dst_sel:DWORD dst_unused:UNUSED_PAD src0_sel:BYTE_3
	;; [unrolled: 1-line block ×4, first 2 shown]
	s_waitcnt vmcnt(3)
	v_cvt_f32_i32_sdwa v86, sext(v13) dst_sel:DWORD dst_unused:UNUSED_PAD src0_sel:BYTE_0
	v_cvt_f32_i32_sdwa v88, sext(v13) dst_sel:DWORD dst_unused:UNUSED_PAD src0_sel:BYTE_1
	v_cvt_f32_i32_sdwa v90, sext(v13) dst_sel:DWORD dst_unused:UNUSED_PAD src0_sel:BYTE_2
	v_cvt_f32_i32_sdwa v92, sext(v13) dst_sel:DWORD dst_unused:UNUSED_PAD src0_sel:BYTE_3
	s_waitcnt vmcnt(2)
	v_cvt_f32_i32_sdwa v94, sext(v15) dst_sel:DWORD dst_unused:UNUSED_PAD src0_sel:BYTE_0
	s_waitcnt vmcnt(1)
	v_pk_fma_f32 v[22:23], v[40:41], v[86:87], v[22:23] op_sel_hi:[1,0,1]
	v_pk_fma_f32 v[24:25], v[58:59], v[86:87], v[24:25] op_sel_hi:[1,0,1]
	v_cvt_f32_i32_sdwa v96, sext(v15) dst_sel:DWORD dst_unused:UNUSED_PAD src0_sel:BYTE_1
	s_waitcnt vmcnt(0)
	v_pk_fma_f32 v[22:23], v[42:43], v[88:89], v[22:23] op_sel_hi:[1,0,1]
	v_pk_fma_f32 v[24:25], v[60:61], v[88:89], v[24:25] op_sel_hi:[1,0,1]
	v_cvt_f32_i32_sdwa v40, sext(v15) dst_sel:DWORD dst_unused:UNUSED_PAD src0_sel:BYTE_2
	v_pk_fma_f32 v[22:23], v[44:45], v[90:91], v[22:23] op_sel_hi:[1,0,1]
	v_pk_fma_f32 v[24:25], v[62:63], v[90:91], v[24:25] op_sel_hi:[1,0,1]
	v_cvt_f32_i32_sdwa v98, sext(v15) dst_sel:DWORD dst_unused:UNUSED_PAD src0_sel:BYTE_3
	v_pk_fma_f32 v[22:23], v[26:27], v[92:93], v[22:23] op_sel_hi:[1,0,1]
	v_pk_fma_f32 v[24:25], v[28:29], v[92:93], v[24:25] op_sel_hi:[1,0,1]
	v_cvt_f32_i32_sdwa v58, sext(v87) dst_sel:DWORD dst_unused:UNUSED_PAD src0_sel:BYTE_0
	v_pk_fma_f32 v[22:23], v[46:47], v[94:95], v[22:23] op_sel_hi:[1,0,1]
	v_pk_fma_f32 v[24:25], v[64:65], v[94:95], v[24:25] op_sel_hi:[1,0,1]
	v_cvt_f32_i32_sdwa v86, sext(v87) dst_sel:DWORD dst_unused:UNUSED_PAD src0_sel:BYTE_1
	v_pk_fma_f32 v[22:23], v[48:49], v[96:97], v[22:23] op_sel_hi:[1,0,1]
	v_pk_fma_f32 v[24:25], v[66:67], v[96:97], v[24:25] op_sel_hi:[1,0,1]
	v_cvt_f32_i32_sdwa v42, sext(v87) dst_sel:DWORD dst_unused:UNUSED_PAD src0_sel:BYTE_2
	v_pk_fma_f32 v[22:23], v[50:51], v[40:41], v[22:23] op_sel_hi:[1,0,1]
	v_pk_fma_f32 v[24:25], v[68:69], v[40:41], v[24:25] op_sel_hi:[1,0,1]
	v_cvt_f32_i32_sdwa v60, sext(v87) dst_sel:DWORD dst_unused:UNUSED_PAD src0_sel:BYTE_3
	v_pk_fma_f32 v[22:23], v[30:31], v[98:99], v[22:23] op_sel_hi:[1,0,1]
	v_pk_fma_f32 v[24:25], v[32:33], v[98:99], v[24:25] op_sel_hi:[1,0,1]
	v_cvt_f32_i32_sdwa v88, sext(v89) dst_sel:DWORD dst_unused:UNUSED_PAD src0_sel:BYTE_0
	v_pk_fma_f32 v[22:23], v[52:53], v[58:59], v[22:23] op_sel_hi:[1,0,1]
	v_pk_fma_f32 v[24:25], v[70:71], v[58:59], v[24:25] op_sel_hi:[1,0,1]
	v_cvt_f32_i32_sdwa v44, sext(v89) dst_sel:DWORD dst_unused:UNUSED_PAD src0_sel:BYTE_1
	v_pk_fma_f32 v[22:23], v[54:55], v[86:87], v[22:23] op_sel_hi:[1,0,1]
	v_pk_fma_f32 v[24:25], v[72:73], v[86:87], v[24:25] op_sel_hi:[1,0,1]
	v_cvt_f32_i32_sdwa v62, sext(v89) dst_sel:DWORD dst_unused:UNUSED_PAD src0_sel:BYTE_2
	v_pk_fma_f32 v[22:23], v[38:39], v[42:43], v[22:23] op_sel_hi:[1,0,1]
	v_pk_fma_f32 v[24:25], v[56:57], v[42:43], v[24:25] op_sel_hi:[1,0,1]
	v_cvt_f32_i32_sdwa v90, sext(v89) dst_sel:DWORD dst_unused:UNUSED_PAD src0_sel:BYTE_3
	v_pk_fma_f32 v[0:1], v[0:1], v[60:61], v[22:23] op_sel_hi:[1,0,1]
	v_pk_fma_f32 v[2:3], v[2:3], v[60:61], v[24:25] op_sel_hi:[1,0,1]
	;; [unrolled: 1-line block ×10, first 2 shown]
	s_andn2_b64 exec, exec, s[18:19]
	s_cbranch_execnz .LBB80_21
; %bb.22:
	s_or_b64 exec, exec, s[18:19]
.LBB80_23:
	s_or_b64 exec, exec, s[10:11]
	v_mov_b32_e32 v15, v25
.LBB80_24:
	s_or_b64 exec, exec, s[6:7]
	v_mov_b32_e32 v25, v15
	s_cbranch_execz .LBB80_26
	s_branch .LBB80_37
.LBB80_25:
                                        ; implicit-def: $vgpr25
                                        ; implicit-def: $vgpr23
.LBB80_26:
	v_mov_b32_e32 v25, 0
	v_mov_b32_e32 v24, 0
	;; [unrolled: 1-line block ×4, first 2 shown]
	s_and_saveexec_b64 s[6:7], s[2:3]
	s_cbranch_execz .LBB80_36
; %bb.27:
	v_or_b32_e32 v0, 4, v14
	v_subrev_co_u32_e32 v0, vcc, s16, v0
	v_not_b32_e32 v2, v4
	s_nop 0
	v_subb_co_u32_e64 v1, s[2:3], 0, 0, vcc
	v_lshl_add_u64 v[0:1], v[0:1], 0, v[4:5]
	v_cmp_gt_i64_e32 vcc, v[0:1], v[18:19]
	v_not_b32_e32 v3, v5
	v_mov_b32_e32 v23, 0
	v_cndmask_b32_e32 v1, v19, v1, vcc
	v_cndmask_b32_e32 v0, v18, v0, vcc
	v_sub_co_u32_e32 v4, vcc, s16, v14
	v_mov_b32_e32 v24, v23
	s_nop 0
	v_subb_co_u32_e64 v5, s[2:3], 0, 0, vcc
	v_lshl_add_u64 v[2:3], v[4:5], 0, v[2:3]
	v_lshl_add_u64 v[0:1], v[2:3], 0, v[0:1]
	v_and_b32_e32 v22, 12, v0
	v_cmp_ne_u64_e32 vcc, 12, v[22:23]
	v_mov_b32_e32 v22, v23
	v_mov_b32_e32 v25, v23
	s_and_saveexec_b64 s[2:3], vcc
	s_cbranch_execz .LBB80_31
; %bb.28:
	v_lshrrev_b32_e32 v2, 2, v0
	v_add_u32_e32 v2, 1, v2
	v_and_b32_e32 v4, 3, v2
	v_mov_b32_e32 v22, 0
	v_sub_co_u32_e32 v4, vcc, 0, v4
	v_lshl_add_u64 v[2:3], v[16:17], 2, s[8:9]
	s_mov_b64 s[10:11], 0
	v_subb_co_u32_e64 v5, s[18:19], 0, 0, vcc
	v_mov_b32_e32 v23, v22
	v_mov_b32_e32 v24, v22
	;; [unrolled: 1-line block ×3, first 2 shown]
.LBB80_29:                              ; =>This Inner Loop Header: Depth=1
	global_load_dword v10, v[2:3], off
	global_load_dwordx4 v[6:9], v[20:21], off
	v_lshl_add_u64 v[4:5], v[4:5], 0, 1
	v_cmp_eq_u64_e32 vcc, 0, v[4:5]
	v_lshl_add_u64 v[20:21], v[20:21], 0, 64
	v_lshl_add_u64 v[16:17], v[16:17], 0, 4
	;; [unrolled: 1-line block ×3, first 2 shown]
	s_or_b64 s[10:11], vcc, s[10:11]
	s_waitcnt vmcnt(1)
	v_subrev_u32_e32 v10, s16, v10
	v_lshlrev_b32_e32 v10, 2, v10
	v_ashrrev_i32_e32 v11, 31, v10
	s_waitcnt lgkmcnt(0)
	v_lshl_add_u64 v[10:11], s[4:5], 0, v[10:11]
	global_load_dword v13, v[10:11], off
	s_waitcnt vmcnt(1)
	v_cvt_f32_i32_sdwa v11, sext(v6) dst_sel:DWORD dst_unused:UNUSED_PAD src0_sel:BYTE_1
	v_cvt_f32_i32_sdwa v10, sext(v6) dst_sel:DWORD dst_unused:UNUSED_PAD src0_sel:BYTE_0
	v_cvt_f32_i32_sdwa v27, sext(v7) dst_sel:DWORD dst_unused:UNUSED_PAD src0_sel:BYTE_1
	v_cvt_f32_i32_sdwa v26, sext(v7) dst_sel:DWORD dst_unused:UNUSED_PAD src0_sel:BYTE_0
	;; [unrolled: 2-line block ×3, first 2 shown]
	v_cvt_f32_i32_sdwa v33, sext(v6) dst_sel:DWORD dst_unused:UNUSED_PAD src0_sel:BYTE_3
	v_cvt_f32_i32_sdwa v32, sext(v6) dst_sel:DWORD dst_unused:UNUSED_PAD src0_sel:BYTE_2
	v_cvt_f32_i32_sdwa v35, sext(v7) dst_sel:DWORD dst_unused:UNUSED_PAD src0_sel:BYTE_3
	v_cvt_f32_i32_sdwa v34, sext(v7) dst_sel:DWORD dst_unused:UNUSED_PAD src0_sel:BYTE_2
	;; [unrolled: 2-line block ×3, first 2 shown]
	v_cvt_f32_i32_sdwa v31, sext(v9) dst_sel:DWORD dst_unused:UNUSED_PAD src0_sel:BYTE_1
	v_cvt_f32_i32_sdwa v30, sext(v9) dst_sel:DWORD dst_unused:UNUSED_PAD src0_sel:BYTE_0
	v_cvt_f32_i32_sdwa v37, sext(v9) dst_sel:DWORD dst_unused:UNUSED_PAD src0_sel:BYTE_3
	v_cvt_f32_i32_sdwa v36, sext(v9) dst_sel:DWORD dst_unused:UNUSED_PAD src0_sel:BYTE_2
	s_waitcnt vmcnt(0)
	v_cvt_f32_i32_sdwa v8, sext(v13) dst_sel:DWORD dst_unused:UNUSED_PAD src0_sel:BYTE_0
	v_cvt_f32_i32_sdwa v38, sext(v13) dst_sel:DWORD dst_unused:UNUSED_PAD src0_sel:BYTE_1
	v_cvt_f32_i32_sdwa v40, sext(v13) dst_sel:DWORD dst_unused:UNUSED_PAD src0_sel:BYTE_2
	v_cvt_f32_i32_sdwa v42, sext(v13) dst_sel:DWORD dst_unused:UNUSED_PAD src0_sel:BYTE_3
	v_pk_fma_f32 v[10:11], v[10:11], v[8:9], v[22:23] op_sel_hi:[1,0,1]
	v_pk_fma_f32 v[8:9], v[32:33], v[8:9], v[24:25] op_sel_hi:[1,0,1]
	;; [unrolled: 1-line block ×8, first 2 shown]
	s_andn2_b64 exec, exec, s[10:11]
	s_cbranch_execnz .LBB80_29
; %bb.30:
	s_or_b64 exec, exec, s[10:11]
.LBB80_31:
	s_or_b64 exec, exec, s[2:3]
	v_cmp_lt_u64_e32 vcc, 11, v[0:1]
	s_and_saveexec_b64 s[2:3], vcc
	s_cbranch_execz .LBB80_35
; %bb.32:
	v_lshl_add_u64 v[0:1], v[16:17], 2, s[8:9]
	v_lshl_add_u64 v[26:27], v[0:1], 0, 32
	s_mov_b64 s[8:9], 0
	s_mov_b64 s[10:11], 0x100
.LBB80_33:                              ; =>This Inner Loop Header: Depth=1
	global_load_dwordx4 v[0:3], v[20:21], off
	global_load_dwordx4 v[4:7], v[20:21], off offset:64
	global_load_dwordx4 v[8:11], v[20:21], off offset:128
	global_load_dword v13, v[26:27], off offset:-32
	global_load_dword v15, v[26:27], off offset:-16
	global_load_dword v56, v[26:27], off
	global_load_dword v57, v[26:27], off offset:16
	global_load_dwordx4 v[28:31], v[20:21], off offset:192
	v_lshl_add_u64 v[16:17], v[16:17], 0, 16
	v_cmp_ge_i64_e32 vcc, v[16:17], v[18:19]
	v_lshl_add_u64 v[26:27], v[26:27], 0, 64
	v_lshl_add_u64 v[20:21], v[20:21], 0, s[10:11]
	s_or_b64 s[8:9], vcc, s[8:9]
	s_waitcnt vmcnt(7)
	v_cvt_f32_i32_sdwa v33, sext(v0) dst_sel:DWORD dst_unused:UNUSED_PAD src0_sel:BYTE_1
	v_cvt_f32_i32_sdwa v32, sext(v0) dst_sel:DWORD dst_unused:UNUSED_PAD src0_sel:BYTE_0
	v_cvt_f32_i32_sdwa v53, sext(v0) dst_sel:DWORD dst_unused:UNUSED_PAD src0_sel:BYTE_3
	v_cvt_f32_i32_sdwa v52, sext(v0) dst_sel:DWORD dst_unused:UNUSED_PAD src0_sel:BYTE_2
	s_waitcnt vmcnt(4)
	v_subrev_u32_e32 v0, s16, v13
	s_waitcnt vmcnt(3)
	v_subrev_u32_e32 v13, s16, v15
	;; [unrolled: 2-line block ×4, first 2 shown]
	v_lshlrev_b32_e32 v56, 2, v0
	v_lshlrev_b32_e32 v58, 2, v13
	;; [unrolled: 1-line block ×4, first 2 shown]
	v_ashrrev_i32_e32 v57, 31, v56
	v_ashrrev_i32_e32 v59, 31, v58
	;; [unrolled: 1-line block ×4, first 2 shown]
	s_waitcnt lgkmcnt(0)
	v_lshl_add_u64 v[56:57], s[4:5], 0, v[56:57]
	v_lshl_add_u64 v[58:59], s[4:5], 0, v[58:59]
	;; [unrolled: 1-line block ×4, first 2 shown]
	global_load_dword v13, v[56:57], off
	global_load_dword v15, v[58:59], off
	;; [unrolled: 1-line block ×4, first 2 shown]
	v_cvt_f32_i32_sdwa v35, sext(v1) dst_sel:DWORD dst_unused:UNUSED_PAD src0_sel:BYTE_1
	v_cvt_f32_i32_sdwa v34, sext(v1) dst_sel:DWORD dst_unused:UNUSED_PAD src0_sel:BYTE_0
	v_cvt_f32_i32_sdwa v37, sext(v2) dst_sel:DWORD dst_unused:UNUSED_PAD src0_sel:BYTE_1
	v_cvt_f32_i32_sdwa v36, sext(v2) dst_sel:DWORD dst_unused:UNUSED_PAD src0_sel:BYTE_0
	;; [unrolled: 2-line block ×9, first 2 shown]
	v_cvt_f32_i32_sdwa v55, sext(v1) dst_sel:DWORD dst_unused:UNUSED_PAD src0_sel:BYTE_3
	v_cvt_f32_i32_sdwa v54, sext(v1) dst_sel:DWORD dst_unused:UNUSED_PAD src0_sel:BYTE_2
	v_cvt_f32_i32_sdwa v1, sext(v2) dst_sel:DWORD dst_unused:UNUSED_PAD src0_sel:BYTE_3
	v_cvt_f32_i32_sdwa v0, sext(v2) dst_sel:DWORD dst_unused:UNUSED_PAD src0_sel:BYTE_2
	;; [unrolled: 2-line block ×9, first 2 shown]
	v_cvt_f32_i32_sdwa v9, sext(v10) dst_sel:DWORD dst_unused:UNUSED_PAD src0_sel:BYTE_1
	v_cvt_f32_i32_sdwa v8, sext(v10) dst_sel:DWORD dst_unused:UNUSED_PAD src0_sel:BYTE_0
	v_cvt_f32_i32_sdwa v65, sext(v10) dst_sel:DWORD dst_unused:UNUSED_PAD src0_sel:BYTE_3
	v_cvt_f32_i32_sdwa v64, sext(v10) dst_sel:DWORD dst_unused:UNUSED_PAD src0_sel:BYTE_2
	v_cvt_f32_i32_sdwa v67, sext(v11) dst_sel:DWORD dst_unused:UNUSED_PAD src0_sel:BYTE_1
	v_cvt_f32_i32_sdwa v66, sext(v11) dst_sel:DWORD dst_unused:UNUSED_PAD src0_sel:BYTE_0
	v_cvt_f32_i32_sdwa v69, sext(v11) dst_sel:DWORD dst_unused:UNUSED_PAD src0_sel:BYTE_3
	v_cvt_f32_i32_sdwa v68, sext(v11) dst_sel:DWORD dst_unused:UNUSED_PAD src0_sel:BYTE_2
	s_waitcnt vmcnt(4)
	v_cvt_f32_i32_sdwa v11, sext(v28) dst_sel:DWORD dst_unused:UNUSED_PAD src0_sel:BYTE_1
	v_cvt_f32_i32_sdwa v10, sext(v28) dst_sel:DWORD dst_unused:UNUSED_PAD src0_sel:BYTE_0
	v_cvt_f32_i32_sdwa v71, sext(v29) dst_sel:DWORD dst_unused:UNUSED_PAD src0_sel:BYTE_1
	v_cvt_f32_i32_sdwa v70, sext(v29) dst_sel:DWORD dst_unused:UNUSED_PAD src0_sel:BYTE_0
	;; [unrolled: 2-line block ×3, first 2 shown]
	v_cvt_f32_i32_sdwa v77, sext(v28) dst_sel:DWORD dst_unused:UNUSED_PAD src0_sel:BYTE_3
	v_cvt_f32_i32_sdwa v76, sext(v28) dst_sel:DWORD dst_unused:UNUSED_PAD src0_sel:BYTE_2
	v_cvt_f32_i32_sdwa v79, sext(v29) dst_sel:DWORD dst_unused:UNUSED_PAD src0_sel:BYTE_3
	v_cvt_f32_i32_sdwa v78, sext(v29) dst_sel:DWORD dst_unused:UNUSED_PAD src0_sel:BYTE_2
	v_cvt_f32_i32_sdwa v29, sext(v30) dst_sel:DWORD dst_unused:UNUSED_PAD src0_sel:BYTE_3
	v_cvt_f32_i32_sdwa v28, sext(v30) dst_sel:DWORD dst_unused:UNUSED_PAD src0_sel:BYTE_2
	v_cvt_f32_i32_sdwa v75, sext(v31) dst_sel:DWORD dst_unused:UNUSED_PAD src0_sel:BYTE_1
	v_cvt_f32_i32_sdwa v74, sext(v31) dst_sel:DWORD dst_unused:UNUSED_PAD src0_sel:BYTE_0
	v_cvt_f32_i32_sdwa v81, sext(v31) dst_sel:DWORD dst_unused:UNUSED_PAD src0_sel:BYTE_3
	v_cvt_f32_i32_sdwa v80, sext(v31) dst_sel:DWORD dst_unused:UNUSED_PAD src0_sel:BYTE_2
	s_waitcnt vmcnt(3)
	v_cvt_f32_i32_sdwa v30, sext(v13) dst_sel:DWORD dst_unused:UNUSED_PAD src0_sel:BYTE_0
	v_cvt_f32_i32_sdwa v82, sext(v13) dst_sel:DWORD dst_unused:UNUSED_PAD src0_sel:BYTE_1
	v_cvt_f32_i32_sdwa v84, sext(v13) dst_sel:DWORD dst_unused:UNUSED_PAD src0_sel:BYTE_2
	v_cvt_f32_i32_sdwa v86, sext(v13) dst_sel:DWORD dst_unused:UNUSED_PAD src0_sel:BYTE_3
	s_waitcnt vmcnt(2)
	v_cvt_f32_i32_sdwa v88, sext(v15) dst_sel:DWORD dst_unused:UNUSED_PAD src0_sel:BYTE_0
	v_pk_fma_f32 v[22:23], v[32:33], v[30:31], v[22:23] op_sel_hi:[1,0,1]
	v_pk_fma_f32 v[24:25], v[52:53], v[30:31], v[24:25] op_sel_hi:[1,0,1]
	v_cvt_f32_i32_sdwa v90, sext(v15) dst_sel:DWORD dst_unused:UNUSED_PAD src0_sel:BYTE_1
	s_waitcnt vmcnt(1)
	v_pk_fma_f32 v[22:23], v[34:35], v[82:83], v[22:23] op_sel_hi:[1,0,1]
	v_pk_fma_f32 v[24:25], v[54:55], v[82:83], v[24:25] op_sel_hi:[1,0,1]
	v_cvt_f32_i32_sdwa v32, sext(v15) dst_sel:DWORD dst_unused:UNUSED_PAD src0_sel:BYTE_2
	s_waitcnt vmcnt(0)
	v_pk_fma_f32 v[22:23], v[36:37], v[84:85], v[22:23] op_sel_hi:[1,0,1]
	v_pk_fma_f32 v[0:1], v[0:1], v[84:85], v[24:25] op_sel_hi:[1,0,1]
	v_cvt_f32_i32_sdwa v92, sext(v15) dst_sel:DWORD dst_unused:UNUSED_PAD src0_sel:BYTE_3
	v_pk_fma_f32 v[22:23], v[38:39], v[86:87], v[22:23] op_sel_hi:[1,0,1]
	v_pk_fma_f32 v[0:1], v[56:57], v[86:87], v[0:1] op_sel_hi:[1,0,1]
	v_cvt_f32_i32_sdwa v30, sext(v83) dst_sel:DWORD dst_unused:UNUSED_PAD src0_sel:BYTE_0
	v_pk_fma_f32 v[22:23], v[40:41], v[88:89], v[22:23] op_sel_hi:[1,0,1]
	v_pk_fma_f32 v[0:1], v[2:3], v[88:89], v[0:1] op_sel_hi:[1,0,1]
	v_cvt_f32_i32_sdwa v52, sext(v83) dst_sel:DWORD dst_unused:UNUSED_PAD src0_sel:BYTE_1
	v_pk_fma_f32 v[2:3], v[42:43], v[90:91], v[22:23] op_sel_hi:[1,0,1]
	v_pk_fma_f32 v[0:1], v[58:59], v[90:91], v[0:1] op_sel_hi:[1,0,1]
	v_cvt_f32_i32_sdwa v34, sext(v83) dst_sel:DWORD dst_unused:UNUSED_PAD src0_sel:BYTE_2
	v_pk_fma_f32 v[2:3], v[44:45], v[32:33], v[2:3] op_sel_hi:[1,0,1]
	v_pk_fma_f32 v[0:1], v[4:5], v[32:33], v[0:1] op_sel_hi:[1,0,1]
	v_cvt_f32_i32_sdwa v54, sext(v83) dst_sel:DWORD dst_unused:UNUSED_PAD src0_sel:BYTE_3
	v_pk_fma_f32 v[2:3], v[46:47], v[92:93], v[2:3] op_sel_hi:[1,0,1]
	v_pk_fma_f32 v[0:1], v[60:61], v[92:93], v[0:1] op_sel_hi:[1,0,1]
	v_cvt_f32_i32_sdwa v82, sext(v85) dst_sel:DWORD dst_unused:UNUSED_PAD src0_sel:BYTE_0
	v_pk_fma_f32 v[2:3], v[48:49], v[30:31], v[2:3] op_sel_hi:[1,0,1]
	v_pk_fma_f32 v[0:1], v[6:7], v[30:31], v[0:1] op_sel_hi:[1,0,1]
	v_cvt_f32_i32_sdwa v36, sext(v85) dst_sel:DWORD dst_unused:UNUSED_PAD src0_sel:BYTE_1
	v_pk_fma_f32 v[2:3], v[50:51], v[52:53], v[2:3] op_sel_hi:[1,0,1]
	v_pk_fma_f32 v[0:1], v[62:63], v[52:53], v[0:1] op_sel_hi:[1,0,1]
	v_cvt_f32_i32_sdwa v24, sext(v85) dst_sel:DWORD dst_unused:UNUSED_PAD src0_sel:BYTE_2
	v_pk_fma_f32 v[2:3], v[8:9], v[34:35], v[2:3] op_sel_hi:[1,0,1]
	v_pk_fma_f32 v[0:1], v[64:65], v[34:35], v[0:1] op_sel_hi:[1,0,1]
	v_cvt_f32_i32_sdwa v84, sext(v85) dst_sel:DWORD dst_unused:UNUSED_PAD src0_sel:BYTE_3
	v_pk_fma_f32 v[2:3], v[66:67], v[54:55], v[2:3] op_sel_hi:[1,0,1]
	v_pk_fma_f32 v[0:1], v[68:69], v[54:55], v[0:1] op_sel_hi:[1,0,1]
	;; [unrolled: 1-line block ×10, first 2 shown]
	s_andn2_b64 exec, exec, s[8:9]
	s_cbranch_execnz .LBB80_33
; %bb.34:
	s_or_b64 exec, exec, s[8:9]
.LBB80_35:
	s_or_b64 exec, exec, s[2:3]
.LBB80_36:
	s_or_b64 exec, exec, s[6:7]
.LBB80_37:
	v_mov_b32_dpp v0, v22 row_shr:1 row_mask:0xf bank_mask:0xf
	v_mov_b32_dpp v1, v23 row_shr:1 row_mask:0xf bank_mask:0xf
	;; [unrolled: 1-line block ×4, first 2 shown]
	v_pk_add_f32 v[0:1], v[22:23], v[0:1]
	v_pk_add_f32 v[4:5], v[24:25], v[4:5]
	v_cmp_eq_u32_e32 vcc, 3, v14
	v_mov_b32_dpp v2, v0 row_shr:2 row_mask:0xf bank_mask:0xf
	v_mov_b32_dpp v3, v1 row_shr:2 row_mask:0xf bank_mask:0xf
	;; [unrolled: 1-line block ×4, first 2 shown]
	s_and_b64 exec, exec, vcc
	s_cbranch_execz .LBB80_10
; %bb.38:
	s_load_dwordx2 s[0:1], s[0:1], 0x50
	v_cmp_eq_f32_e64 s[2:3], s14, 0
	v_pk_add_f32 v[2:3], v[0:1], v[2:3]
	v_pk_add_f32 v[0:1], v[4:5], v[6:7]
	s_and_b64 vcc, exec, s[2:3]
	v_lshlrev_b32_e32 v4, 2, v12
	s_cbranch_vccz .LBB80_40
; %bb.39:
	v_ashrrev_i32_e32 v5, 31, v4
	s_waitcnt lgkmcnt(0)
	v_lshl_add_u64 v[10:11], v[4:5], 2, s[0:1]
	v_pk_mul_f32 v[6:7], s[12:13], v[2:3] op_sel_hi:[0,1]
	v_pk_mul_f32 v[8:9], s[12:13], v[0:1] op_sel_hi:[0,1]
	global_store_dwordx4 v[10:11], v[6:9], off
	s_cbranch_execnz .LBB80_10
	s_branch .LBB80_41
.LBB80_40:
.LBB80_41:
	v_ashrrev_i32_e32 v5, 31, v4
	s_waitcnt lgkmcnt(0)
	v_lshl_add_u64 v[8:9], v[4:5], 2, s[0:1]
	global_load_dwordx4 v[4:7], v[8:9], off
	v_pk_mul_f32 v[2:3], s[12:13], v[2:3] op_sel_hi:[0,1]
	v_pk_mul_f32 v[10:11], s[12:13], v[0:1] op_sel_hi:[0,1]
	s_waitcnt vmcnt(0)
	v_pk_fma_f32 v[0:1], s[14:15], v[4:5], v[2:3] op_sel_hi:[0,1,1]
	v_pk_fma_f32 v[2:3], s[14:15], v[6:7], v[10:11] op_sel_hi:[0,1,1]
	global_store_dwordx4 v[8:9], v[0:3], off
	s_endpgm
	.section	.rodata,"a",@progbits
	.p2align	6, 0x0
	.amdhsa_kernel _ZN9rocsparseL18bsrxmvn_4x4_kernelILj128ELj4EfliaafEEvT3_20rocsparse_direction_NS_24const_host_device_scalarIT1_EES1_PKS1_PKT2_SA_S7_PKT4_PKT5_S5_PT6_21rocsparse_index_base_b
		.amdhsa_group_segment_fixed_size 0
		.amdhsa_private_segment_fixed_size 0
		.amdhsa_kernarg_size 96
		.amdhsa_user_sgpr_count 2
		.amdhsa_user_sgpr_dispatch_ptr 0
		.amdhsa_user_sgpr_queue_ptr 0
		.amdhsa_user_sgpr_kernarg_segment_ptr 1
		.amdhsa_user_sgpr_dispatch_id 0
		.amdhsa_user_sgpr_kernarg_preload_length 0
		.amdhsa_user_sgpr_kernarg_preload_offset 0
		.amdhsa_user_sgpr_private_segment_size 0
		.amdhsa_uses_dynamic_stack 0
		.amdhsa_enable_private_segment 0
		.amdhsa_system_sgpr_workgroup_id_x 1
		.amdhsa_system_sgpr_workgroup_id_y 0
		.amdhsa_system_sgpr_workgroup_id_z 0
		.amdhsa_system_sgpr_workgroup_info 0
		.amdhsa_system_vgpr_workitem_id 0
		.amdhsa_next_free_vgpr 100
		.amdhsa_next_free_sgpr 22
		.amdhsa_accum_offset 100
		.amdhsa_reserve_vcc 1
		.amdhsa_float_round_mode_32 0
		.amdhsa_float_round_mode_16_64 0
		.amdhsa_float_denorm_mode_32 3
		.amdhsa_float_denorm_mode_16_64 3
		.amdhsa_dx10_clamp 1
		.amdhsa_ieee_mode 1
		.amdhsa_fp16_overflow 0
		.amdhsa_tg_split 0
		.amdhsa_exception_fp_ieee_invalid_op 0
		.amdhsa_exception_fp_denorm_src 0
		.amdhsa_exception_fp_ieee_div_zero 0
		.amdhsa_exception_fp_ieee_overflow 0
		.amdhsa_exception_fp_ieee_underflow 0
		.amdhsa_exception_fp_ieee_inexact 0
		.amdhsa_exception_int_div_zero 0
	.end_amdhsa_kernel
	.section	.text._ZN9rocsparseL18bsrxmvn_4x4_kernelILj128ELj4EfliaafEEvT3_20rocsparse_direction_NS_24const_host_device_scalarIT1_EES1_PKS1_PKT2_SA_S7_PKT4_PKT5_S5_PT6_21rocsparse_index_base_b,"axG",@progbits,_ZN9rocsparseL18bsrxmvn_4x4_kernelILj128ELj4EfliaafEEvT3_20rocsparse_direction_NS_24const_host_device_scalarIT1_EES1_PKS1_PKT2_SA_S7_PKT4_PKT5_S5_PT6_21rocsparse_index_base_b,comdat
.Lfunc_end80:
	.size	_ZN9rocsparseL18bsrxmvn_4x4_kernelILj128ELj4EfliaafEEvT3_20rocsparse_direction_NS_24const_host_device_scalarIT1_EES1_PKS1_PKT2_SA_S7_PKT4_PKT5_S5_PT6_21rocsparse_index_base_b, .Lfunc_end80-_ZN9rocsparseL18bsrxmvn_4x4_kernelILj128ELj4EfliaafEEvT3_20rocsparse_direction_NS_24const_host_device_scalarIT1_EES1_PKS1_PKT2_SA_S7_PKT4_PKT5_S5_PT6_21rocsparse_index_base_b
                                        ; -- End function
	.set _ZN9rocsparseL18bsrxmvn_4x4_kernelILj128ELj4EfliaafEEvT3_20rocsparse_direction_NS_24const_host_device_scalarIT1_EES1_PKS1_PKT2_SA_S7_PKT4_PKT5_S5_PT6_21rocsparse_index_base_b.num_vgpr, 100
	.set _ZN9rocsparseL18bsrxmvn_4x4_kernelILj128ELj4EfliaafEEvT3_20rocsparse_direction_NS_24const_host_device_scalarIT1_EES1_PKS1_PKT2_SA_S7_PKT4_PKT5_S5_PT6_21rocsparse_index_base_b.num_agpr, 0
	.set _ZN9rocsparseL18bsrxmvn_4x4_kernelILj128ELj4EfliaafEEvT3_20rocsparse_direction_NS_24const_host_device_scalarIT1_EES1_PKS1_PKT2_SA_S7_PKT4_PKT5_S5_PT6_21rocsparse_index_base_b.numbered_sgpr, 22
	.set _ZN9rocsparseL18bsrxmvn_4x4_kernelILj128ELj4EfliaafEEvT3_20rocsparse_direction_NS_24const_host_device_scalarIT1_EES1_PKS1_PKT2_SA_S7_PKT4_PKT5_S5_PT6_21rocsparse_index_base_b.num_named_barrier, 0
	.set _ZN9rocsparseL18bsrxmvn_4x4_kernelILj128ELj4EfliaafEEvT3_20rocsparse_direction_NS_24const_host_device_scalarIT1_EES1_PKS1_PKT2_SA_S7_PKT4_PKT5_S5_PT6_21rocsparse_index_base_b.private_seg_size, 0
	.set _ZN9rocsparseL18bsrxmvn_4x4_kernelILj128ELj4EfliaafEEvT3_20rocsparse_direction_NS_24const_host_device_scalarIT1_EES1_PKS1_PKT2_SA_S7_PKT4_PKT5_S5_PT6_21rocsparse_index_base_b.uses_vcc, 1
	.set _ZN9rocsparseL18bsrxmvn_4x4_kernelILj128ELj4EfliaafEEvT3_20rocsparse_direction_NS_24const_host_device_scalarIT1_EES1_PKS1_PKT2_SA_S7_PKT4_PKT5_S5_PT6_21rocsparse_index_base_b.uses_flat_scratch, 0
	.set _ZN9rocsparseL18bsrxmvn_4x4_kernelILj128ELj4EfliaafEEvT3_20rocsparse_direction_NS_24const_host_device_scalarIT1_EES1_PKS1_PKT2_SA_S7_PKT4_PKT5_S5_PT6_21rocsparse_index_base_b.has_dyn_sized_stack, 0
	.set _ZN9rocsparseL18bsrxmvn_4x4_kernelILj128ELj4EfliaafEEvT3_20rocsparse_direction_NS_24const_host_device_scalarIT1_EES1_PKS1_PKT2_SA_S7_PKT4_PKT5_S5_PT6_21rocsparse_index_base_b.has_recursion, 0
	.set _ZN9rocsparseL18bsrxmvn_4x4_kernelILj128ELj4EfliaafEEvT3_20rocsparse_direction_NS_24const_host_device_scalarIT1_EES1_PKS1_PKT2_SA_S7_PKT4_PKT5_S5_PT6_21rocsparse_index_base_b.has_indirect_call, 0
	.section	.AMDGPU.csdata,"",@progbits
; Kernel info:
; codeLenInByte = 4172
; TotalNumSgprs: 28
; NumVgprs: 100
; NumAgprs: 0
; TotalNumVgprs: 100
; ScratchSize: 0
; MemoryBound: 0
; FloatMode: 240
; IeeeMode: 1
; LDSByteSize: 0 bytes/workgroup (compile time only)
; SGPRBlocks: 3
; VGPRBlocks: 12
; NumSGPRsForWavesPerEU: 28
; NumVGPRsForWavesPerEU: 100
; AccumOffset: 100
; Occupancy: 4
; WaveLimiterHint : 1
; COMPUTE_PGM_RSRC2:SCRATCH_EN: 0
; COMPUTE_PGM_RSRC2:USER_SGPR: 2
; COMPUTE_PGM_RSRC2:TRAP_HANDLER: 0
; COMPUTE_PGM_RSRC2:TGID_X_EN: 1
; COMPUTE_PGM_RSRC2:TGID_Y_EN: 0
; COMPUTE_PGM_RSRC2:TGID_Z_EN: 0
; COMPUTE_PGM_RSRC2:TIDIG_COMP_CNT: 0
; COMPUTE_PGM_RSRC3_GFX90A:ACCUM_OFFSET: 24
; COMPUTE_PGM_RSRC3_GFX90A:TG_SPLIT: 0
	.section	.text._ZN9rocsparseL18bsrxmvn_4x4_kernelILj128ELj8EfliaafEEvT3_20rocsparse_direction_NS_24const_host_device_scalarIT1_EES1_PKS1_PKT2_SA_S7_PKT4_PKT5_S5_PT6_21rocsparse_index_base_b,"axG",@progbits,_ZN9rocsparseL18bsrxmvn_4x4_kernelILj128ELj8EfliaafEEvT3_20rocsparse_direction_NS_24const_host_device_scalarIT1_EES1_PKS1_PKT2_SA_S7_PKT4_PKT5_S5_PT6_21rocsparse_index_base_b,comdat
	.globl	_ZN9rocsparseL18bsrxmvn_4x4_kernelILj128ELj8EfliaafEEvT3_20rocsparse_direction_NS_24const_host_device_scalarIT1_EES1_PKS1_PKT2_SA_S7_PKT4_PKT5_S5_PT6_21rocsparse_index_base_b ; -- Begin function _ZN9rocsparseL18bsrxmvn_4x4_kernelILj128ELj8EfliaafEEvT3_20rocsparse_direction_NS_24const_host_device_scalarIT1_EES1_PKS1_PKT2_SA_S7_PKT4_PKT5_S5_PT6_21rocsparse_index_base_b
	.p2align	8
	.type	_ZN9rocsparseL18bsrxmvn_4x4_kernelILj128ELj8EfliaafEEvT3_20rocsparse_direction_NS_24const_host_device_scalarIT1_EES1_PKS1_PKT2_SA_S7_PKT4_PKT5_S5_PT6_21rocsparse_index_base_b,@function
_ZN9rocsparseL18bsrxmvn_4x4_kernelILj128ELj8EfliaafEEvT3_20rocsparse_direction_NS_24const_host_device_scalarIT1_EES1_PKS1_PKT2_SA_S7_PKT4_PKT5_S5_PT6_21rocsparse_index_base_b: ; @_ZN9rocsparseL18bsrxmvn_4x4_kernelILj128ELj8EfliaafEEvT3_20rocsparse_direction_NS_24const_host_device_scalarIT1_EES1_PKS1_PKT2_SA_S7_PKT4_PKT5_S5_PT6_21rocsparse_index_base_b
; %bb.0:
	s_load_dwordx2 s[16:17], s[0:1], 0x58
	s_load_dwordx2 s[12:13], s[0:1], 0x8
	;; [unrolled: 1-line block ×3, first 2 shown]
	s_waitcnt lgkmcnt(0)
	s_bitcmp1_b32 s17, 0
	s_cselect_b64 s[6:7], -1, 0
	s_xor_b64 s[4:5], s[6:7], -1
	s_and_b64 vcc, exec, s[6:7]
	s_cbranch_vccnz .LBB81_2
; %bb.1:
	s_load_dword s12, s[12:13], 0x0
.LBB81_2:
	s_andn2_b64 vcc, exec, s[4:5]
	s_cbranch_vccnz .LBB81_4
; %bb.3:
	s_load_dword s14, s[14:15], 0x0
.LBB81_4:
	s_waitcnt lgkmcnt(0)
	v_cmp_neq_f32_e64 s[4:5], s12, 0
	v_cmp_neq_f32_e64 s[6:7], s14, 1.0
	s_or_b64 s[4:5], s[4:5], s[6:7]
	s_andn2_b64 vcc, exec, s[4:5]
	s_cbranch_vccnz .LBB81_10
; %bb.5:
	s_load_dwordx2 s[4:5], s[0:1], 0x18
	s_load_dwordx2 s[18:19], s[0:1], 0x0
	v_lshrrev_b32_e32 v1, 3, v0
	v_lshl_or_b32 v12, s2, 4, v1
	s_mov_b64 s[2:3], 0
	s_waitcnt lgkmcnt(0)
	s_cmp_lg_u64 s[4:5], 0
	s_cbranch_scc0 .LBB81_11
; %bb.6:
	s_load_dword s6, s[0:1], 0x10
                                        ; implicit-def: $vgpr1
	s_waitcnt lgkmcnt(0)
	v_cmp_gt_i32_e32 vcc, s6, v12
	s_and_saveexec_b64 s[6:7], vcc
	s_xor_b64 s[6:7], exec, s[6:7]
	s_cbranch_execz .LBB81_8
; %bb.7:
	v_ashrrev_i32_e32 v13, 31, v12
	v_lshl_add_u64 v[2:3], v[12:13], 2, s[4:5]
	global_load_dword v1, v[2:3], off
	s_mov_b64 s[2:3], exec
	s_waitcnt vmcnt(0)
	v_subrev_u32_e32 v1, s16, v1
.LBB81_8:
	s_or_b64 exec, exec, s[6:7]
	s_branch .LBB81_12
.LBB81_9:
	v_cmp_gt_i32_e32 vcc, s18, v12
	s_andn2_b64 s[2:3], s[2:3], exec
	s_and_b64 s[4:5], vcc, exec
	s_or_b64 s[2:3], s[2:3], s[4:5]
	s_and_saveexec_b64 s[4:5], s[2:3]
	s_cbranch_execnz .LBB81_13
.LBB81_10:
	s_endpgm
.LBB81_11:
                                        ; implicit-def: $vgpr1
	s_cbranch_execnz .LBB81_9
.LBB81_12:
	v_mov_b32_e32 v12, v1
	s_and_saveexec_b64 s[4:5], s[2:3]
	s_cbranch_execz .LBB81_10
.LBB81_13:
	s_load_dwordx8 s[4:11], s[0:1], 0x20
	v_ashrrev_i32_e32 v13, 31, v12
	v_lshlrev_b64 v[2:3], 3, v[12:13]
	v_and_b32_e32 v14, 7, v0
	v_mov_b32_e32 v15, 0
	s_waitcnt lgkmcnt(0)
	v_lshl_add_u64 v[4:5], s[4:5], 0, v[2:3]
	s_cmp_eq_u64 s[6:7], 0
	v_lshl_add_u64 v[2:3], s[6:7], 0, v[2:3]
	global_load_dwordx2 v[8:9], v[4:5], off
	v_lshl_add_u64 v[4:5], v[4:5], 0, 8
	s_cselect_b64 vcc, -1, 0
	v_cndmask_b32_e32 v3, v3, v5, vcc
	v_cndmask_b32_e32 v2, v2, v4, vcc
	global_load_dwordx2 v[2:3], v[2:3], off
	s_load_dwordx2 s[4:5], s[0:1], 0x40
	s_cmp_eq_u32 s19, 1
	s_waitcnt vmcnt(1)
	v_subrev_co_u32_e32 v0, vcc, s16, v8
	s_nop 1
	v_subbrev_co_u32_e32 v1, vcc, 0, v9, vcc
	v_lshl_add_u64 v[16:17], v[0:1], 0, v[14:15]
	s_waitcnt vmcnt(0)
	v_subrev_co_u32_e32 v18, vcc, s16, v2
	v_lshl_add_u64 v[20:21], v[16:17], 4, s[10:11]
	s_nop 0
	v_subbrev_co_u32_e32 v19, vcc, 0, v3, vcc
	v_cmp_lt_i64_e64 s[2:3], v[16:17], v[18:19]
	s_cbranch_scc1 .LBB81_25
; %bb.14:
	v_mov_b32_e32 v22, v15
	v_mov_b32_e32 v25, v15
	;; [unrolled: 1-line block ×3, first 2 shown]
	s_and_saveexec_b64 s[6:7], s[2:3]
	s_cbranch_execz .LBB81_24
; %bb.15:
	v_or_b32_e32 v0, 8, v14
	v_subrev_co_u32_e32 v0, vcc, s16, v0
	v_not_b32_e32 v3, v9
	s_nop 0
	v_subb_co_u32_e64 v1, s[10:11], 0, 0, vcc
	v_lshl_add_u64 v[0:1], v[0:1], 0, v[8:9]
	v_cmp_gt_i64_e32 vcc, v[0:1], v[18:19]
	v_not_b32_e32 v2, v8
	v_mov_b32_e32 v25, 0
	v_cndmask_b32_e32 v1, v19, v1, vcc
	v_cndmask_b32_e32 v0, v18, v0, vcc
	v_sub_co_u32_e32 v4, vcc, s16, v14
	v_mov_b32_e32 v22, v25
	s_nop 0
	v_subb_co_u32_e64 v5, s[10:11], 0, 0, vcc
	v_lshl_add_u64 v[2:3], v[4:5], 0, v[2:3]
	v_lshl_add_u64 v[0:1], v[2:3], 0, v[0:1]
	v_and_b32_e32 v24, 24, v0
	v_cmp_ne_u64_e32 vcc, 24, v[24:25]
	v_mov_b32_e32 v24, v25
	v_mov_b32_e32 v23, v25
	v_mov_b64_e32 v[10:11], v[16:17]
	v_mov_b64_e32 v[26:27], v[20:21]
	s_and_saveexec_b64 s[10:11], vcc
	s_cbranch_execz .LBB81_19
; %bb.16:
	v_lshrrev_b32_e32 v2, 3, v0
	v_add_u32_e32 v2, 1, v2
	v_and_b32_e32 v4, 3, v2
	v_sub_co_u32_e32 v4, vcc, 0, v4
	v_mov_b32_e32 v23, 0
	s_nop 0
	v_subb_co_u32_e64 v5, s[20:21], 0, 0, vcc
	v_lshl_add_u64 v[2:3], v[16:17], 2, s[8:9]
	s_mov_b64 s[18:19], 0
	s_mov_b64 s[20:21], 0x80
	v_mov_b64_e32 v[26:27], v[20:21]
	v_mov_b64_e32 v[10:11], v[16:17]
	v_mov_b32_e32 v22, v23
	v_mov_b32_e32 v25, v23
	;; [unrolled: 1-line block ×3, first 2 shown]
.LBB81_17:                              ; =>This Inner Loop Header: Depth=1
	global_load_dword v6, v[2:3], off
	global_load_dwordx4 v[28:31], v[26:27], off
	v_lshl_add_u64 v[4:5], v[4:5], 0, 1
	v_cmp_eq_u64_e32 vcc, 0, v[4:5]
	v_lshl_add_u64 v[26:27], v[26:27], 0, s[20:21]
	v_lshl_add_u64 v[10:11], v[10:11], 0, 8
	;; [unrolled: 1-line block ×3, first 2 shown]
	s_or_b64 s[18:19], vcc, s[18:19]
	s_waitcnt vmcnt(1)
	v_subrev_u32_e32 v6, s16, v6
	v_lshlrev_b32_e32 v6, 2, v6
	v_ashrrev_i32_e32 v7, 31, v6
	s_waitcnt lgkmcnt(0)
	v_lshl_add_u64 v[6:7], s[4:5], 0, v[6:7]
	global_load_dword v13, v[6:7], off
	s_waitcnt vmcnt(1)
	v_cvt_f32_i32_sdwa v6, sext(v28) dst_sel:DWORD dst_unused:UNUSED_PAD src0_sel:BYTE_0
	v_cvt_f32_i32_sdwa v7, sext(v29) dst_sel:DWORD dst_unused:UNUSED_PAD src0_sel:BYTE_0
	;; [unrolled: 1-line block ×4, first 2 shown]
	v_cvt_f32_i32_sdwa v33, sext(v29) dst_sel:DWORD dst_unused:UNUSED_PAD src0_sel:BYTE_1
	v_cvt_f32_i32_sdwa v32, sext(v28) dst_sel:DWORD dst_unused:UNUSED_PAD src0_sel:BYTE_1
	;; [unrolled: 1-line block ×4, first 2 shown]
	v_cvt_f32_i32_sdwa v35, sext(v29) dst_sel:DWORD dst_unused:UNUSED_PAD src0_sel:BYTE_2
	v_cvt_f32_i32_sdwa v34, sext(v28) dst_sel:DWORD dst_unused:UNUSED_PAD src0_sel:BYTE_2
	;; [unrolled: 1-line block ×4, first 2 shown]
	v_cvt_f32_i32_sdwa v29, sext(v29) dst_sel:DWORD dst_unused:UNUSED_PAD src0_sel:BYTE_3
	v_cvt_f32_i32_sdwa v28, sext(v28) dst_sel:DWORD dst_unused:UNUSED_PAD src0_sel:BYTE_3
	;; [unrolled: 1-line block ×4, first 2 shown]
	s_waitcnt vmcnt(0)
	v_cvt_f32_i32_sdwa v42, sext(v13) dst_sel:DWORD dst_unused:UNUSED_PAD src0_sel:BYTE_0
	v_cvt_f32_i32_sdwa v44, sext(v13) dst_sel:DWORD dst_unused:UNUSED_PAD src0_sel:BYTE_1
	v_cvt_f32_i32_sdwa v46, sext(v13) dst_sel:DWORD dst_unused:UNUSED_PAD src0_sel:BYTE_2
	v_cvt_f32_i32_sdwa v48, sext(v13) dst_sel:DWORD dst_unused:UNUSED_PAD src0_sel:BYTE_3
	v_pk_fma_f32 v[6:7], v[6:7], v[42:43], v[24:25] op_sel_hi:[1,0,1]
	v_pk_fma_f32 v[22:23], v[36:37], v[42:43], v[22:23] op_sel_hi:[1,0,1]
	;; [unrolled: 1-line block ×8, first 2 shown]
	s_andn2_b64 exec, exec, s[18:19]
	s_cbranch_execnz .LBB81_17
; %bb.18:
	s_or_b64 exec, exec, s[18:19]
.LBB81_19:
	s_or_b64 exec, exec, s[10:11]
	v_cmp_lt_u64_e32 vcc, 23, v[0:1]
	s_and_saveexec_b64 s[10:11], vcc
	s_cbranch_execz .LBB81_23
; %bb.20:
	v_lshl_add_u64 v[0:1], v[10:11], 2, s[8:9]
	v_lshl_add_u64 v[28:29], v[0:1], 0, 64
	s_mov_b64 s[18:19], 0
	s_mov_b64 s[20:21], 0x80
	;; [unrolled: 1-line block ×3, first 2 shown]
.LBB81_21:                              ; =>This Inner Loop Header: Depth=1
	global_load_dword v13, v[28:29], off offset:-64
	global_load_dwordx4 v[0:3], v[26:27], off
	global_load_dword v15, v[28:29], off offset:-32
	global_load_dword v42, v[28:29], off
	global_load_dwordx4 v[4:7], v[26:27], off offset:256
	global_load_dwordx4 v[30:33], v[26:27], off offset:128
	global_load_dword v43, v[28:29], off offset:32
	global_load_dwordx4 v[34:37], v[26:27], off offset:384
	v_lshl_add_u64 v[10:11], v[10:11], 0, 32
	v_cmp_ge_i64_e32 vcc, v[10:11], v[18:19]
	v_lshl_add_u64 v[28:29], v[28:29], 0, s[20:21]
	v_lshl_add_u64 v[26:27], v[26:27], 0, s[22:23]
	s_or_b64 s[18:19], vcc, s[18:19]
	s_waitcnt vmcnt(7)
	v_subrev_u32_e32 v13, s16, v13
	v_lshlrev_b32_e32 v60, 2, v13
	s_waitcnt vmcnt(5)
	v_subrev_u32_e32 v15, s16, v15
	s_waitcnt vmcnt(4)
	v_subrev_u32_e32 v61, s16, v42
	s_waitcnt vmcnt(3)
	v_cvt_f32_i32_sdwa v42, sext(v4) dst_sel:DWORD dst_unused:UNUSED_PAD src0_sel:BYTE_3
	v_cvt_f32_i32_sdwa v54, sext(v4) dst_sel:DWORD dst_unused:UNUSED_PAD src0_sel:BYTE_0
	v_cvt_f32_i32_sdwa v56, sext(v4) dst_sel:DWORD dst_unused:UNUSED_PAD src0_sel:BYTE_1
	v_cvt_f32_i32_sdwa v58, sext(v4) dst_sel:DWORD dst_unused:UNUSED_PAD src0_sel:BYTE_2
	s_waitcnt vmcnt(1)
	v_subrev_u32_e32 v4, s16, v43
	v_lshlrev_b32_e32 v62, 2, v15
	v_lshlrev_b32_e32 v64, 2, v61
	;; [unrolled: 1-line block ×3, first 2 shown]
	v_ashrrev_i32_e32 v61, 31, v60
	v_ashrrev_i32_e32 v63, 31, v62
	;; [unrolled: 1-line block ×4, first 2 shown]
	s_waitcnt lgkmcnt(0)
	v_lshl_add_u64 v[60:61], s[4:5], 0, v[60:61]
	v_lshl_add_u64 v[62:63], s[4:5], 0, v[62:63]
	;; [unrolled: 1-line block ×4, first 2 shown]
	global_load_dword v13, v[60:61], off
	global_load_dword v15, v[62:63], off
	;; [unrolled: 1-line block ×4, first 2 shown]
	v_cvt_f32_i32_sdwa v38, sext(v0) dst_sel:DWORD dst_unused:UNUSED_PAD src0_sel:BYTE_0
	v_cvt_f32_i32_sdwa v39, sext(v1) dst_sel:DWORD dst_unused:UNUSED_PAD src0_sel:BYTE_0
	;; [unrolled: 1-line block ×4, first 2 shown]
	v_cvt_f32_i32_sdwa v45, sext(v1) dst_sel:DWORD dst_unused:UNUSED_PAD src0_sel:BYTE_1
	v_cvt_f32_i32_sdwa v44, sext(v0) dst_sel:DWORD dst_unused:UNUSED_PAD src0_sel:BYTE_1
	;; [unrolled: 1-line block ×4, first 2 shown]
	v_cvt_f32_i32_sdwa v47, sext(v1) dst_sel:DWORD dst_unused:UNUSED_PAD src0_sel:BYTE_2
	v_cvt_f32_i32_sdwa v46, sext(v0) dst_sel:DWORD dst_unused:UNUSED_PAD src0_sel:BYTE_2
	;; [unrolled: 1-line block ×4, first 2 shown]
	v_cvt_f32_i32_sdwa v1, sext(v1) dst_sel:DWORD dst_unused:UNUSED_PAD src0_sel:BYTE_3
	v_cvt_f32_i32_sdwa v0, sext(v0) dst_sel:DWORD dst_unused:UNUSED_PAD src0_sel:BYTE_3
	v_cvt_f32_i32_sdwa v3, sext(v3) dst_sel:DWORD dst_unused:UNUSED_PAD src0_sel:BYTE_3
	v_cvt_f32_i32_sdwa v2, sext(v2) dst_sel:DWORD dst_unused:UNUSED_PAD src0_sel:BYTE_3
	v_cvt_f32_i32_sdwa v49, sext(v31) dst_sel:DWORD dst_unused:UNUSED_PAD src0_sel:BYTE_0
	v_cvt_f32_i32_sdwa v48, sext(v30) dst_sel:DWORD dst_unused:UNUSED_PAD src0_sel:BYTE_0
	;; [unrolled: 1-line block ×4, first 2 shown]
	v_cvt_f32_i32_sdwa v51, sext(v31) dst_sel:DWORD dst_unused:UNUSED_PAD src0_sel:BYTE_1
	v_cvt_f32_i32_sdwa v50, sext(v30) dst_sel:DWORD dst_unused:UNUSED_PAD src0_sel:BYTE_1
	;; [unrolled: 1-line block ×4, first 2 shown]
	v_cvt_f32_i32_sdwa v53, sext(v31) dst_sel:DWORD dst_unused:UNUSED_PAD src0_sel:BYTE_2
	v_cvt_f32_i32_sdwa v52, sext(v30) dst_sel:DWORD dst_unused:UNUSED_PAD src0_sel:BYTE_2
	v_cvt_f32_i32_sdwa v69, sext(v33) dst_sel:DWORD dst_unused:UNUSED_PAD src0_sel:BYTE_2
	v_cvt_f32_i32_sdwa v68, sext(v32) dst_sel:DWORD dst_unused:UNUSED_PAD src0_sel:BYTE_2
	v_cvt_f32_i32_sdwa v31, sext(v31) dst_sel:DWORD dst_unused:UNUSED_PAD src0_sel:BYTE_3
	v_cvt_f32_i32_sdwa v30, sext(v30) dst_sel:DWORD dst_unused:UNUSED_PAD src0_sel:BYTE_3
	v_cvt_f32_i32_sdwa v33, sext(v33) dst_sel:DWORD dst_unused:UNUSED_PAD src0_sel:BYTE_3
	v_cvt_f32_i32_sdwa v32, sext(v32) dst_sel:DWORD dst_unused:UNUSED_PAD src0_sel:BYTE_3
	v_cvt_f32_i32_sdwa v55, sext(v5) dst_sel:DWORD dst_unused:UNUSED_PAD src0_sel:BYTE_0
	v_cvt_f32_i32_sdwa v71, sext(v7) dst_sel:DWORD dst_unused:UNUSED_PAD src0_sel:BYTE_0
	v_cvt_f32_i32_sdwa v70, sext(v6) dst_sel:DWORD dst_unused:UNUSED_PAD src0_sel:BYTE_0
	v_cvt_f32_i32_sdwa v57, sext(v5) dst_sel:DWORD dst_unused:UNUSED_PAD src0_sel:BYTE_1
	v_cvt_f32_i32_sdwa v73, sext(v7) dst_sel:DWORD dst_unused:UNUSED_PAD src0_sel:BYTE_1
	;; [unrolled: 1-line block ×3, first 2 shown]
	v_cvt_f32_i32_sdwa v59, sext(v5) dst_sel:DWORD dst_unused:UNUSED_PAD src0_sel:BYTE_2
	v_cvt_f32_i32_sdwa v75, sext(v7) dst_sel:DWORD dst_unused:UNUSED_PAD src0_sel:BYTE_2
	;; [unrolled: 1-line block ×3, first 2 shown]
	v_cvt_f32_i32_sdwa v43, sext(v5) dst_sel:DWORD dst_unused:UNUSED_PAD src0_sel:BYTE_3
	v_cvt_f32_i32_sdwa v4, sext(v6) dst_sel:DWORD dst_unused:UNUSED_PAD src0_sel:BYTE_3
	v_cvt_f32_i32_sdwa v5, sext(v7) dst_sel:DWORD dst_unused:UNUSED_PAD src0_sel:BYTE_3
	s_waitcnt vmcnt(4)
	v_cvt_f32_i32_sdwa v7, sext(v35) dst_sel:DWORD dst_unused:UNUSED_PAD src0_sel:BYTE_0
	v_cvt_f32_i32_sdwa v6, sext(v34) dst_sel:DWORD dst_unused:UNUSED_PAD src0_sel:BYTE_0
	;; [unrolled: 1-line block ×4, first 2 shown]
	v_cvt_f32_i32_sdwa v77, sext(v35) dst_sel:DWORD dst_unused:UNUSED_PAD src0_sel:BYTE_1
	v_cvt_f32_i32_sdwa v76, sext(v34) dst_sel:DWORD dst_unused:UNUSED_PAD src0_sel:BYTE_1
	;; [unrolled: 1-line block ×4, first 2 shown]
	v_cvt_f32_i32_sdwa v79, sext(v35) dst_sel:DWORD dst_unused:UNUSED_PAD src0_sel:BYTE_2
	v_cvt_f32_i32_sdwa v78, sext(v34) dst_sel:DWORD dst_unused:UNUSED_PAD src0_sel:BYTE_2
	;; [unrolled: 1-line block ×4, first 2 shown]
	v_cvt_f32_i32_sdwa v35, sext(v35) dst_sel:DWORD dst_unused:UNUSED_PAD src0_sel:BYTE_3
	v_cvt_f32_i32_sdwa v34, sext(v34) dst_sel:DWORD dst_unused:UNUSED_PAD src0_sel:BYTE_3
	;; [unrolled: 1-line block ×4, first 2 shown]
	s_waitcnt vmcnt(3)
	v_cvt_f32_i32_sdwa v86, sext(v13) dst_sel:DWORD dst_unused:UNUSED_PAD src0_sel:BYTE_0
	v_cvt_f32_i32_sdwa v88, sext(v13) dst_sel:DWORD dst_unused:UNUSED_PAD src0_sel:BYTE_1
	v_cvt_f32_i32_sdwa v90, sext(v13) dst_sel:DWORD dst_unused:UNUSED_PAD src0_sel:BYTE_2
	v_cvt_f32_i32_sdwa v92, sext(v13) dst_sel:DWORD dst_unused:UNUSED_PAD src0_sel:BYTE_3
	s_waitcnt vmcnt(2)
	v_cvt_f32_i32_sdwa v94, sext(v15) dst_sel:DWORD dst_unused:UNUSED_PAD src0_sel:BYTE_0
	s_waitcnt vmcnt(1)
	v_pk_fma_f32 v[24:25], v[38:39], v[86:87], v[24:25] op_sel_hi:[1,0,1]
	v_pk_fma_f32 v[22:23], v[40:41], v[86:87], v[22:23] op_sel_hi:[1,0,1]
	v_cvt_f32_i32_sdwa v96, sext(v15) dst_sel:DWORD dst_unused:UNUSED_PAD src0_sel:BYTE_1
	s_waitcnt vmcnt(0)
	v_pk_fma_f32 v[24:25], v[44:45], v[88:89], v[24:25] op_sel_hi:[1,0,1]
	v_pk_fma_f32 v[22:23], v[60:61], v[88:89], v[22:23] op_sel_hi:[1,0,1]
	v_cvt_f32_i32_sdwa v38, sext(v15) dst_sel:DWORD dst_unused:UNUSED_PAD src0_sel:BYTE_2
	v_pk_fma_f32 v[24:25], v[46:47], v[90:91], v[24:25] op_sel_hi:[1,0,1]
	v_pk_fma_f32 v[22:23], v[62:63], v[90:91], v[22:23] op_sel_hi:[1,0,1]
	v_cvt_f32_i32_sdwa v98, sext(v15) dst_sel:DWORD dst_unused:UNUSED_PAD src0_sel:BYTE_3
	v_pk_fma_f32 v[0:1], v[0:1], v[92:93], v[24:25] op_sel_hi:[1,0,1]
	v_pk_fma_f32 v[2:3], v[2:3], v[92:93], v[22:23] op_sel_hi:[1,0,1]
	v_cvt_f32_i32_sdwa v40, sext(v87) dst_sel:DWORD dst_unused:UNUSED_PAD src0_sel:BYTE_0
	v_pk_fma_f32 v[0:1], v[48:49], v[94:95], v[0:1] op_sel_hi:[1,0,1]
	v_pk_fma_f32 v[2:3], v[64:65], v[94:95], v[2:3] op_sel_hi:[1,0,1]
	v_cvt_f32_i32_sdwa v86, sext(v87) dst_sel:DWORD dst_unused:UNUSED_PAD src0_sel:BYTE_1
	v_pk_fma_f32 v[0:1], v[50:51], v[96:97], v[0:1] op_sel_hi:[1,0,1]
	v_pk_fma_f32 v[2:3], v[66:67], v[96:97], v[2:3] op_sel_hi:[1,0,1]
	v_cvt_f32_i32_sdwa v44, sext(v87) dst_sel:DWORD dst_unused:UNUSED_PAD src0_sel:BYTE_2
	v_pk_fma_f32 v[0:1], v[52:53], v[38:39], v[0:1] op_sel_hi:[1,0,1]
	v_pk_fma_f32 v[2:3], v[68:69], v[38:39], v[2:3] op_sel_hi:[1,0,1]
	v_cvt_f32_i32_sdwa v60, sext(v87) dst_sel:DWORD dst_unused:UNUSED_PAD src0_sel:BYTE_3
	v_pk_fma_f32 v[0:1], v[30:31], v[98:99], v[0:1] op_sel_hi:[1,0,1]
	v_pk_fma_f32 v[2:3], v[32:33], v[98:99], v[2:3] op_sel_hi:[1,0,1]
	v_cvt_f32_i32_sdwa v88, sext(v89) dst_sel:DWORD dst_unused:UNUSED_PAD src0_sel:BYTE_0
	v_pk_fma_f32 v[0:1], v[54:55], v[40:41], v[0:1] op_sel_hi:[1,0,1]
	v_pk_fma_f32 v[2:3], v[70:71], v[40:41], v[2:3] op_sel_hi:[1,0,1]
	v_cvt_f32_i32_sdwa v46, sext(v89) dst_sel:DWORD dst_unused:UNUSED_PAD src0_sel:BYTE_1
	v_pk_fma_f32 v[0:1], v[56:57], v[86:87], v[0:1] op_sel_hi:[1,0,1]
	v_pk_fma_f32 v[2:3], v[72:73], v[86:87], v[2:3] op_sel_hi:[1,0,1]
	v_cvt_f32_i32_sdwa v62, sext(v89) dst_sel:DWORD dst_unused:UNUSED_PAD src0_sel:BYTE_2
	v_pk_fma_f32 v[0:1], v[58:59], v[44:45], v[0:1] op_sel_hi:[1,0,1]
	v_pk_fma_f32 v[2:3], v[74:75], v[44:45], v[2:3] op_sel_hi:[1,0,1]
	v_cvt_f32_i32_sdwa v90, sext(v89) dst_sel:DWORD dst_unused:UNUSED_PAD src0_sel:BYTE_3
	v_pk_fma_f32 v[0:1], v[42:43], v[60:61], v[0:1] op_sel_hi:[1,0,1]
	v_pk_fma_f32 v[2:3], v[4:5], v[60:61], v[2:3] op_sel_hi:[1,0,1]
	;; [unrolled: 1-line block ×10, first 2 shown]
	s_andn2_b64 exec, exec, s[18:19]
	s_cbranch_execnz .LBB81_21
; %bb.22:
	s_or_b64 exec, exec, s[18:19]
.LBB81_23:
	s_or_b64 exec, exec, s[10:11]
	v_mov_b32_e32 v15, v23
.LBB81_24:
	s_or_b64 exec, exec, s[6:7]
	v_mov_b32_e32 v23, v15
	s_cbranch_execz .LBB81_26
	s_branch .LBB81_37
.LBB81_25:
                                        ; implicit-def: $vgpr23
                                        ; implicit-def: $vgpr25
.LBB81_26:
	v_mov_b32_e32 v23, 0
	v_mov_b32_e32 v22, 0
	;; [unrolled: 1-line block ×4, first 2 shown]
	s_and_saveexec_b64 s[6:7], s[2:3]
	s_cbranch_execz .LBB81_36
; %bb.27:
	v_or_b32_e32 v0, 8, v14
	v_subrev_co_u32_e32 v0, vcc, s16, v0
	v_not_b32_e32 v3, v9
	s_nop 0
	v_subb_co_u32_e64 v1, s[2:3], 0, 0, vcc
	v_lshl_add_u64 v[0:1], v[0:1], 0, v[8:9]
	v_cmp_gt_i64_e32 vcc, v[0:1], v[18:19]
	v_not_b32_e32 v2, v8
	v_mov_b32_e32 v25, 0
	v_cndmask_b32_e32 v1, v19, v1, vcc
	v_cndmask_b32_e32 v0, v18, v0, vcc
	v_sub_co_u32_e32 v4, vcc, s16, v14
	v_mov_b32_e32 v22, v25
	s_nop 0
	v_subb_co_u32_e64 v5, s[2:3], 0, 0, vcc
	v_lshl_add_u64 v[2:3], v[4:5], 0, v[2:3]
	v_lshl_add_u64 v[0:1], v[2:3], 0, v[0:1]
	v_and_b32_e32 v24, 24, v0
	v_cmp_ne_u64_e32 vcc, 24, v[24:25]
	v_mov_b32_e32 v24, v25
	v_mov_b32_e32 v23, v25
	s_and_saveexec_b64 s[2:3], vcc
	s_cbranch_execz .LBB81_31
; %bb.28:
	v_lshrrev_b32_e32 v2, 3, v0
	v_add_u32_e32 v2, 1, v2
	v_and_b32_e32 v4, 3, v2
	v_sub_co_u32_e32 v4, vcc, 0, v4
	v_mov_b32_e32 v23, 0
	s_nop 0
	v_subb_co_u32_e64 v5, s[18:19], 0, 0, vcc
	v_lshl_add_u64 v[2:3], v[16:17], 2, s[8:9]
	s_mov_b64 s[10:11], 0
	s_mov_b64 s[18:19], 0x80
	v_mov_b32_e32 v22, v23
	v_mov_b32_e32 v25, v23
	;; [unrolled: 1-line block ×3, first 2 shown]
.LBB81_29:                              ; =>This Inner Loop Header: Depth=1
	global_load_dword v10, v[2:3], off
	global_load_dwordx4 v[6:9], v[20:21], off
	v_lshl_add_u64 v[4:5], v[4:5], 0, 1
	v_cmp_eq_u64_e32 vcc, 0, v[4:5]
	v_lshl_add_u64 v[20:21], v[20:21], 0, s[18:19]
	v_lshl_add_u64 v[16:17], v[16:17], 0, 8
	v_lshl_add_u64 v[2:3], v[2:3], 0, 32
	s_or_b64 s[10:11], vcc, s[10:11]
	s_waitcnt vmcnt(1)
	v_subrev_u32_e32 v10, s16, v10
	v_lshlrev_b32_e32 v10, 2, v10
	v_ashrrev_i32_e32 v11, 31, v10
	s_waitcnt lgkmcnt(0)
	v_lshl_add_u64 v[10:11], s[4:5], 0, v[10:11]
	global_load_dword v13, v[10:11], off
	s_waitcnt vmcnt(1)
	v_cvt_f32_i32_sdwa v11, sext(v6) dst_sel:DWORD dst_unused:UNUSED_PAD src0_sel:BYTE_1
	v_cvt_f32_i32_sdwa v10, sext(v6) dst_sel:DWORD dst_unused:UNUSED_PAD src0_sel:BYTE_0
	v_cvt_f32_i32_sdwa v27, sext(v6) dst_sel:DWORD dst_unused:UNUSED_PAD src0_sel:BYTE_3
	v_cvt_f32_i32_sdwa v26, sext(v6) dst_sel:DWORD dst_unused:UNUSED_PAD src0_sel:BYTE_2
	v_cvt_f32_i32_sdwa v29, sext(v7) dst_sel:DWORD dst_unused:UNUSED_PAD src0_sel:BYTE_1
	v_cvt_f32_i32_sdwa v28, sext(v7) dst_sel:DWORD dst_unused:UNUSED_PAD src0_sel:BYTE_0
	v_cvt_f32_i32_sdwa v31, sext(v8) dst_sel:DWORD dst_unused:UNUSED_PAD src0_sel:BYTE_1
	v_cvt_f32_i32_sdwa v30, sext(v8) dst_sel:DWORD dst_unused:UNUSED_PAD src0_sel:BYTE_0
	v_cvt_f32_i32_sdwa v35, sext(v7) dst_sel:DWORD dst_unused:UNUSED_PAD src0_sel:BYTE_3
	v_cvt_f32_i32_sdwa v34, sext(v7) dst_sel:DWORD dst_unused:UNUSED_PAD src0_sel:BYTE_2
	v_cvt_f32_i32_sdwa v7, sext(v8) dst_sel:DWORD dst_unused:UNUSED_PAD src0_sel:BYTE_3
	v_cvt_f32_i32_sdwa v6, sext(v8) dst_sel:DWORD dst_unused:UNUSED_PAD src0_sel:BYTE_2
	v_cvt_f32_i32_sdwa v33, sext(v9) dst_sel:DWORD dst_unused:UNUSED_PAD src0_sel:BYTE_1
	v_cvt_f32_i32_sdwa v32, sext(v9) dst_sel:DWORD dst_unused:UNUSED_PAD src0_sel:BYTE_0
	v_cvt_f32_i32_sdwa v37, sext(v9) dst_sel:DWORD dst_unused:UNUSED_PAD src0_sel:BYTE_3
	v_cvt_f32_i32_sdwa v36, sext(v9) dst_sel:DWORD dst_unused:UNUSED_PAD src0_sel:BYTE_2
	s_waitcnt vmcnt(0)
	v_cvt_f32_i32_sdwa v8, sext(v13) dst_sel:DWORD dst_unused:UNUSED_PAD src0_sel:BYTE_0
	v_cvt_f32_i32_sdwa v38, sext(v13) dst_sel:DWORD dst_unused:UNUSED_PAD src0_sel:BYTE_1
	v_cvt_f32_i32_sdwa v40, sext(v13) dst_sel:DWORD dst_unused:UNUSED_PAD src0_sel:BYTE_2
	v_cvt_f32_i32_sdwa v42, sext(v13) dst_sel:DWORD dst_unused:UNUSED_PAD src0_sel:BYTE_3
	v_pk_fma_f32 v[10:11], v[10:11], v[8:9], v[24:25] op_sel_hi:[1,0,1]
	v_pk_fma_f32 v[8:9], v[26:27], v[8:9], v[22:23] op_sel_hi:[1,0,1]
	;; [unrolled: 1-line block ×8, first 2 shown]
	s_andn2_b64 exec, exec, s[10:11]
	s_cbranch_execnz .LBB81_29
; %bb.30:
	s_or_b64 exec, exec, s[10:11]
.LBB81_31:
	s_or_b64 exec, exec, s[2:3]
	v_cmp_lt_u64_e32 vcc, 23, v[0:1]
	s_and_saveexec_b64 s[2:3], vcc
	s_cbranch_execz .LBB81_35
; %bb.32:
	v_lshl_add_u64 v[0:1], v[16:17], 2, s[8:9]
	v_lshl_add_u64 v[26:27], v[0:1], 0, 64
	s_mov_b64 s[8:9], 0
	s_mov_b64 s[10:11], 0x80
	s_mov_b64 s[18:19], 0x200
.LBB81_33:                              ; =>This Inner Loop Header: Depth=1
	global_load_dwordx4 v[0:3], v[20:21], off
	global_load_dwordx4 v[4:7], v[20:21], off offset:128
	global_load_dwordx4 v[8:11], v[20:21], off offset:256
	global_load_dword v13, v[26:27], off offset:-64
	global_load_dword v15, v[26:27], off offset:-32
	global_load_dword v56, v[26:27], off
	global_load_dword v57, v[26:27], off offset:32
	global_load_dwordx4 v[28:31], v[20:21], off offset:384
	v_lshl_add_u64 v[16:17], v[16:17], 0, 32
	v_cmp_ge_i64_e32 vcc, v[16:17], v[18:19]
	v_lshl_add_u64 v[26:27], v[26:27], 0, s[10:11]
	v_lshl_add_u64 v[20:21], v[20:21], 0, s[18:19]
	s_or_b64 s[8:9], vcc, s[8:9]
	s_waitcnt vmcnt(7)
	v_cvt_f32_i32_sdwa v33, sext(v0) dst_sel:DWORD dst_unused:UNUSED_PAD src0_sel:BYTE_1
	v_cvt_f32_i32_sdwa v32, sext(v0) dst_sel:DWORD dst_unused:UNUSED_PAD src0_sel:BYTE_0
	v_cvt_f32_i32_sdwa v35, sext(v0) dst_sel:DWORD dst_unused:UNUSED_PAD src0_sel:BYTE_3
	v_cvt_f32_i32_sdwa v34, sext(v0) dst_sel:DWORD dst_unused:UNUSED_PAD src0_sel:BYTE_2
	s_waitcnt vmcnt(4)
	v_subrev_u32_e32 v0, s16, v13
	s_waitcnt vmcnt(3)
	v_subrev_u32_e32 v13, s16, v15
	;; [unrolled: 2-line block ×4, first 2 shown]
	v_lshlrev_b32_e32 v56, 2, v0
	v_lshlrev_b32_e32 v58, 2, v13
	;; [unrolled: 1-line block ×4, first 2 shown]
	v_ashrrev_i32_e32 v57, 31, v56
	v_ashrrev_i32_e32 v59, 31, v58
	;; [unrolled: 1-line block ×4, first 2 shown]
	s_waitcnt lgkmcnt(0)
	v_lshl_add_u64 v[56:57], s[4:5], 0, v[56:57]
	v_lshl_add_u64 v[58:59], s[4:5], 0, v[58:59]
	v_lshl_add_u64 v[60:61], s[4:5], 0, v[60:61]
	v_lshl_add_u64 v[62:63], s[4:5], 0, v[62:63]
	global_load_dword v13, v[56:57], off
	global_load_dword v15, v[58:59], off
	global_load_dword v83, v[60:61], off
	global_load_dword v85, v[62:63], off
	v_cvt_f32_i32_sdwa v37, sext(v1) dst_sel:DWORD dst_unused:UNUSED_PAD src0_sel:BYTE_1
	v_cvt_f32_i32_sdwa v36, sext(v1) dst_sel:DWORD dst_unused:UNUSED_PAD src0_sel:BYTE_0
	v_cvt_f32_i32_sdwa v39, sext(v2) dst_sel:DWORD dst_unused:UNUSED_PAD src0_sel:BYTE_1
	v_cvt_f32_i32_sdwa v38, sext(v2) dst_sel:DWORD dst_unused:UNUSED_PAD src0_sel:BYTE_0
	;; [unrolled: 2-line block ×9, first 2 shown]
	v_cvt_f32_i32_sdwa v55, sext(v1) dst_sel:DWORD dst_unused:UNUSED_PAD src0_sel:BYTE_3
	v_cvt_f32_i32_sdwa v54, sext(v1) dst_sel:DWORD dst_unused:UNUSED_PAD src0_sel:BYTE_2
	v_cvt_f32_i32_sdwa v1, sext(v2) dst_sel:DWORD dst_unused:UNUSED_PAD src0_sel:BYTE_3
	v_cvt_f32_i32_sdwa v0, sext(v2) dst_sel:DWORD dst_unused:UNUSED_PAD src0_sel:BYTE_2
	;; [unrolled: 2-line block ×7, first 2 shown]
	v_cvt_f32_i32_sdwa v7, sext(v10) dst_sel:DWORD dst_unused:UNUSED_PAD src0_sel:BYTE_1
	v_cvt_f32_i32_sdwa v6, sext(v10) dst_sel:DWORD dst_unused:UNUSED_PAD src0_sel:BYTE_0
	v_cvt_f32_i32_sdwa v63, sext(v8) dst_sel:DWORD dst_unused:UNUSED_PAD src0_sel:BYTE_3
	v_cvt_f32_i32_sdwa v62, sext(v8) dst_sel:DWORD dst_unused:UNUSED_PAD src0_sel:BYTE_2
	v_cvt_f32_i32_sdwa v65, sext(v9) dst_sel:DWORD dst_unused:UNUSED_PAD src0_sel:BYTE_3
	v_cvt_f32_i32_sdwa v64, sext(v9) dst_sel:DWORD dst_unused:UNUSED_PAD src0_sel:BYTE_2
	;; [unrolled: 2-line block ×3, first 2 shown]
	v_cvt_f32_i32_sdwa v67, sext(v11) dst_sel:DWORD dst_unused:UNUSED_PAD src0_sel:BYTE_1
	v_cvt_f32_i32_sdwa v66, sext(v11) dst_sel:DWORD dst_unused:UNUSED_PAD src0_sel:BYTE_0
	v_cvt_f32_i32_sdwa v69, sext(v11) dst_sel:DWORD dst_unused:UNUSED_PAD src0_sel:BYTE_3
	v_cvt_f32_i32_sdwa v68, sext(v11) dst_sel:DWORD dst_unused:UNUSED_PAD src0_sel:BYTE_2
	s_waitcnt vmcnt(4)
	v_cvt_f32_i32_sdwa v11, sext(v28) dst_sel:DWORD dst_unused:UNUSED_PAD src0_sel:BYTE_1
	v_cvt_f32_i32_sdwa v10, sext(v28) dst_sel:DWORD dst_unused:UNUSED_PAD src0_sel:BYTE_0
	v_cvt_f32_i32_sdwa v71, sext(v29) dst_sel:DWORD dst_unused:UNUSED_PAD src0_sel:BYTE_1
	v_cvt_f32_i32_sdwa v70, sext(v29) dst_sel:DWORD dst_unused:UNUSED_PAD src0_sel:BYTE_0
	;; [unrolled: 2-line block ×3, first 2 shown]
	v_cvt_f32_i32_sdwa v77, sext(v28) dst_sel:DWORD dst_unused:UNUSED_PAD src0_sel:BYTE_3
	v_cvt_f32_i32_sdwa v76, sext(v28) dst_sel:DWORD dst_unused:UNUSED_PAD src0_sel:BYTE_2
	v_cvt_f32_i32_sdwa v79, sext(v29) dst_sel:DWORD dst_unused:UNUSED_PAD src0_sel:BYTE_3
	v_cvt_f32_i32_sdwa v78, sext(v29) dst_sel:DWORD dst_unused:UNUSED_PAD src0_sel:BYTE_2
	;; [unrolled: 2-line block ×3, first 2 shown]
	v_cvt_f32_i32_sdwa v75, sext(v31) dst_sel:DWORD dst_unused:UNUSED_PAD src0_sel:BYTE_1
	v_cvt_f32_i32_sdwa v74, sext(v31) dst_sel:DWORD dst_unused:UNUSED_PAD src0_sel:BYTE_0
	v_cvt_f32_i32_sdwa v81, sext(v31) dst_sel:DWORD dst_unused:UNUSED_PAD src0_sel:BYTE_3
	v_cvt_f32_i32_sdwa v80, sext(v31) dst_sel:DWORD dst_unused:UNUSED_PAD src0_sel:BYTE_2
	s_waitcnt vmcnt(3)
	v_cvt_f32_i32_sdwa v30, sext(v13) dst_sel:DWORD dst_unused:UNUSED_PAD src0_sel:BYTE_0
	v_cvt_f32_i32_sdwa v82, sext(v13) dst_sel:DWORD dst_unused:UNUSED_PAD src0_sel:BYTE_1
	v_cvt_f32_i32_sdwa v84, sext(v13) dst_sel:DWORD dst_unused:UNUSED_PAD src0_sel:BYTE_2
	v_cvt_f32_i32_sdwa v86, sext(v13) dst_sel:DWORD dst_unused:UNUSED_PAD src0_sel:BYTE_3
	s_waitcnt vmcnt(2)
	v_cvt_f32_i32_sdwa v88, sext(v15) dst_sel:DWORD dst_unused:UNUSED_PAD src0_sel:BYTE_0
	v_pk_fma_f32 v[24:25], v[32:33], v[30:31], v[24:25] op_sel_hi:[1,0,1]
	v_pk_fma_f32 v[22:23], v[34:35], v[30:31], v[22:23] op_sel_hi:[1,0,1]
	v_cvt_f32_i32_sdwa v90, sext(v15) dst_sel:DWORD dst_unused:UNUSED_PAD src0_sel:BYTE_1
	s_waitcnt vmcnt(1)
	v_pk_fma_f32 v[24:25], v[36:37], v[82:83], v[24:25] op_sel_hi:[1,0,1]
	v_pk_fma_f32 v[22:23], v[54:55], v[82:83], v[22:23] op_sel_hi:[1,0,1]
	v_cvt_f32_i32_sdwa v32, sext(v15) dst_sel:DWORD dst_unused:UNUSED_PAD src0_sel:BYTE_2
	s_waitcnt vmcnt(0)
	v_pk_fma_f32 v[24:25], v[38:39], v[84:85], v[24:25] op_sel_hi:[1,0,1]
	v_pk_fma_f32 v[0:1], v[0:1], v[84:85], v[22:23] op_sel_hi:[1,0,1]
	v_cvt_f32_i32_sdwa v92, sext(v15) dst_sel:DWORD dst_unused:UNUSED_PAD src0_sel:BYTE_3
	v_pk_fma_f32 v[24:25], v[40:41], v[86:87], v[24:25] op_sel_hi:[1,0,1]
	v_pk_fma_f32 v[0:1], v[56:57], v[86:87], v[0:1] op_sel_hi:[1,0,1]
	v_cvt_f32_i32_sdwa v30, sext(v83) dst_sel:DWORD dst_unused:UNUSED_PAD src0_sel:BYTE_0
	v_pk_fma_f32 v[24:25], v[42:43], v[88:89], v[24:25] op_sel_hi:[1,0,1]
	v_pk_fma_f32 v[0:1], v[2:3], v[88:89], v[0:1] op_sel_hi:[1,0,1]
	v_cvt_f32_i32_sdwa v34, sext(v83) dst_sel:DWORD dst_unused:UNUSED_PAD src0_sel:BYTE_1
	v_pk_fma_f32 v[2:3], v[44:45], v[90:91], v[24:25] op_sel_hi:[1,0,1]
	v_pk_fma_f32 v[0:1], v[58:59], v[90:91], v[0:1] op_sel_hi:[1,0,1]
	v_cvt_f32_i32_sdwa v36, sext(v83) dst_sel:DWORD dst_unused:UNUSED_PAD src0_sel:BYTE_2
	v_pk_fma_f32 v[2:3], v[46:47], v[32:33], v[2:3] op_sel_hi:[1,0,1]
	v_pk_fma_f32 v[0:1], v[4:5], v[32:33], v[0:1] op_sel_hi:[1,0,1]
	v_cvt_f32_i32_sdwa v54, sext(v83) dst_sel:DWORD dst_unused:UNUSED_PAD src0_sel:BYTE_3
	v_pk_fma_f32 v[2:3], v[48:49], v[92:93], v[2:3] op_sel_hi:[1,0,1]
	v_pk_fma_f32 v[0:1], v[60:61], v[92:93], v[0:1] op_sel_hi:[1,0,1]
	v_cvt_f32_i32_sdwa v82, sext(v85) dst_sel:DWORD dst_unused:UNUSED_PAD src0_sel:BYTE_0
	v_pk_fma_f32 v[2:3], v[50:51], v[30:31], v[2:3] op_sel_hi:[1,0,1]
	v_pk_fma_f32 v[0:1], v[62:63], v[30:31], v[0:1] op_sel_hi:[1,0,1]
	v_cvt_f32_i32_sdwa v38, sext(v85) dst_sel:DWORD dst_unused:UNUSED_PAD src0_sel:BYTE_1
	v_pk_fma_f32 v[2:3], v[52:53], v[34:35], v[2:3] op_sel_hi:[1,0,1]
	v_pk_fma_f32 v[0:1], v[64:65], v[34:35], v[0:1] op_sel_hi:[1,0,1]
	v_cvt_f32_i32_sdwa v22, sext(v85) dst_sel:DWORD dst_unused:UNUSED_PAD src0_sel:BYTE_2
	v_pk_fma_f32 v[2:3], v[6:7], v[36:37], v[2:3] op_sel_hi:[1,0,1]
	v_pk_fma_f32 v[0:1], v[8:9], v[36:37], v[0:1] op_sel_hi:[1,0,1]
	v_cvt_f32_i32_sdwa v84, sext(v85) dst_sel:DWORD dst_unused:UNUSED_PAD src0_sel:BYTE_3
	v_pk_fma_f32 v[2:3], v[66:67], v[54:55], v[2:3] op_sel_hi:[1,0,1]
	v_pk_fma_f32 v[0:1], v[68:69], v[54:55], v[0:1] op_sel_hi:[1,0,1]
	;; [unrolled: 1-line block ×10, first 2 shown]
	s_andn2_b64 exec, exec, s[8:9]
	s_cbranch_execnz .LBB81_33
; %bb.34:
	s_or_b64 exec, exec, s[8:9]
.LBB81_35:
	s_or_b64 exec, exec, s[2:3]
.LBB81_36:
	s_or_b64 exec, exec, s[6:7]
.LBB81_37:
	v_mov_b32_dpp v0, v24 row_shr:1 row_mask:0xf bank_mask:0xf
	v_mov_b32_dpp v1, v25 row_shr:1 row_mask:0xf bank_mask:0xf
	;; [unrolled: 1-line block ×4, first 2 shown]
	v_pk_add_f32 v[0:1], v[24:25], v[0:1]
	v_pk_add_f32 v[4:5], v[22:23], v[4:5]
	v_cmp_eq_u32_e32 vcc, 7, v14
	v_mov_b32_dpp v2, v0 row_shr:2 row_mask:0xf bank_mask:0xf
	v_mov_b32_dpp v3, v1 row_shr:2 row_mask:0xf bank_mask:0xf
	;; [unrolled: 1-line block ×4, first 2 shown]
	v_pk_add_f32 v[0:1], v[0:1], v[2:3]
	v_pk_add_f32 v[4:5], v[4:5], v[6:7]
	s_nop 0
	v_mov_b32_dpp v2, v0 row_shr:4 row_mask:0xf bank_mask:0xe
	v_mov_b32_dpp v3, v1 row_shr:4 row_mask:0xf bank_mask:0xe
	;; [unrolled: 1-line block ×4, first 2 shown]
	s_and_b64 exec, exec, vcc
	s_cbranch_execz .LBB81_10
; %bb.38:
	s_load_dwordx2 s[0:1], s[0:1], 0x50
	v_cmp_eq_f32_e64 s[2:3], s14, 0
	v_pk_add_f32 v[2:3], v[0:1], v[2:3]
	v_pk_add_f32 v[0:1], v[4:5], v[6:7]
	s_and_b64 vcc, exec, s[2:3]
	v_lshlrev_b32_e32 v4, 2, v12
	s_cbranch_vccz .LBB81_40
; %bb.39:
	v_ashrrev_i32_e32 v5, 31, v4
	s_waitcnt lgkmcnt(0)
	v_lshl_add_u64 v[10:11], v[4:5], 2, s[0:1]
	v_pk_mul_f32 v[6:7], s[12:13], v[2:3] op_sel_hi:[0,1]
	v_pk_mul_f32 v[8:9], s[12:13], v[0:1] op_sel_hi:[0,1]
	global_store_dwordx4 v[10:11], v[6:9], off
	s_cbranch_execnz .LBB81_10
	s_branch .LBB81_41
.LBB81_40:
.LBB81_41:
	v_ashrrev_i32_e32 v5, 31, v4
	s_waitcnt lgkmcnt(0)
	v_lshl_add_u64 v[8:9], v[4:5], 2, s[0:1]
	global_load_dwordx4 v[4:7], v[8:9], off
	v_pk_mul_f32 v[2:3], s[12:13], v[2:3] op_sel_hi:[0,1]
	v_pk_mul_f32 v[10:11], s[12:13], v[0:1] op_sel_hi:[0,1]
	s_waitcnt vmcnt(0)
	v_pk_fma_f32 v[0:1], s[14:15], v[4:5], v[2:3] op_sel_hi:[0,1,1]
	v_pk_fma_f32 v[2:3], s[14:15], v[6:7], v[10:11] op_sel_hi:[0,1,1]
	global_store_dwordx4 v[8:9], v[0:3], off
	s_endpgm
	.section	.rodata,"a",@progbits
	.p2align	6, 0x0
	.amdhsa_kernel _ZN9rocsparseL18bsrxmvn_4x4_kernelILj128ELj8EfliaafEEvT3_20rocsparse_direction_NS_24const_host_device_scalarIT1_EES1_PKS1_PKT2_SA_S7_PKT4_PKT5_S5_PT6_21rocsparse_index_base_b
		.amdhsa_group_segment_fixed_size 0
		.amdhsa_private_segment_fixed_size 0
		.amdhsa_kernarg_size 96
		.amdhsa_user_sgpr_count 2
		.amdhsa_user_sgpr_dispatch_ptr 0
		.amdhsa_user_sgpr_queue_ptr 0
		.amdhsa_user_sgpr_kernarg_segment_ptr 1
		.amdhsa_user_sgpr_dispatch_id 0
		.amdhsa_user_sgpr_kernarg_preload_length 0
		.amdhsa_user_sgpr_kernarg_preload_offset 0
		.amdhsa_user_sgpr_private_segment_size 0
		.amdhsa_uses_dynamic_stack 0
		.amdhsa_enable_private_segment 0
		.amdhsa_system_sgpr_workgroup_id_x 1
		.amdhsa_system_sgpr_workgroup_id_y 0
		.amdhsa_system_sgpr_workgroup_id_z 0
		.amdhsa_system_sgpr_workgroup_info 0
		.amdhsa_system_vgpr_workitem_id 0
		.amdhsa_next_free_vgpr 100
		.amdhsa_next_free_sgpr 24
		.amdhsa_accum_offset 100
		.amdhsa_reserve_vcc 1
		.amdhsa_float_round_mode_32 0
		.amdhsa_float_round_mode_16_64 0
		.amdhsa_float_denorm_mode_32 3
		.amdhsa_float_denorm_mode_16_64 3
		.amdhsa_dx10_clamp 1
		.amdhsa_ieee_mode 1
		.amdhsa_fp16_overflow 0
		.amdhsa_tg_split 0
		.amdhsa_exception_fp_ieee_invalid_op 0
		.amdhsa_exception_fp_denorm_src 0
		.amdhsa_exception_fp_ieee_div_zero 0
		.amdhsa_exception_fp_ieee_overflow 0
		.amdhsa_exception_fp_ieee_underflow 0
		.amdhsa_exception_fp_ieee_inexact 0
		.amdhsa_exception_int_div_zero 0
	.end_amdhsa_kernel
	.section	.text._ZN9rocsparseL18bsrxmvn_4x4_kernelILj128ELj8EfliaafEEvT3_20rocsparse_direction_NS_24const_host_device_scalarIT1_EES1_PKS1_PKT2_SA_S7_PKT4_PKT5_S5_PT6_21rocsparse_index_base_b,"axG",@progbits,_ZN9rocsparseL18bsrxmvn_4x4_kernelILj128ELj8EfliaafEEvT3_20rocsparse_direction_NS_24const_host_device_scalarIT1_EES1_PKS1_PKT2_SA_S7_PKT4_PKT5_S5_PT6_21rocsparse_index_base_b,comdat
.Lfunc_end81:
	.size	_ZN9rocsparseL18bsrxmvn_4x4_kernelILj128ELj8EfliaafEEvT3_20rocsparse_direction_NS_24const_host_device_scalarIT1_EES1_PKS1_PKT2_SA_S7_PKT4_PKT5_S5_PT6_21rocsparse_index_base_b, .Lfunc_end81-_ZN9rocsparseL18bsrxmvn_4x4_kernelILj128ELj8EfliaafEEvT3_20rocsparse_direction_NS_24const_host_device_scalarIT1_EES1_PKS1_PKT2_SA_S7_PKT4_PKT5_S5_PT6_21rocsparse_index_base_b
                                        ; -- End function
	.set _ZN9rocsparseL18bsrxmvn_4x4_kernelILj128ELj8EfliaafEEvT3_20rocsparse_direction_NS_24const_host_device_scalarIT1_EES1_PKS1_PKT2_SA_S7_PKT4_PKT5_S5_PT6_21rocsparse_index_base_b.num_vgpr, 100
	.set _ZN9rocsparseL18bsrxmvn_4x4_kernelILj128ELj8EfliaafEEvT3_20rocsparse_direction_NS_24const_host_device_scalarIT1_EES1_PKS1_PKT2_SA_S7_PKT4_PKT5_S5_PT6_21rocsparse_index_base_b.num_agpr, 0
	.set _ZN9rocsparseL18bsrxmvn_4x4_kernelILj128ELj8EfliaafEEvT3_20rocsparse_direction_NS_24const_host_device_scalarIT1_EES1_PKS1_PKT2_SA_S7_PKT4_PKT5_S5_PT6_21rocsparse_index_base_b.numbered_sgpr, 24
	.set _ZN9rocsparseL18bsrxmvn_4x4_kernelILj128ELj8EfliaafEEvT3_20rocsparse_direction_NS_24const_host_device_scalarIT1_EES1_PKS1_PKT2_SA_S7_PKT4_PKT5_S5_PT6_21rocsparse_index_base_b.num_named_barrier, 0
	.set _ZN9rocsparseL18bsrxmvn_4x4_kernelILj128ELj8EfliaafEEvT3_20rocsparse_direction_NS_24const_host_device_scalarIT1_EES1_PKS1_PKT2_SA_S7_PKT4_PKT5_S5_PT6_21rocsparse_index_base_b.private_seg_size, 0
	.set _ZN9rocsparseL18bsrxmvn_4x4_kernelILj128ELj8EfliaafEEvT3_20rocsparse_direction_NS_24const_host_device_scalarIT1_EES1_PKS1_PKT2_SA_S7_PKT4_PKT5_S5_PT6_21rocsparse_index_base_b.uses_vcc, 1
	.set _ZN9rocsparseL18bsrxmvn_4x4_kernelILj128ELj8EfliaafEEvT3_20rocsparse_direction_NS_24const_host_device_scalarIT1_EES1_PKS1_PKT2_SA_S7_PKT4_PKT5_S5_PT6_21rocsparse_index_base_b.uses_flat_scratch, 0
	.set _ZN9rocsparseL18bsrxmvn_4x4_kernelILj128ELj8EfliaafEEvT3_20rocsparse_direction_NS_24const_host_device_scalarIT1_EES1_PKS1_PKT2_SA_S7_PKT4_PKT5_S5_PT6_21rocsparse_index_base_b.has_dyn_sized_stack, 0
	.set _ZN9rocsparseL18bsrxmvn_4x4_kernelILj128ELj8EfliaafEEvT3_20rocsparse_direction_NS_24const_host_device_scalarIT1_EES1_PKS1_PKT2_SA_S7_PKT4_PKT5_S5_PT6_21rocsparse_index_base_b.has_recursion, 0
	.set _ZN9rocsparseL18bsrxmvn_4x4_kernelILj128ELj8EfliaafEEvT3_20rocsparse_direction_NS_24const_host_device_scalarIT1_EES1_PKS1_PKT2_SA_S7_PKT4_PKT5_S5_PT6_21rocsparse_index_base_b.has_indirect_call, 0
	.section	.AMDGPU.csdata,"",@progbits
; Kernel info:
; codeLenInByte = 4268
; TotalNumSgprs: 30
; NumVgprs: 100
; NumAgprs: 0
; TotalNumVgprs: 100
; ScratchSize: 0
; MemoryBound: 0
; FloatMode: 240
; IeeeMode: 1
; LDSByteSize: 0 bytes/workgroup (compile time only)
; SGPRBlocks: 3
; VGPRBlocks: 12
; NumSGPRsForWavesPerEU: 30
; NumVGPRsForWavesPerEU: 100
; AccumOffset: 100
; Occupancy: 4
; WaveLimiterHint : 1
; COMPUTE_PGM_RSRC2:SCRATCH_EN: 0
; COMPUTE_PGM_RSRC2:USER_SGPR: 2
; COMPUTE_PGM_RSRC2:TRAP_HANDLER: 0
; COMPUTE_PGM_RSRC2:TGID_X_EN: 1
; COMPUTE_PGM_RSRC2:TGID_Y_EN: 0
; COMPUTE_PGM_RSRC2:TGID_Z_EN: 0
; COMPUTE_PGM_RSRC2:TIDIG_COMP_CNT: 0
; COMPUTE_PGM_RSRC3_GFX90A:ACCUM_OFFSET: 24
; COMPUTE_PGM_RSRC3_GFX90A:TG_SPLIT: 0
	.section	.text._ZN9rocsparseL18bsrxmvn_4x4_kernelILj128ELj16EfliaafEEvT3_20rocsparse_direction_NS_24const_host_device_scalarIT1_EES1_PKS1_PKT2_SA_S7_PKT4_PKT5_S5_PT6_21rocsparse_index_base_b,"axG",@progbits,_ZN9rocsparseL18bsrxmvn_4x4_kernelILj128ELj16EfliaafEEvT3_20rocsparse_direction_NS_24const_host_device_scalarIT1_EES1_PKS1_PKT2_SA_S7_PKT4_PKT5_S5_PT6_21rocsparse_index_base_b,comdat
	.globl	_ZN9rocsparseL18bsrxmvn_4x4_kernelILj128ELj16EfliaafEEvT3_20rocsparse_direction_NS_24const_host_device_scalarIT1_EES1_PKS1_PKT2_SA_S7_PKT4_PKT5_S5_PT6_21rocsparse_index_base_b ; -- Begin function _ZN9rocsparseL18bsrxmvn_4x4_kernelILj128ELj16EfliaafEEvT3_20rocsparse_direction_NS_24const_host_device_scalarIT1_EES1_PKS1_PKT2_SA_S7_PKT4_PKT5_S5_PT6_21rocsparse_index_base_b
	.p2align	8
	.type	_ZN9rocsparseL18bsrxmvn_4x4_kernelILj128ELj16EfliaafEEvT3_20rocsparse_direction_NS_24const_host_device_scalarIT1_EES1_PKS1_PKT2_SA_S7_PKT4_PKT5_S5_PT6_21rocsparse_index_base_b,@function
_ZN9rocsparseL18bsrxmvn_4x4_kernelILj128ELj16EfliaafEEvT3_20rocsparse_direction_NS_24const_host_device_scalarIT1_EES1_PKS1_PKT2_SA_S7_PKT4_PKT5_S5_PT6_21rocsparse_index_base_b: ; @_ZN9rocsparseL18bsrxmvn_4x4_kernelILj128ELj16EfliaafEEvT3_20rocsparse_direction_NS_24const_host_device_scalarIT1_EES1_PKS1_PKT2_SA_S7_PKT4_PKT5_S5_PT6_21rocsparse_index_base_b
; %bb.0:
	s_load_dwordx2 s[16:17], s[0:1], 0x58
	s_load_dwordx2 s[12:13], s[0:1], 0x8
	;; [unrolled: 1-line block ×3, first 2 shown]
	s_waitcnt lgkmcnt(0)
	s_bitcmp1_b32 s17, 0
	s_cselect_b64 s[6:7], -1, 0
	s_xor_b64 s[4:5], s[6:7], -1
	s_and_b64 vcc, exec, s[6:7]
	s_cbranch_vccnz .LBB82_2
; %bb.1:
	s_load_dword s12, s[12:13], 0x0
.LBB82_2:
	s_andn2_b64 vcc, exec, s[4:5]
	s_cbranch_vccnz .LBB82_4
; %bb.3:
	s_load_dword s14, s[14:15], 0x0
.LBB82_4:
	s_waitcnt lgkmcnt(0)
	v_cmp_neq_f32_e64 s[4:5], s12, 0
	v_cmp_neq_f32_e64 s[6:7], s14, 1.0
	s_or_b64 s[4:5], s[4:5], s[6:7]
	s_andn2_b64 vcc, exec, s[4:5]
	s_cbranch_vccnz .LBB82_10
; %bb.5:
	s_load_dwordx2 s[4:5], s[0:1], 0x18
	s_load_dwordx2 s[18:19], s[0:1], 0x0
	v_lshrrev_b32_e32 v1, 4, v0
	v_lshl_or_b32 v12, s2, 3, v1
	s_mov_b64 s[2:3], 0
	s_waitcnt lgkmcnt(0)
	s_cmp_lg_u64 s[4:5], 0
	s_cbranch_scc0 .LBB82_11
; %bb.6:
	s_load_dword s6, s[0:1], 0x10
                                        ; implicit-def: $vgpr1
	s_waitcnt lgkmcnt(0)
	v_cmp_gt_i32_e32 vcc, s6, v12
	s_and_saveexec_b64 s[6:7], vcc
	s_xor_b64 s[6:7], exec, s[6:7]
	s_cbranch_execz .LBB82_8
; %bb.7:
	v_ashrrev_i32_e32 v13, 31, v12
	v_lshl_add_u64 v[2:3], v[12:13], 2, s[4:5]
	global_load_dword v1, v[2:3], off
	s_mov_b64 s[2:3], exec
	s_waitcnt vmcnt(0)
	v_subrev_u32_e32 v1, s16, v1
.LBB82_8:
	s_or_b64 exec, exec, s[6:7]
	s_branch .LBB82_12
.LBB82_9:
	v_cmp_gt_i32_e32 vcc, s18, v12
	s_andn2_b64 s[2:3], s[2:3], exec
	s_and_b64 s[4:5], vcc, exec
	s_or_b64 s[2:3], s[2:3], s[4:5]
	s_and_saveexec_b64 s[4:5], s[2:3]
	s_cbranch_execnz .LBB82_13
.LBB82_10:
	s_endpgm
.LBB82_11:
                                        ; implicit-def: $vgpr1
	s_cbranch_execnz .LBB82_9
.LBB82_12:
	v_mov_b32_e32 v12, v1
	s_and_saveexec_b64 s[4:5], s[2:3]
	s_cbranch_execz .LBB82_10
.LBB82_13:
	s_load_dwordx8 s[4:11], s[0:1], 0x20
	v_ashrrev_i32_e32 v13, 31, v12
	v_lshlrev_b64 v[2:3], 3, v[12:13]
	v_and_b32_e32 v14, 15, v0
	v_mov_b32_e32 v15, 0
	s_waitcnt lgkmcnt(0)
	v_lshl_add_u64 v[6:7], s[4:5], 0, v[2:3]
	s_cmp_eq_u64 s[6:7], 0
	v_lshl_add_u64 v[2:3], s[6:7], 0, v[2:3]
	global_load_dwordx2 v[4:5], v[6:7], off
	v_lshl_add_u64 v[6:7], v[6:7], 0, 8
	s_cselect_b64 vcc, -1, 0
	v_cndmask_b32_e32 v3, v3, v7, vcc
	v_cndmask_b32_e32 v2, v2, v6, vcc
	global_load_dwordx2 v[2:3], v[2:3], off
	s_load_dwordx2 s[4:5], s[0:1], 0x40
	s_cmp_eq_u32 s19, 1
	s_waitcnt vmcnt(1)
	v_subrev_co_u32_e32 v0, vcc, s16, v4
	s_nop 1
	v_subbrev_co_u32_e32 v1, vcc, 0, v5, vcc
	v_lshl_add_u64 v[16:17], v[0:1], 0, v[14:15]
	s_waitcnt vmcnt(0)
	v_subrev_co_u32_e32 v18, vcc, s16, v2
	v_lshl_add_u64 v[20:21], v[16:17], 4, s[10:11]
	s_nop 0
	v_subbrev_co_u32_e32 v19, vcc, 0, v3, vcc
	v_cmp_lt_i64_e64 s[2:3], v[16:17], v[18:19]
	s_cbranch_scc1 .LBB82_25
; %bb.14:
	v_mov_b32_e32 v22, v15
	v_mov_b32_e32 v25, v15
	;; [unrolled: 1-line block ×3, first 2 shown]
	s_and_saveexec_b64 s[6:7], s[2:3]
	s_cbranch_execz .LBB82_24
; %bb.15:
	v_or_b32_e32 v0, 16, v14
	v_subrev_co_u32_e32 v0, vcc, s16, v0
	v_not_b32_e32 v3, v5
	s_nop 0
	v_subb_co_u32_e64 v1, s[10:11], 0, 0, vcc
	v_lshl_add_u64 v[0:1], v[0:1], 0, v[4:5]
	v_cmp_gt_i64_e32 vcc, v[0:1], v[18:19]
	v_not_b32_e32 v2, v4
	v_mov_b32_e32 v25, 0
	v_cndmask_b32_e32 v1, v19, v1, vcc
	v_cndmask_b32_e32 v0, v18, v0, vcc
	v_sub_co_u32_e32 v6, vcc, s16, v14
	v_mov_b32_e32 v22, v25
	s_nop 0
	v_subb_co_u32_e64 v7, s[10:11], 0, 0, vcc
	v_lshl_add_u64 v[2:3], v[6:7], 0, v[2:3]
	v_lshl_add_u64 v[0:1], v[2:3], 0, v[0:1]
	v_and_b32_e32 v24, 48, v0
	v_cmp_ne_u64_e32 vcc, 48, v[24:25]
	v_mov_b32_e32 v24, v25
	v_mov_b32_e32 v23, v25
	v_mov_b64_e32 v[6:7], v[16:17]
	v_mov_b64_e32 v[8:9], v[20:21]
	s_and_saveexec_b64 s[10:11], vcc
	s_cbranch_execz .LBB82_19
; %bb.16:
	v_lshrrev_b32_e32 v2, 4, v0
	v_add_u32_e32 v2, 1, v2
	v_and_b32_e32 v6, 3, v2
	v_sub_co_u32_e32 v10, vcc, 0, v6
	v_mov_b32_e32 v23, 0
	s_nop 0
	v_subb_co_u32_e64 v11, s[20:21], 0, 0, vcc
	v_lshl_add_u64 v[2:3], v[16:17], 2, s[8:9]
	s_mov_b64 s[18:19], 0
	s_mov_b64 s[20:21], 0x100
	v_mov_b64_e32 v[8:9], v[20:21]
	v_mov_b64_e32 v[6:7], v[16:17]
	v_mov_b32_e32 v22, v23
	v_mov_b32_e32 v25, v23
	v_mov_b32_e32 v24, v23
.LBB82_17:                              ; =>This Inner Loop Header: Depth=1
	global_load_dword v13, v[2:3], off
	global_load_dwordx4 v[26:29], v[8:9], off
	v_lshl_add_u64 v[10:11], v[10:11], 0, 1
	v_cmp_eq_u64_e32 vcc, 0, v[10:11]
	v_lshl_add_u64 v[8:9], v[8:9], 0, s[20:21]
	v_lshl_add_u64 v[6:7], v[6:7], 0, 16
	;; [unrolled: 1-line block ×3, first 2 shown]
	s_or_b64 s[18:19], vcc, s[18:19]
	s_waitcnt vmcnt(1)
	v_subrev_u32_e32 v13, s16, v13
	v_lshlrev_b32_e32 v30, 2, v13
	v_ashrrev_i32_e32 v31, 31, v30
	s_waitcnt lgkmcnt(0)
	v_lshl_add_u64 v[30:31], s[4:5], 0, v[30:31]
	global_load_dword v13, v[30:31], off
	s_waitcnt vmcnt(1)
	v_cvt_f32_i32_sdwa v15, sext(v26) dst_sel:DWORD dst_unused:UNUSED_PAD src0_sel:BYTE_0
	v_cvt_f32_i32_sdwa v39, sext(v27) dst_sel:DWORD dst_unused:UNUSED_PAD src0_sel:BYTE_0
	v_cvt_f32_i32_sdwa v41, sext(v28) dst_sel:DWORD dst_unused:UNUSED_PAD src0_sel:BYTE_0
	v_cvt_f32_i32_sdwa v43, sext(v29) dst_sel:DWORD dst_unused:UNUSED_PAD src0_sel:BYTE_0
	v_cvt_f32_i32_sdwa v30, sext(v26) dst_sel:DWORD dst_unused:UNUSED_PAD src0_sel:BYTE_1
	v_cvt_f32_i32_sdwa v31, sext(v27) dst_sel:DWORD dst_unused:UNUSED_PAD src0_sel:BYTE_1
	;; [unrolled: 1-line block ×4, first 2 shown]
	v_cvt_f32_i32_sdwa v33, sext(v27) dst_sel:DWORD dst_unused:UNUSED_PAD src0_sel:BYTE_2
	v_cvt_f32_i32_sdwa v32, sext(v26) dst_sel:DWORD dst_unused:UNUSED_PAD src0_sel:BYTE_2
	v_cvt_f32_i32_sdwa v37, sext(v29) dst_sel:DWORD dst_unused:UNUSED_PAD src0_sel:BYTE_2
	v_cvt_f32_i32_sdwa v36, sext(v28) dst_sel:DWORD dst_unused:UNUSED_PAD src0_sel:BYTE_2
	v_cvt_f32_i32_sdwa v27, sext(v27) dst_sel:DWORD dst_unused:UNUSED_PAD src0_sel:BYTE_3
	v_cvt_f32_i32_sdwa v26, sext(v26) dst_sel:DWORD dst_unused:UNUSED_PAD src0_sel:BYTE_3
	;; [unrolled: 1-line block ×4, first 2 shown]
	s_waitcnt vmcnt(0)
	v_cvt_f32_i32_sdwa v44, sext(v13) dst_sel:DWORD dst_unused:UNUSED_PAD src0_sel:BYTE_0
	v_cvt_f32_i32_sdwa v38, sext(v13) dst_sel:DWORD dst_unused:UNUSED_PAD src0_sel:BYTE_1
	v_cvt_f32_i32_sdwa v40, sext(v13) dst_sel:DWORD dst_unused:UNUSED_PAD src0_sel:BYTE_2
	v_cvt_f32_i32_sdwa v42, sext(v13) dst_sel:DWORD dst_unused:UNUSED_PAD src0_sel:BYTE_3
	v_fmac_f32_e32 v24, v15, v44
	v_fmac_f32_e32 v25, v39, v44
	;; [unrolled: 1-line block ×4, first 2 shown]
	v_pk_fma_f32 v[24:25], v[30:31], v[38:39], v[24:25] op_sel_hi:[1,0,1]
	v_pk_fma_f32 v[22:23], v[34:35], v[38:39], v[22:23] op_sel_hi:[1,0,1]
	;; [unrolled: 1-line block ×6, first 2 shown]
	s_andn2_b64 exec, exec, s[18:19]
	s_cbranch_execnz .LBB82_17
; %bb.18:
	s_or_b64 exec, exec, s[18:19]
.LBB82_19:
	s_or_b64 exec, exec, s[10:11]
	v_cmp_lt_u64_e32 vcc, 47, v[0:1]
	s_and_saveexec_b64 s[10:11], vcc
	s_cbranch_execz .LBB82_23
; %bb.20:
	v_lshl_add_u64 v[0:1], v[6:7], 2, s[8:9]
	s_mov_b64 s[18:19], 0x80
	v_lshl_add_u64 v[10:11], v[0:1], 0, s[18:19]
	s_mov_b64 s[18:19], 0
	s_mov_b64 s[20:21], 0x100
	;; [unrolled: 1-line block ×3, first 2 shown]
.LBB82_21:                              ; =>This Inner Loop Header: Depth=1
	global_load_dword v13, v[10:11], off offset:-128
	global_load_dwordx4 v[0:3], v[8:9], off
	global_load_dword v15, v[10:11], off offset:-64
	global_load_dword v42, v[10:11], off
	global_load_dwordx4 v[26:29], v[8:9], off offset:256
	global_load_dwordx4 v[30:33], v[8:9], off offset:512
	global_load_dword v56, v[10:11], off offset:64
	global_load_dwordx4 v[34:37], v[8:9], off offset:768
	v_lshl_add_u64 v[6:7], v[6:7], 0, 64
	v_cmp_ge_i64_e32 vcc, v[6:7], v[18:19]
	v_lshl_add_u64 v[10:11], v[10:11], 0, s[20:21]
	v_lshl_add_u64 v[8:9], v[8:9], 0, s[22:23]
	s_or_b64 s[18:19], vcc, s[18:19]
	s_waitcnt vmcnt(7)
	v_subrev_u32_e32 v13, s16, v13
	s_waitcnt vmcnt(6)
	v_cvt_f32_i32_sdwa v83, sext(v0) dst_sel:DWORD dst_unused:UNUSED_PAD src0_sel:BYTE_0
	s_waitcnt vmcnt(5)
	v_subrev_u32_e32 v15, s16, v15
	s_waitcnt vmcnt(4)
	v_subrev_u32_e32 v57, s16, v42
	v_lshlrev_b32_e32 v58, 2, v15
	v_lshlrev_b32_e32 v60, 2, v57
	s_waitcnt vmcnt(1)
	v_subrev_u32_e32 v59, s16, v56
	v_lshlrev_b32_e32 v56, 2, v13
	v_lshlrev_b32_e32 v62, 2, v59
	v_ashrrev_i32_e32 v57, 31, v56
	v_ashrrev_i32_e32 v59, 31, v58
	;; [unrolled: 1-line block ×4, first 2 shown]
	s_waitcnt lgkmcnt(0)
	v_lshl_add_u64 v[56:57], s[4:5], 0, v[56:57]
	v_lshl_add_u64 v[58:59], s[4:5], 0, v[58:59]
	;; [unrolled: 1-line block ×4, first 2 shown]
	global_load_dword v13, v[56:57], off
	global_load_dword v15, v[58:59], off
	;; [unrolled: 1-line block ×4, first 2 shown]
	v_cvt_f32_i32_sdwa v85, sext(v1) dst_sel:DWORD dst_unused:UNUSED_PAD src0_sel:BYTE_0
	v_cvt_f32_i32_sdwa v87, sext(v2) dst_sel:DWORD dst_unused:UNUSED_PAD src0_sel:BYTE_0
	;; [unrolled: 1-line block ×3, first 2 shown]
	v_cvt_f32_i32_sdwa v38, sext(v0) dst_sel:DWORD dst_unused:UNUSED_PAD src0_sel:BYTE_1
	v_cvt_f32_i32_sdwa v39, sext(v1) dst_sel:DWORD dst_unused:UNUSED_PAD src0_sel:BYTE_1
	;; [unrolled: 1-line block ×4, first 2 shown]
	v_cvt_f32_i32_sdwa v43, sext(v1) dst_sel:DWORD dst_unused:UNUSED_PAD src0_sel:BYTE_2
	v_cvt_f32_i32_sdwa v42, sext(v0) dst_sel:DWORD dst_unused:UNUSED_PAD src0_sel:BYTE_2
	;; [unrolled: 1-line block ×4, first 2 shown]
	v_cvt_f32_i32_sdwa v1, sext(v1) dst_sel:DWORD dst_unused:UNUSED_PAD src0_sel:BYTE_3
	v_cvt_f32_i32_sdwa v0, sext(v0) dst_sel:DWORD dst_unused:UNUSED_PAD src0_sel:BYTE_3
	;; [unrolled: 1-line block ×4, first 2 shown]
	v_cvt_f32_i32_sdwa v45, sext(v27) dst_sel:DWORD dst_unused:UNUSED_PAD src0_sel:BYTE_0
	v_cvt_f32_i32_sdwa v44, sext(v26) dst_sel:DWORD dst_unused:UNUSED_PAD src0_sel:BYTE_0
	;; [unrolled: 1-line block ×4, first 2 shown]
	v_cvt_f32_i32_sdwa v47, sext(v27) dst_sel:DWORD dst_unused:UNUSED_PAD src0_sel:BYTE_1
	v_cvt_f32_i32_sdwa v46, sext(v26) dst_sel:DWORD dst_unused:UNUSED_PAD src0_sel:BYTE_1
	v_cvt_f32_i32_sdwa v61, sext(v29) dst_sel:DWORD dst_unused:UNUSED_PAD src0_sel:BYTE_1
	v_cvt_f32_i32_sdwa v60, sext(v28) dst_sel:DWORD dst_unused:UNUSED_PAD src0_sel:BYTE_1
	v_cvt_f32_i32_sdwa v49, sext(v27) dst_sel:DWORD dst_unused:UNUSED_PAD src0_sel:BYTE_2
	v_cvt_f32_i32_sdwa v48, sext(v26) dst_sel:DWORD dst_unused:UNUSED_PAD src0_sel:BYTE_2
	;; [unrolled: 1-line block ×4, first 2 shown]
	v_cvt_f32_i32_sdwa v27, sext(v27) dst_sel:DWORD dst_unused:UNUSED_PAD src0_sel:BYTE_3
	v_cvt_f32_i32_sdwa v26, sext(v26) dst_sel:DWORD dst_unused:UNUSED_PAD src0_sel:BYTE_3
	;; [unrolled: 1-line block ×4, first 2 shown]
	v_cvt_f32_i32_sdwa v51, sext(v31) dst_sel:DWORD dst_unused:UNUSED_PAD src0_sel:BYTE_0
	v_cvt_f32_i32_sdwa v50, sext(v30) dst_sel:DWORD dst_unused:UNUSED_PAD src0_sel:BYTE_0
	;; [unrolled: 1-line block ×4, first 2 shown]
	v_cvt_f32_i32_sdwa v53, sext(v31) dst_sel:DWORD dst_unused:UNUSED_PAD src0_sel:BYTE_1
	v_cvt_f32_i32_sdwa v52, sext(v30) dst_sel:DWORD dst_unused:UNUSED_PAD src0_sel:BYTE_1
	;; [unrolled: 1-line block ×4, first 2 shown]
	v_cvt_f32_i32_sdwa v55, sext(v31) dst_sel:DWORD dst_unused:UNUSED_PAD src0_sel:BYTE_2
	v_cvt_f32_i32_sdwa v54, sext(v30) dst_sel:DWORD dst_unused:UNUSED_PAD src0_sel:BYTE_2
	;; [unrolled: 1-line block ×4, first 2 shown]
	v_cvt_f32_i32_sdwa v31, sext(v31) dst_sel:DWORD dst_unused:UNUSED_PAD src0_sel:BYTE_3
	v_cvt_f32_i32_sdwa v30, sext(v30) dst_sel:DWORD dst_unused:UNUSED_PAD src0_sel:BYTE_3
	;; [unrolled: 1-line block ×4, first 2 shown]
	s_waitcnt vmcnt(4)
	v_cvt_f32_i32_sdwa v70, sext(v34) dst_sel:DWORD dst_unused:UNUSED_PAD src0_sel:BYTE_0
	v_cvt_f32_i32_sdwa v71, sext(v35) dst_sel:DWORD dst_unused:UNUSED_PAD src0_sel:BYTE_0
	;; [unrolled: 1-line block ×4, first 2 shown]
	v_cvt_f32_i32_sdwa v73, sext(v35) dst_sel:DWORD dst_unused:UNUSED_PAD src0_sel:BYTE_1
	v_cvt_f32_i32_sdwa v72, sext(v34) dst_sel:DWORD dst_unused:UNUSED_PAD src0_sel:BYTE_1
	;; [unrolled: 1-line block ×4, first 2 shown]
	v_cvt_f32_i32_sdwa v75, sext(v35) dst_sel:DWORD dst_unused:UNUSED_PAD src0_sel:BYTE_2
	v_cvt_f32_i32_sdwa v74, sext(v34) dst_sel:DWORD dst_unused:UNUSED_PAD src0_sel:BYTE_2
	;; [unrolled: 1-line block ×4, first 2 shown]
	v_cvt_f32_i32_sdwa v35, sext(v35) dst_sel:DWORD dst_unused:UNUSED_PAD src0_sel:BYTE_3
	v_cvt_f32_i32_sdwa v34, sext(v34) dst_sel:DWORD dst_unused:UNUSED_PAD src0_sel:BYTE_3
	;; [unrolled: 1-line block ×4, first 2 shown]
	s_waitcnt vmcnt(3)
	v_cvt_f32_i32_sdwa v95, sext(v13) dst_sel:DWORD dst_unused:UNUSED_PAD src0_sel:BYTE_0
	v_cvt_f32_i32_sdwa v82, sext(v13) dst_sel:DWORD dst_unused:UNUSED_PAD src0_sel:BYTE_1
	v_cvt_f32_i32_sdwa v84, sext(v13) dst_sel:DWORD dst_unused:UNUSED_PAD src0_sel:BYTE_2
	v_cvt_f32_i32_sdwa v86, sext(v13) dst_sel:DWORD dst_unused:UNUSED_PAD src0_sel:BYTE_3
	s_waitcnt vmcnt(2)
	v_cvt_f32_i32_sdwa v88, sext(v15) dst_sel:DWORD dst_unused:UNUSED_PAD src0_sel:BYTE_0
	v_fmac_f32_e32 v24, v83, v95
	v_fmac_f32_e32 v25, v85, v95
	;; [unrolled: 1-line block ×4, first 2 shown]
	v_cvt_f32_i32_sdwa v90, sext(v15) dst_sel:DWORD dst_unused:UNUSED_PAD src0_sel:BYTE_1
	v_pk_fma_f32 v[24:25], v[38:39], v[82:83], v[24:25] op_sel_hi:[1,0,1]
	v_pk_fma_f32 v[22:23], v[40:41], v[82:83], v[22:23] op_sel_hi:[1,0,1]
	v_cvt_f32_i32_sdwa v92, sext(v15) dst_sel:DWORD dst_unused:UNUSED_PAD src0_sel:BYTE_2
	v_pk_fma_f32 v[24:25], v[42:43], v[84:85], v[24:25] op_sel_hi:[1,0,1]
	v_pk_fma_f32 v[22:23], v[56:57], v[84:85], v[22:23] op_sel_hi:[1,0,1]
	v_cvt_f32_i32_sdwa v94, sext(v15) dst_sel:DWORD dst_unused:UNUSED_PAD src0_sel:BYTE_3
	v_pk_fma_f32 v[0:1], v[0:1], v[86:87], v[24:25] op_sel_hi:[1,0,1]
	v_pk_fma_f32 v[2:3], v[2:3], v[86:87], v[22:23] op_sel_hi:[1,0,1]
	s_waitcnt vmcnt(1)
	v_cvt_f32_i32_sdwa v96, sext(v91) dst_sel:DWORD dst_unused:UNUSED_PAD src0_sel:BYTE_0
	v_pk_fma_f32 v[0:1], v[44:45], v[88:89], v[0:1] op_sel_hi:[1,0,1]
	v_pk_fma_f32 v[2:3], v[58:59], v[88:89], v[2:3] op_sel_hi:[1,0,1]
	v_cvt_f32_i32_sdwa v98, sext(v91) dst_sel:DWORD dst_unused:UNUSED_PAD src0_sel:BYTE_1
	v_pk_fma_f32 v[0:1], v[46:47], v[90:91], v[0:1] op_sel_hi:[1,0,1]
	v_pk_fma_f32 v[2:3], v[60:61], v[90:91], v[2:3] op_sel_hi:[1,0,1]
	v_cvt_f32_i32_sdwa v38, sext(v91) dst_sel:DWORD dst_unused:UNUSED_PAD src0_sel:BYTE_2
	s_waitcnt vmcnt(0)
	v_pk_fma_f32 v[0:1], v[48:49], v[92:93], v[0:1] op_sel_hi:[1,0,1]
	v_pk_fma_f32 v[2:3], v[62:63], v[92:93], v[2:3] op_sel_hi:[1,0,1]
	v_cvt_f32_i32_sdwa v40, sext(v91) dst_sel:DWORD dst_unused:UNUSED_PAD src0_sel:BYTE_3
	v_pk_fma_f32 v[0:1], v[26:27], v[94:95], v[0:1] op_sel_hi:[1,0,1]
	v_pk_fma_f32 v[2:3], v[28:29], v[94:95], v[2:3] op_sel_hi:[1,0,1]
	v_cvt_f32_i32_sdwa v82, sext(v93) dst_sel:DWORD dst_unused:UNUSED_PAD src0_sel:BYTE_0
	v_pk_fma_f32 v[0:1], v[50:51], v[96:97], v[0:1] op_sel_hi:[1,0,1]
	v_pk_fma_f32 v[2:3], v[64:65], v[96:97], v[2:3] op_sel_hi:[1,0,1]
	v_cvt_f32_i32_sdwa v42, sext(v93) dst_sel:DWORD dst_unused:UNUSED_PAD src0_sel:BYTE_1
	v_pk_fma_f32 v[0:1], v[52:53], v[98:99], v[0:1] op_sel_hi:[1,0,1]
	v_pk_fma_f32 v[2:3], v[66:67], v[98:99], v[2:3] op_sel_hi:[1,0,1]
	v_cvt_f32_i32_sdwa v56, sext(v93) dst_sel:DWORD dst_unused:UNUSED_PAD src0_sel:BYTE_2
	v_pk_fma_f32 v[0:1], v[54:55], v[38:39], v[0:1] op_sel_hi:[1,0,1]
	v_pk_fma_f32 v[2:3], v[68:69], v[38:39], v[2:3] op_sel_hi:[1,0,1]
	v_cvt_f32_i32_sdwa v84, sext(v93) dst_sel:DWORD dst_unused:UNUSED_PAD src0_sel:BYTE_3
	v_pk_fma_f32 v[0:1], v[30:31], v[40:41], v[0:1] op_sel_hi:[1,0,1]
	v_pk_fma_f32 v[2:3], v[32:33], v[40:41], v[2:3] op_sel_hi:[1,0,1]
	;; [unrolled: 1-line block ×10, first 2 shown]
	s_andn2_b64 exec, exec, s[18:19]
	s_cbranch_execnz .LBB82_21
; %bb.22:
	s_or_b64 exec, exec, s[18:19]
.LBB82_23:
	s_or_b64 exec, exec, s[10:11]
	v_mov_b32_e32 v15, v23
.LBB82_24:
	s_or_b64 exec, exec, s[6:7]
	v_mov_b32_e32 v23, v15
	s_cbranch_execz .LBB82_26
	s_branch .LBB82_37
.LBB82_25:
                                        ; implicit-def: $vgpr23
                                        ; implicit-def: $vgpr25
.LBB82_26:
	v_mov_b32_e32 v23, 0
	v_mov_b32_e32 v22, 0
	;; [unrolled: 1-line block ×4, first 2 shown]
	s_and_saveexec_b64 s[6:7], s[2:3]
	s_cbranch_execz .LBB82_36
; %bb.27:
	v_or_b32_e32 v0, 16, v14
	v_subrev_co_u32_e32 v0, vcc, s16, v0
	v_not_b32_e32 v2, v4
	s_nop 0
	v_subb_co_u32_e64 v1, s[2:3], 0, 0, vcc
	v_lshl_add_u64 v[0:1], v[0:1], 0, v[4:5]
	v_cmp_gt_i64_e32 vcc, v[0:1], v[18:19]
	v_not_b32_e32 v3, v5
	v_mov_b32_e32 v22, 0
	v_cndmask_b32_e32 v1, v19, v1, vcc
	v_cndmask_b32_e32 v0, v18, v0, vcc
	v_sub_co_u32_e32 v4, vcc, s16, v14
	v_mov_b32_e32 v23, v22
	s_nop 0
	v_subb_co_u32_e64 v5, s[2:3], 0, 0, vcc
	v_lshl_add_u64 v[2:3], v[4:5], 0, v[2:3]
	v_lshl_add_u64 v[0:1], v[2:3], 0, v[0:1]
	v_and_b32_e32 v2, 48, v0
	v_mov_b32_e32 v3, v22
	v_cmp_ne_u64_e32 vcc, 48, v[2:3]
	v_mov_b64_e32 v[24:25], v[22:23]
	s_and_saveexec_b64 s[2:3], vcc
	s_cbranch_execz .LBB82_31
; %bb.28:
	v_lshrrev_b32_e32 v2, 4, v0
	v_add_u32_e32 v2, 1, v2
	v_and_b32_e32 v4, 3, v2
	v_sub_co_u32_e32 v4, vcc, 0, v4
	v_lshl_add_u64 v[2:3], v[16:17], 2, s[8:9]
	s_nop 0
	v_subb_co_u32_e64 v5, s[18:19], 0, 0, vcc
	s_mov_b64 s[10:11], 0
	s_mov_b64 s[18:19], 0x100
	v_mov_b32_e32 v23, v22
	v_mov_b32_e32 v24, v22
	;; [unrolled: 1-line block ×3, first 2 shown]
.LBB82_29:                              ; =>This Inner Loop Header: Depth=1
	global_load_dword v10, v[2:3], off
	global_load_dwordx4 v[6:9], v[20:21], off
	v_lshl_add_u64 v[4:5], v[4:5], 0, 1
	v_cmp_eq_u64_e32 vcc, 0, v[4:5]
	v_lshl_add_u64 v[20:21], v[20:21], 0, s[18:19]
	v_lshl_add_u64 v[16:17], v[16:17], 0, 16
	;; [unrolled: 1-line block ×3, first 2 shown]
	s_or_b64 s[10:11], vcc, s[10:11]
	s_waitcnt vmcnt(1)
	v_subrev_u32_e32 v10, s16, v10
	v_lshlrev_b32_e32 v10, 2, v10
	v_ashrrev_i32_e32 v11, 31, v10
	s_waitcnt lgkmcnt(0)
	v_lshl_add_u64 v[10:11], s[4:5], 0, v[10:11]
	global_load_dword v13, v[10:11], off
	s_waitcnt vmcnt(1)
	v_cvt_f32_i32_sdwa v11, sext(v6) dst_sel:DWORD dst_unused:UNUSED_PAD src0_sel:BYTE_1
	v_cvt_f32_i32_sdwa v10, sext(v6) dst_sel:DWORD dst_unused:UNUSED_PAD src0_sel:BYTE_0
	v_cvt_f32_i32_sdwa v27, sext(v6) dst_sel:DWORD dst_unused:UNUSED_PAD src0_sel:BYTE_3
	v_cvt_f32_i32_sdwa v26, sext(v6) dst_sel:DWORD dst_unused:UNUSED_PAD src0_sel:BYTE_2
	v_cvt_f32_i32_sdwa v29, sext(v7) dst_sel:DWORD dst_unused:UNUSED_PAD src0_sel:BYTE_1
	v_cvt_f32_i32_sdwa v28, sext(v7) dst_sel:DWORD dst_unused:UNUSED_PAD src0_sel:BYTE_0
	v_cvt_f32_i32_sdwa v31, sext(v7) dst_sel:DWORD dst_unused:UNUSED_PAD src0_sel:BYTE_3
	v_cvt_f32_i32_sdwa v30, sext(v7) dst_sel:DWORD dst_unused:UNUSED_PAD src0_sel:BYTE_2
	;; [unrolled: 4-line block ×4, first 2 shown]
	s_waitcnt vmcnt(0)
	v_cvt_f32_i32_sdwa v8, sext(v13) dst_sel:DWORD dst_unused:UNUSED_PAD src0_sel:BYTE_0
	v_cvt_f32_i32_sdwa v38, sext(v13) dst_sel:DWORD dst_unused:UNUSED_PAD src0_sel:BYTE_1
	v_cvt_f32_i32_sdwa v40, sext(v13) dst_sel:DWORD dst_unused:UNUSED_PAD src0_sel:BYTE_2
	v_cvt_f32_i32_sdwa v42, sext(v13) dst_sel:DWORD dst_unused:UNUSED_PAD src0_sel:BYTE_3
	v_pk_fma_f32 v[10:11], v[10:11], v[8:9], v[24:25] op_sel_hi:[1,0,1]
	v_pk_fma_f32 v[8:9], v[26:27], v[8:9], v[22:23] op_sel_hi:[1,0,1]
	v_pk_fma_f32 v[10:11], v[28:29], v[38:39], v[10:11] op_sel_hi:[1,0,1]
	v_pk_fma_f32 v[8:9], v[30:31], v[38:39], v[8:9] op_sel_hi:[1,0,1]
	v_pk_fma_f32 v[6:7], v[6:7], v[40:41], v[10:11] op_sel_hi:[1,0,1]
	v_pk_fma_f32 v[8:9], v[34:35], v[40:41], v[8:9] op_sel_hi:[1,0,1]
	v_pk_fma_f32 v[24:25], v[32:33], v[42:43], v[6:7] op_sel_hi:[1,0,1]
	v_pk_fma_f32 v[22:23], v[36:37], v[42:43], v[8:9] op_sel_hi:[1,0,1]
	s_andn2_b64 exec, exec, s[10:11]
	s_cbranch_execnz .LBB82_29
; %bb.30:
	s_or_b64 exec, exec, s[10:11]
.LBB82_31:
	s_or_b64 exec, exec, s[2:3]
	v_cmp_lt_u64_e32 vcc, 47, v[0:1]
	s_and_saveexec_b64 s[2:3], vcc
	s_cbranch_execz .LBB82_35
; %bb.32:
	v_lshl_add_u64 v[0:1], v[16:17], 2, s[8:9]
	s_mov_b64 s[8:9], 0x80
	v_lshl_add_u64 v[26:27], v[0:1], 0, s[8:9]
	s_mov_b64 s[8:9], 0
	s_mov_b64 s[10:11], 0x400
	;; [unrolled: 1-line block ×3, first 2 shown]
.LBB82_33:                              ; =>This Inner Loop Header: Depth=1
	global_load_dwordx4 v[0:3], v[20:21], off
	global_load_dwordx4 v[4:7], v[20:21], off offset:256
	global_load_dwordx4 v[8:11], v[20:21], off offset:512
	global_load_dword v13, v[26:27], off offset:-128
	global_load_dword v15, v[26:27], off offset:-64
	global_load_dword v54, v[26:27], off
	global_load_dword v56, v[26:27], off offset:64
	global_load_dwordx4 v[28:31], v[20:21], off offset:768
	v_lshl_add_u64 v[16:17], v[16:17], 0, 64
	v_cmp_ge_i64_e32 vcc, v[16:17], v[18:19]
	v_lshl_add_u64 v[20:21], v[20:21], 0, s[10:11]
	v_lshl_add_u64 v[26:27], v[26:27], 0, s[18:19]
	s_or_b64 s[8:9], vcc, s[8:9]
	s_waitcnt vmcnt(7)
	v_cvt_f32_i32_sdwa v33, sext(v0) dst_sel:DWORD dst_unused:UNUSED_PAD src0_sel:BYTE_1
	v_cvt_f32_i32_sdwa v32, sext(v0) dst_sel:DWORD dst_unused:UNUSED_PAD src0_sel:BYTE_0
	v_cvt_f32_i32_sdwa v35, sext(v0) dst_sel:DWORD dst_unused:UNUSED_PAD src0_sel:BYTE_3
	s_waitcnt vmcnt(4)
	v_subrev_u32_e32 v13, s16, v13
	s_waitcnt vmcnt(3)
	v_subrev_u32_e32 v15, s16, v15
	s_waitcnt vmcnt(2)
	v_subrev_u32_e32 v54, s16, v54
	s_waitcnt vmcnt(1)
	v_subrev_u32_e32 v57, s16, v56
	v_lshlrev_b32_e32 v56, 2, v13
	v_lshlrev_b32_e32 v58, 2, v15
	;; [unrolled: 1-line block ×4, first 2 shown]
	v_ashrrev_i32_e32 v57, 31, v56
	v_ashrrev_i32_e32 v59, 31, v58
	;; [unrolled: 1-line block ×4, first 2 shown]
	s_waitcnt lgkmcnt(0)
	v_lshl_add_u64 v[56:57], s[4:5], 0, v[56:57]
	v_lshl_add_u64 v[58:59], s[4:5], 0, v[58:59]
	;; [unrolled: 1-line block ×4, first 2 shown]
	global_load_dword v13, v[56:57], off
	global_load_dword v15, v[58:59], off
	;; [unrolled: 1-line block ×4, first 2 shown]
	v_cvt_f32_i32_sdwa v34, sext(v0) dst_sel:DWORD dst_unused:UNUSED_PAD src0_sel:BYTE_2
	v_cvt_f32_i32_sdwa v37, sext(v1) dst_sel:DWORD dst_unused:UNUSED_PAD src0_sel:BYTE_1
	v_cvt_f32_i32_sdwa v36, sext(v1) dst_sel:DWORD dst_unused:UNUSED_PAD src0_sel:BYTE_0
	v_cvt_f32_i32_sdwa v39, sext(v1) dst_sel:DWORD dst_unused:UNUSED_PAD src0_sel:BYTE_3
	v_cvt_f32_i32_sdwa v38, sext(v1) dst_sel:DWORD dst_unused:UNUSED_PAD src0_sel:BYTE_2
	v_cvt_f32_i32_sdwa v1, sext(v2) dst_sel:DWORD dst_unused:UNUSED_PAD src0_sel:BYTE_1
	v_cvt_f32_i32_sdwa v0, sext(v2) dst_sel:DWORD dst_unused:UNUSED_PAD src0_sel:BYTE_0
	v_cvt_f32_i32_sdwa v41, sext(v3) dst_sel:DWORD dst_unused:UNUSED_PAD src0_sel:BYTE_1
	v_cvt_f32_i32_sdwa v40, sext(v3) dst_sel:DWORD dst_unused:UNUSED_PAD src0_sel:BYTE_0
	;; [unrolled: 2-line block ×8, first 2 shown]
	v_cvt_f32_i32_sdwa v55, sext(v2) dst_sel:DWORD dst_unused:UNUSED_PAD src0_sel:BYTE_3
	v_cvt_f32_i32_sdwa v54, sext(v2) dst_sel:DWORD dst_unused:UNUSED_PAD src0_sel:BYTE_2
	v_cvt_f32_i32_sdwa v57, sext(v3) dst_sel:DWORD dst_unused:UNUSED_PAD src0_sel:BYTE_3
	v_cvt_f32_i32_sdwa v56, sext(v3) dst_sel:DWORD dst_unused:UNUSED_PAD src0_sel:BYTE_2
	v_cvt_f32_i32_sdwa v3, sext(v4) dst_sel:DWORD dst_unused:UNUSED_PAD src0_sel:BYTE_3
	v_cvt_f32_i32_sdwa v2, sext(v4) dst_sel:DWORD dst_unused:UNUSED_PAD src0_sel:BYTE_2
	v_cvt_f32_i32_sdwa v59, sext(v5) dst_sel:DWORD dst_unused:UNUSED_PAD src0_sel:BYTE_3
	v_cvt_f32_i32_sdwa v58, sext(v5) dst_sel:DWORD dst_unused:UNUSED_PAD src0_sel:BYTE_2
	v_cvt_f32_i32_sdwa v5, sext(v6) dst_sel:DWORD dst_unused:UNUSED_PAD src0_sel:BYTE_3
	v_cvt_f32_i32_sdwa v4, sext(v6) dst_sel:DWORD dst_unused:UNUSED_PAD src0_sel:BYTE_2
	v_cvt_f32_i32_sdwa v61, sext(v7) dst_sel:DWORD dst_unused:UNUSED_PAD src0_sel:BYTE_3
	v_cvt_f32_i32_sdwa v60, sext(v7) dst_sel:DWORD dst_unused:UNUSED_PAD src0_sel:BYTE_2
	v_cvt_f32_i32_sdwa v7, sext(v10) dst_sel:DWORD dst_unused:UNUSED_PAD src0_sel:BYTE_1
	v_cvt_f32_i32_sdwa v6, sext(v10) dst_sel:DWORD dst_unused:UNUSED_PAD src0_sel:BYTE_0
	v_cvt_f32_i32_sdwa v63, sext(v11) dst_sel:DWORD dst_unused:UNUSED_PAD src0_sel:BYTE_1
	v_cvt_f32_i32_sdwa v62, sext(v11) dst_sel:DWORD dst_unused:UNUSED_PAD src0_sel:BYTE_0
	v_cvt_f32_i32_sdwa v65, sext(v8) dst_sel:DWORD dst_unused:UNUSED_PAD src0_sel:BYTE_3
	v_cvt_f32_i32_sdwa v64, sext(v8) dst_sel:DWORD dst_unused:UNUSED_PAD src0_sel:BYTE_2
	v_cvt_f32_i32_sdwa v67, sext(v9) dst_sel:DWORD dst_unused:UNUSED_PAD src0_sel:BYTE_3
	v_cvt_f32_i32_sdwa v66, sext(v9) dst_sel:DWORD dst_unused:UNUSED_PAD src0_sel:BYTE_2
	;; [unrolled: 2-line block ×4, first 2 shown]
	s_waitcnt vmcnt(4)
	v_cvt_f32_i32_sdwa v11, sext(v28) dst_sel:DWORD dst_unused:UNUSED_PAD src0_sel:BYTE_1
	v_cvt_f32_i32_sdwa v10, sext(v28) dst_sel:DWORD dst_unused:UNUSED_PAD src0_sel:BYTE_0
	v_cvt_f32_i32_sdwa v71, sext(v28) dst_sel:DWORD dst_unused:UNUSED_PAD src0_sel:BYTE_3
	v_cvt_f32_i32_sdwa v70, sext(v28) dst_sel:DWORD dst_unused:UNUSED_PAD src0_sel:BYTE_2
	v_cvt_f32_i32_sdwa v73, sext(v29) dst_sel:DWORD dst_unused:UNUSED_PAD src0_sel:BYTE_1
	v_cvt_f32_i32_sdwa v72, sext(v29) dst_sel:DWORD dst_unused:UNUSED_PAD src0_sel:BYTE_0
	v_cvt_f32_i32_sdwa v75, sext(v30) dst_sel:DWORD dst_unused:UNUSED_PAD src0_sel:BYTE_1
	v_cvt_f32_i32_sdwa v74, sext(v30) dst_sel:DWORD dst_unused:UNUSED_PAD src0_sel:BYTE_0
	v_cvt_f32_i32_sdwa v79, sext(v29) dst_sel:DWORD dst_unused:UNUSED_PAD src0_sel:BYTE_3
	v_cvt_f32_i32_sdwa v78, sext(v29) dst_sel:DWORD dst_unused:UNUSED_PAD src0_sel:BYTE_2
	v_cvt_f32_i32_sdwa v29, sext(v30) dst_sel:DWORD dst_unused:UNUSED_PAD src0_sel:BYTE_3
	v_cvt_f32_i32_sdwa v28, sext(v30) dst_sel:DWORD dst_unused:UNUSED_PAD src0_sel:BYTE_2
	v_cvt_f32_i32_sdwa v77, sext(v31) dst_sel:DWORD dst_unused:UNUSED_PAD src0_sel:BYTE_1
	v_cvt_f32_i32_sdwa v76, sext(v31) dst_sel:DWORD dst_unused:UNUSED_PAD src0_sel:BYTE_0
	v_cvt_f32_i32_sdwa v81, sext(v31) dst_sel:DWORD dst_unused:UNUSED_PAD src0_sel:BYTE_3
	v_cvt_f32_i32_sdwa v80, sext(v31) dst_sel:DWORD dst_unused:UNUSED_PAD src0_sel:BYTE_2
	s_waitcnt vmcnt(3)
	v_cvt_f32_i32_sdwa v30, sext(v13) dst_sel:DWORD dst_unused:UNUSED_PAD src0_sel:BYTE_0
	v_cvt_f32_i32_sdwa v82, sext(v13) dst_sel:DWORD dst_unused:UNUSED_PAD src0_sel:BYTE_1
	v_cvt_f32_i32_sdwa v84, sext(v13) dst_sel:DWORD dst_unused:UNUSED_PAD src0_sel:BYTE_2
	v_cvt_f32_i32_sdwa v86, sext(v13) dst_sel:DWORD dst_unused:UNUSED_PAD src0_sel:BYTE_3
	s_waitcnt vmcnt(2)
	v_cvt_f32_i32_sdwa v88, sext(v15) dst_sel:DWORD dst_unused:UNUSED_PAD src0_sel:BYTE_0
	v_pk_fma_f32 v[24:25], v[32:33], v[30:31], v[24:25] op_sel_hi:[1,0,1]
	v_pk_fma_f32 v[22:23], v[34:35], v[30:31], v[22:23] op_sel_hi:[1,0,1]
	v_cvt_f32_i32_sdwa v90, sext(v15) dst_sel:DWORD dst_unused:UNUSED_PAD src0_sel:BYTE_1
	s_waitcnt vmcnt(1)
	v_pk_fma_f32 v[24:25], v[36:37], v[82:83], v[24:25] op_sel_hi:[1,0,1]
	v_pk_fma_f32 v[22:23], v[38:39], v[82:83], v[22:23] op_sel_hi:[1,0,1]
	v_cvt_f32_i32_sdwa v32, sext(v15) dst_sel:DWORD dst_unused:UNUSED_PAD src0_sel:BYTE_2
	s_waitcnt vmcnt(0)
	v_pk_fma_f32 v[0:1], v[0:1], v[84:85], v[24:25] op_sel_hi:[1,0,1]
	v_pk_fma_f32 v[22:23], v[54:55], v[84:85], v[22:23] op_sel_hi:[1,0,1]
	v_cvt_f32_i32_sdwa v92, sext(v15) dst_sel:DWORD dst_unused:UNUSED_PAD src0_sel:BYTE_3
	v_pk_fma_f32 v[0:1], v[40:41], v[86:87], v[0:1] op_sel_hi:[1,0,1]
	v_pk_fma_f32 v[22:23], v[56:57], v[86:87], v[22:23] op_sel_hi:[1,0,1]
	v_cvt_f32_i32_sdwa v30, sext(v83) dst_sel:DWORD dst_unused:UNUSED_PAD src0_sel:BYTE_0
	v_pk_fma_f32 v[0:1], v[42:43], v[88:89], v[0:1] op_sel_hi:[1,0,1]
	v_pk_fma_f32 v[2:3], v[2:3], v[88:89], v[22:23] op_sel_hi:[1,0,1]
	v_cvt_f32_i32_sdwa v34, sext(v83) dst_sel:DWORD dst_unused:UNUSED_PAD src0_sel:BYTE_1
	v_pk_fma_f32 v[0:1], v[44:45], v[90:91], v[0:1] op_sel_hi:[1,0,1]
	v_pk_fma_f32 v[2:3], v[58:59], v[90:91], v[2:3] op_sel_hi:[1,0,1]
	v_cvt_f32_i32_sdwa v36, sext(v83) dst_sel:DWORD dst_unused:UNUSED_PAD src0_sel:BYTE_2
	v_pk_fma_f32 v[0:1], v[46:47], v[32:33], v[0:1] op_sel_hi:[1,0,1]
	v_pk_fma_f32 v[2:3], v[4:5], v[32:33], v[2:3] op_sel_hi:[1,0,1]
	v_cvt_f32_i32_sdwa v38, sext(v83) dst_sel:DWORD dst_unused:UNUSED_PAD src0_sel:BYTE_3
	v_pk_fma_f32 v[0:1], v[48:49], v[92:93], v[0:1] op_sel_hi:[1,0,1]
	v_pk_fma_f32 v[2:3], v[60:61], v[92:93], v[2:3] op_sel_hi:[1,0,1]
	v_cvt_f32_i32_sdwa v82, sext(v85) dst_sel:DWORD dst_unused:UNUSED_PAD src0_sel:BYTE_0
	v_pk_fma_f32 v[0:1], v[50:51], v[30:31], v[0:1] op_sel_hi:[1,0,1]
	v_pk_fma_f32 v[2:3], v[64:65], v[30:31], v[2:3] op_sel_hi:[1,0,1]
	v_cvt_f32_i32_sdwa v24, sext(v85) dst_sel:DWORD dst_unused:UNUSED_PAD src0_sel:BYTE_1
	v_pk_fma_f32 v[0:1], v[52:53], v[34:35], v[0:1] op_sel_hi:[1,0,1]
	v_pk_fma_f32 v[2:3], v[66:67], v[34:35], v[2:3] op_sel_hi:[1,0,1]
	v_cvt_f32_i32_sdwa v54, sext(v85) dst_sel:DWORD dst_unused:UNUSED_PAD src0_sel:BYTE_2
	v_pk_fma_f32 v[0:1], v[6:7], v[36:37], v[0:1] op_sel_hi:[1,0,1]
	v_pk_fma_f32 v[2:3], v[8:9], v[36:37], v[2:3] op_sel_hi:[1,0,1]
	v_cvt_f32_i32_sdwa v84, sext(v85) dst_sel:DWORD dst_unused:UNUSED_PAD src0_sel:BYTE_3
	v_pk_fma_f32 v[0:1], v[62:63], v[38:39], v[0:1] op_sel_hi:[1,0,1]
	v_pk_fma_f32 v[2:3], v[68:69], v[38:39], v[2:3] op_sel_hi:[1,0,1]
	;; [unrolled: 1-line block ×10, first 2 shown]
	s_andn2_b64 exec, exec, s[8:9]
	s_cbranch_execnz .LBB82_33
; %bb.34:
	s_or_b64 exec, exec, s[8:9]
.LBB82_35:
	s_or_b64 exec, exec, s[2:3]
.LBB82_36:
	s_or_b64 exec, exec, s[6:7]
.LBB82_37:
	v_mov_b32_dpp v0, v24 row_shr:1 row_mask:0xf bank_mask:0xf
	v_mov_b32_dpp v1, v25 row_shr:1 row_mask:0xf bank_mask:0xf
	;; [unrolled: 1-line block ×4, first 2 shown]
	v_pk_add_f32 v[0:1], v[24:25], v[0:1]
	v_pk_add_f32 v[4:5], v[22:23], v[4:5]
	v_cmp_eq_u32_e32 vcc, 15, v14
	v_mov_b32_dpp v2, v0 row_shr:2 row_mask:0xf bank_mask:0xf
	v_mov_b32_dpp v3, v1 row_shr:2 row_mask:0xf bank_mask:0xf
	;; [unrolled: 1-line block ×4, first 2 shown]
	v_pk_add_f32 v[0:1], v[0:1], v[2:3]
	v_pk_add_f32 v[4:5], v[4:5], v[6:7]
	s_nop 0
	v_mov_b32_dpp v2, v0 row_shr:4 row_mask:0xf bank_mask:0xe
	v_mov_b32_dpp v3, v1 row_shr:4 row_mask:0xf bank_mask:0xe
	;; [unrolled: 1-line block ×4, first 2 shown]
	v_pk_add_f32 v[0:1], v[0:1], v[2:3]
	v_pk_add_f32 v[4:5], v[4:5], v[6:7]
	s_nop 0
	v_mov_b32_dpp v2, v0 row_shr:8 row_mask:0xf bank_mask:0xc
	v_mov_b32_dpp v3, v1 row_shr:8 row_mask:0xf bank_mask:0xc
	;; [unrolled: 1-line block ×4, first 2 shown]
	s_and_b64 exec, exec, vcc
	s_cbranch_execz .LBB82_10
; %bb.38:
	s_load_dwordx2 s[0:1], s[0:1], 0x50
	v_cmp_eq_f32_e64 s[2:3], s14, 0
	v_pk_add_f32 v[2:3], v[0:1], v[2:3]
	v_pk_add_f32 v[0:1], v[4:5], v[6:7]
	s_and_b64 vcc, exec, s[2:3]
	v_lshlrev_b32_e32 v4, 2, v12
	s_cbranch_vccz .LBB82_40
; %bb.39:
	v_ashrrev_i32_e32 v5, 31, v4
	s_waitcnt lgkmcnt(0)
	v_lshl_add_u64 v[10:11], v[4:5], 2, s[0:1]
	v_pk_mul_f32 v[6:7], s[12:13], v[2:3] op_sel_hi:[0,1]
	v_pk_mul_f32 v[8:9], s[12:13], v[0:1] op_sel_hi:[0,1]
	global_store_dwordx4 v[10:11], v[6:9], off
	s_cbranch_execnz .LBB82_10
	s_branch .LBB82_41
.LBB82_40:
.LBB82_41:
	v_ashrrev_i32_e32 v5, 31, v4
	s_waitcnt lgkmcnt(0)
	v_lshl_add_u64 v[8:9], v[4:5], 2, s[0:1]
	global_load_dwordx4 v[4:7], v[8:9], off
	v_pk_mul_f32 v[2:3], s[12:13], v[2:3] op_sel_hi:[0,1]
	v_pk_mul_f32 v[10:11], s[12:13], v[0:1] op_sel_hi:[0,1]
	s_waitcnt vmcnt(0)
	v_pk_fma_f32 v[0:1], s[14:15], v[4:5], v[2:3] op_sel_hi:[0,1,1]
	v_pk_fma_f32 v[2:3], s[14:15], v[6:7], v[10:11] op_sel_hi:[0,1,1]
	global_store_dwordx4 v[8:9], v[0:3], off
	s_endpgm
	.section	.rodata,"a",@progbits
	.p2align	6, 0x0
	.amdhsa_kernel _ZN9rocsparseL18bsrxmvn_4x4_kernelILj128ELj16EfliaafEEvT3_20rocsparse_direction_NS_24const_host_device_scalarIT1_EES1_PKS1_PKT2_SA_S7_PKT4_PKT5_S5_PT6_21rocsparse_index_base_b
		.amdhsa_group_segment_fixed_size 0
		.amdhsa_private_segment_fixed_size 0
		.amdhsa_kernarg_size 96
		.amdhsa_user_sgpr_count 2
		.amdhsa_user_sgpr_dispatch_ptr 0
		.amdhsa_user_sgpr_queue_ptr 0
		.amdhsa_user_sgpr_kernarg_segment_ptr 1
		.amdhsa_user_sgpr_dispatch_id 0
		.amdhsa_user_sgpr_kernarg_preload_length 0
		.amdhsa_user_sgpr_kernarg_preload_offset 0
		.amdhsa_user_sgpr_private_segment_size 0
		.amdhsa_uses_dynamic_stack 0
		.amdhsa_enable_private_segment 0
		.amdhsa_system_sgpr_workgroup_id_x 1
		.amdhsa_system_sgpr_workgroup_id_y 0
		.amdhsa_system_sgpr_workgroup_id_z 0
		.amdhsa_system_sgpr_workgroup_info 0
		.amdhsa_system_vgpr_workitem_id 0
		.amdhsa_next_free_vgpr 100
		.amdhsa_next_free_sgpr 24
		.amdhsa_accum_offset 100
		.amdhsa_reserve_vcc 1
		.amdhsa_float_round_mode_32 0
		.amdhsa_float_round_mode_16_64 0
		.amdhsa_float_denorm_mode_32 3
		.amdhsa_float_denorm_mode_16_64 3
		.amdhsa_dx10_clamp 1
		.amdhsa_ieee_mode 1
		.amdhsa_fp16_overflow 0
		.amdhsa_tg_split 0
		.amdhsa_exception_fp_ieee_invalid_op 0
		.amdhsa_exception_fp_denorm_src 0
		.amdhsa_exception_fp_ieee_div_zero 0
		.amdhsa_exception_fp_ieee_overflow 0
		.amdhsa_exception_fp_ieee_underflow 0
		.amdhsa_exception_fp_ieee_inexact 0
		.amdhsa_exception_int_div_zero 0
	.end_amdhsa_kernel
	.section	.text._ZN9rocsparseL18bsrxmvn_4x4_kernelILj128ELj16EfliaafEEvT3_20rocsparse_direction_NS_24const_host_device_scalarIT1_EES1_PKS1_PKT2_SA_S7_PKT4_PKT5_S5_PT6_21rocsparse_index_base_b,"axG",@progbits,_ZN9rocsparseL18bsrxmvn_4x4_kernelILj128ELj16EfliaafEEvT3_20rocsparse_direction_NS_24const_host_device_scalarIT1_EES1_PKS1_PKT2_SA_S7_PKT4_PKT5_S5_PT6_21rocsparse_index_base_b,comdat
.Lfunc_end82:
	.size	_ZN9rocsparseL18bsrxmvn_4x4_kernelILj128ELj16EfliaafEEvT3_20rocsparse_direction_NS_24const_host_device_scalarIT1_EES1_PKS1_PKT2_SA_S7_PKT4_PKT5_S5_PT6_21rocsparse_index_base_b, .Lfunc_end82-_ZN9rocsparseL18bsrxmvn_4x4_kernelILj128ELj16EfliaafEEvT3_20rocsparse_direction_NS_24const_host_device_scalarIT1_EES1_PKS1_PKT2_SA_S7_PKT4_PKT5_S5_PT6_21rocsparse_index_base_b
                                        ; -- End function
	.set _ZN9rocsparseL18bsrxmvn_4x4_kernelILj128ELj16EfliaafEEvT3_20rocsparse_direction_NS_24const_host_device_scalarIT1_EES1_PKS1_PKT2_SA_S7_PKT4_PKT5_S5_PT6_21rocsparse_index_base_b.num_vgpr, 100
	.set _ZN9rocsparseL18bsrxmvn_4x4_kernelILj128ELj16EfliaafEEvT3_20rocsparse_direction_NS_24const_host_device_scalarIT1_EES1_PKS1_PKT2_SA_S7_PKT4_PKT5_S5_PT6_21rocsparse_index_base_b.num_agpr, 0
	.set _ZN9rocsparseL18bsrxmvn_4x4_kernelILj128ELj16EfliaafEEvT3_20rocsparse_direction_NS_24const_host_device_scalarIT1_EES1_PKS1_PKT2_SA_S7_PKT4_PKT5_S5_PT6_21rocsparse_index_base_b.numbered_sgpr, 24
	.set _ZN9rocsparseL18bsrxmvn_4x4_kernelILj128ELj16EfliaafEEvT3_20rocsparse_direction_NS_24const_host_device_scalarIT1_EES1_PKS1_PKT2_SA_S7_PKT4_PKT5_S5_PT6_21rocsparse_index_base_b.num_named_barrier, 0
	.set _ZN9rocsparseL18bsrxmvn_4x4_kernelILj128ELj16EfliaafEEvT3_20rocsparse_direction_NS_24const_host_device_scalarIT1_EES1_PKS1_PKT2_SA_S7_PKT4_PKT5_S5_PT6_21rocsparse_index_base_b.private_seg_size, 0
	.set _ZN9rocsparseL18bsrxmvn_4x4_kernelILj128ELj16EfliaafEEvT3_20rocsparse_direction_NS_24const_host_device_scalarIT1_EES1_PKS1_PKT2_SA_S7_PKT4_PKT5_S5_PT6_21rocsparse_index_base_b.uses_vcc, 1
	.set _ZN9rocsparseL18bsrxmvn_4x4_kernelILj128ELj16EfliaafEEvT3_20rocsparse_direction_NS_24const_host_device_scalarIT1_EES1_PKS1_PKT2_SA_S7_PKT4_PKT5_S5_PT6_21rocsparse_index_base_b.uses_flat_scratch, 0
	.set _ZN9rocsparseL18bsrxmvn_4x4_kernelILj128ELj16EfliaafEEvT3_20rocsparse_direction_NS_24const_host_device_scalarIT1_EES1_PKS1_PKT2_SA_S7_PKT4_PKT5_S5_PT6_21rocsparse_index_base_b.has_dyn_sized_stack, 0
	.set _ZN9rocsparseL18bsrxmvn_4x4_kernelILj128ELj16EfliaafEEvT3_20rocsparse_direction_NS_24const_host_device_scalarIT1_EES1_PKS1_PKT2_SA_S7_PKT4_PKT5_S5_PT6_21rocsparse_index_base_b.has_recursion, 0
	.set _ZN9rocsparseL18bsrxmvn_4x4_kernelILj128ELj16EfliaafEEvT3_20rocsparse_direction_NS_24const_host_device_scalarIT1_EES1_PKS1_PKT2_SA_S7_PKT4_PKT5_S5_PT6_21rocsparse_index_base_b.has_indirect_call, 0
	.section	.AMDGPU.csdata,"",@progbits
; Kernel info:
; codeLenInByte = 4332
; TotalNumSgprs: 30
; NumVgprs: 100
; NumAgprs: 0
; TotalNumVgprs: 100
; ScratchSize: 0
; MemoryBound: 0
; FloatMode: 240
; IeeeMode: 1
; LDSByteSize: 0 bytes/workgroup (compile time only)
; SGPRBlocks: 3
; VGPRBlocks: 12
; NumSGPRsForWavesPerEU: 30
; NumVGPRsForWavesPerEU: 100
; AccumOffset: 100
; Occupancy: 4
; WaveLimiterHint : 1
; COMPUTE_PGM_RSRC2:SCRATCH_EN: 0
; COMPUTE_PGM_RSRC2:USER_SGPR: 2
; COMPUTE_PGM_RSRC2:TRAP_HANDLER: 0
; COMPUTE_PGM_RSRC2:TGID_X_EN: 1
; COMPUTE_PGM_RSRC2:TGID_Y_EN: 0
; COMPUTE_PGM_RSRC2:TGID_Z_EN: 0
; COMPUTE_PGM_RSRC2:TIDIG_COMP_CNT: 0
; COMPUTE_PGM_RSRC3_GFX90A:ACCUM_OFFSET: 24
; COMPUTE_PGM_RSRC3_GFX90A:TG_SPLIT: 0
	.section	.text._ZN9rocsparseL18bsrxmvn_4x4_kernelILj128ELj32EfliaafEEvT3_20rocsparse_direction_NS_24const_host_device_scalarIT1_EES1_PKS1_PKT2_SA_S7_PKT4_PKT5_S5_PT6_21rocsparse_index_base_b,"axG",@progbits,_ZN9rocsparseL18bsrxmvn_4x4_kernelILj128ELj32EfliaafEEvT3_20rocsparse_direction_NS_24const_host_device_scalarIT1_EES1_PKS1_PKT2_SA_S7_PKT4_PKT5_S5_PT6_21rocsparse_index_base_b,comdat
	.globl	_ZN9rocsparseL18bsrxmvn_4x4_kernelILj128ELj32EfliaafEEvT3_20rocsparse_direction_NS_24const_host_device_scalarIT1_EES1_PKS1_PKT2_SA_S7_PKT4_PKT5_S5_PT6_21rocsparse_index_base_b ; -- Begin function _ZN9rocsparseL18bsrxmvn_4x4_kernelILj128ELj32EfliaafEEvT3_20rocsparse_direction_NS_24const_host_device_scalarIT1_EES1_PKS1_PKT2_SA_S7_PKT4_PKT5_S5_PT6_21rocsparse_index_base_b
	.p2align	8
	.type	_ZN9rocsparseL18bsrxmvn_4x4_kernelILj128ELj32EfliaafEEvT3_20rocsparse_direction_NS_24const_host_device_scalarIT1_EES1_PKS1_PKT2_SA_S7_PKT4_PKT5_S5_PT6_21rocsparse_index_base_b,@function
_ZN9rocsparseL18bsrxmvn_4x4_kernelILj128ELj32EfliaafEEvT3_20rocsparse_direction_NS_24const_host_device_scalarIT1_EES1_PKS1_PKT2_SA_S7_PKT4_PKT5_S5_PT6_21rocsparse_index_base_b: ; @_ZN9rocsparseL18bsrxmvn_4x4_kernelILj128ELj32EfliaafEEvT3_20rocsparse_direction_NS_24const_host_device_scalarIT1_EES1_PKS1_PKT2_SA_S7_PKT4_PKT5_S5_PT6_21rocsparse_index_base_b
; %bb.0:
	s_load_dwordx2 s[16:17], s[0:1], 0x58
	s_load_dwordx2 s[12:13], s[0:1], 0x8
	;; [unrolled: 1-line block ×3, first 2 shown]
	s_waitcnt lgkmcnt(0)
	s_bitcmp1_b32 s17, 0
	s_cselect_b64 s[6:7], -1, 0
	s_xor_b64 s[4:5], s[6:7], -1
	s_and_b64 vcc, exec, s[6:7]
	s_cbranch_vccnz .LBB83_2
; %bb.1:
	s_load_dword s12, s[12:13], 0x0
.LBB83_2:
	s_andn2_b64 vcc, exec, s[4:5]
	s_cbranch_vccnz .LBB83_4
; %bb.3:
	s_load_dword s14, s[14:15], 0x0
.LBB83_4:
	s_waitcnt lgkmcnt(0)
	v_cmp_neq_f32_e64 s[4:5], s12, 0
	v_cmp_neq_f32_e64 s[6:7], s14, 1.0
	s_or_b64 s[4:5], s[4:5], s[6:7]
	s_andn2_b64 vcc, exec, s[4:5]
	s_cbranch_vccnz .LBB83_10
; %bb.5:
	s_load_dwordx2 s[4:5], s[0:1], 0x18
	s_load_dwordx2 s[18:19], s[0:1], 0x0
	v_lshrrev_b32_e32 v1, 5, v0
	v_lshl_or_b32 v12, s2, 2, v1
	s_mov_b64 s[2:3], 0
	s_waitcnt lgkmcnt(0)
	s_cmp_lg_u64 s[4:5], 0
	s_cbranch_scc0 .LBB83_11
; %bb.6:
	s_load_dword s6, s[0:1], 0x10
                                        ; implicit-def: $vgpr1
	s_waitcnt lgkmcnt(0)
	v_cmp_gt_i32_e32 vcc, s6, v12
	s_and_saveexec_b64 s[6:7], vcc
	s_xor_b64 s[6:7], exec, s[6:7]
	s_cbranch_execz .LBB83_8
; %bb.7:
	v_ashrrev_i32_e32 v13, 31, v12
	v_lshl_add_u64 v[2:3], v[12:13], 2, s[4:5]
	global_load_dword v1, v[2:3], off
	s_mov_b64 s[2:3], exec
	s_waitcnt vmcnt(0)
	v_subrev_u32_e32 v1, s16, v1
.LBB83_8:
	s_or_b64 exec, exec, s[6:7]
	s_branch .LBB83_12
.LBB83_9:
	v_cmp_gt_i32_e32 vcc, s18, v12
	s_andn2_b64 s[2:3], s[2:3], exec
	s_and_b64 s[4:5], vcc, exec
	s_or_b64 s[2:3], s[2:3], s[4:5]
	s_and_saveexec_b64 s[4:5], s[2:3]
	s_cbranch_execnz .LBB83_13
.LBB83_10:
	s_endpgm
.LBB83_11:
                                        ; implicit-def: $vgpr1
	s_cbranch_execnz .LBB83_9
.LBB83_12:
	v_mov_b32_e32 v12, v1
	s_and_saveexec_b64 s[4:5], s[2:3]
	s_cbranch_execz .LBB83_10
.LBB83_13:
	s_load_dwordx8 s[4:11], s[0:1], 0x20
	v_ashrrev_i32_e32 v13, 31, v12
	v_lshlrev_b64 v[2:3], 3, v[12:13]
	v_and_b32_e32 v14, 31, v0
	v_mov_b32_e32 v15, 0
	s_waitcnt lgkmcnt(0)
	v_lshl_add_u64 v[4:5], s[4:5], 0, v[2:3]
	s_cmp_eq_u64 s[6:7], 0
	v_lshl_add_u64 v[2:3], s[6:7], 0, v[2:3]
	global_load_dwordx2 v[8:9], v[4:5], off
	v_lshl_add_u64 v[4:5], v[4:5], 0, 8
	s_cselect_b64 vcc, -1, 0
	v_cndmask_b32_e32 v3, v3, v5, vcc
	v_cndmask_b32_e32 v2, v2, v4, vcc
	global_load_dwordx2 v[2:3], v[2:3], off
	s_load_dwordx2 s[4:5], s[0:1], 0x40
	s_cmp_eq_u32 s19, 1
	s_waitcnt vmcnt(1)
	v_subrev_co_u32_e32 v0, vcc, s16, v8
	s_nop 1
	v_subbrev_co_u32_e32 v1, vcc, 0, v9, vcc
	v_lshl_add_u64 v[16:17], v[0:1], 0, v[14:15]
	s_waitcnt vmcnt(0)
	v_subrev_co_u32_e32 v18, vcc, s16, v2
	v_lshl_add_u64 v[20:21], v[16:17], 4, s[10:11]
	s_nop 0
	v_subbrev_co_u32_e32 v19, vcc, 0, v3, vcc
	v_cmp_lt_i64_e64 s[2:3], v[16:17], v[18:19]
	s_cbranch_scc1 .LBB83_25
; %bb.14:
	v_mov_b32_e32 v22, v15
	v_mov_b32_e32 v25, v15
	;; [unrolled: 1-line block ×3, first 2 shown]
	s_and_saveexec_b64 s[6:7], s[2:3]
	s_cbranch_execz .LBB83_24
; %bb.15:
	v_or_b32_e32 v0, 32, v14
	v_subrev_co_u32_e32 v0, vcc, s16, v0
	v_not_b32_e32 v3, v9
	s_nop 0
	v_subb_co_u32_e64 v1, s[10:11], 0, 0, vcc
	v_lshl_add_u64 v[0:1], v[0:1], 0, v[8:9]
	v_cmp_gt_i64_e32 vcc, v[0:1], v[18:19]
	v_not_b32_e32 v2, v8
	v_mov_b32_e32 v25, 0
	v_cndmask_b32_e32 v1, v19, v1, vcc
	v_cndmask_b32_e32 v0, v18, v0, vcc
	v_sub_co_u32_e32 v4, vcc, s16, v14
	v_mov_b32_e32 v22, v25
	s_nop 0
	v_subb_co_u32_e64 v5, s[10:11], 0, 0, vcc
	v_lshl_add_u64 v[2:3], v[4:5], 0, v[2:3]
	v_lshl_add_u64 v[0:1], v[2:3], 0, v[0:1]
	v_and_b32_e32 v24, 0x60, v0
	s_mov_b64 s[10:11], 0x60
	v_cmp_ne_u64_e32 vcc, s[10:11], v[24:25]
	v_mov_b32_e32 v24, v25
	v_mov_b32_e32 v23, v25
	v_mov_b64_e32 v[10:11], v[16:17]
	v_mov_b64_e32 v[26:27], v[20:21]
	s_and_saveexec_b64 s[10:11], vcc
	s_cbranch_execz .LBB83_19
; %bb.16:
	v_lshrrev_b32_e32 v2, 5, v0
	v_add_u32_e32 v2, 1, v2
	v_and_b32_e32 v4, 3, v2
	v_sub_co_u32_e32 v4, vcc, 0, v4
	v_mov_b32_e32 v23, 0
	s_nop 0
	v_subb_co_u32_e64 v5, s[20:21], 0, 0, vcc
	v_lshl_add_u64 v[2:3], v[16:17], 2, s[8:9]
	s_mov_b64 s[18:19], 0
	s_mov_b64 s[20:21], 0x200
	;; [unrolled: 1-line block ×3, first 2 shown]
	v_mov_b64_e32 v[26:27], v[20:21]
	v_mov_b64_e32 v[10:11], v[16:17]
	v_mov_b32_e32 v22, v23
	v_mov_b32_e32 v25, v23
	;; [unrolled: 1-line block ×3, first 2 shown]
.LBB83_17:                              ; =>This Inner Loop Header: Depth=1
	global_load_dword v6, v[2:3], off
	global_load_dwordx4 v[28:31], v[26:27], off
	v_lshl_add_u64 v[4:5], v[4:5], 0, 1
	v_cmp_eq_u64_e32 vcc, 0, v[4:5]
	v_lshl_add_u64 v[26:27], v[26:27], 0, s[20:21]
	v_lshl_add_u64 v[10:11], v[10:11], 0, 32
	;; [unrolled: 1-line block ×3, first 2 shown]
	s_or_b64 s[18:19], vcc, s[18:19]
	s_waitcnt vmcnt(1)
	v_subrev_u32_e32 v6, s16, v6
	v_lshlrev_b32_e32 v6, 2, v6
	v_ashrrev_i32_e32 v7, 31, v6
	s_waitcnt lgkmcnt(0)
	v_lshl_add_u64 v[6:7], s[4:5], 0, v[6:7]
	global_load_dword v13, v[6:7], off
	s_waitcnt vmcnt(1)
	v_cvt_f32_i32_sdwa v15, sext(v28) dst_sel:DWORD dst_unused:UNUSED_PAD src0_sel:BYTE_0
	v_cvt_f32_i32_sdwa v37, sext(v29) dst_sel:DWORD dst_unused:UNUSED_PAD src0_sel:BYTE_0
	;; [unrolled: 1-line block ×4, first 2 shown]
	v_cvt_f32_i32_sdwa v35, sext(v28) dst_sel:DWORD dst_unused:UNUSED_PAD src0_sel:BYTE_1
	v_cvt_f32_i32_sdwa v38, sext(v29) dst_sel:DWORD dst_unused:UNUSED_PAD src0_sel:BYTE_1
	;; [unrolled: 1-line block ×4, first 2 shown]
	v_cvt_f32_i32_sdwa v6, sext(v28) dst_sel:DWORD dst_unused:UNUSED_PAD src0_sel:BYTE_2
	v_cvt_f32_i32_sdwa v7, sext(v29) dst_sel:DWORD dst_unused:UNUSED_PAD src0_sel:BYTE_2
	v_cvt_f32_i32_sdwa v32, sext(v30) dst_sel:DWORD dst_unused:UNUSED_PAD src0_sel:BYTE_2
	v_cvt_f32_i32_sdwa v33, sext(v31) dst_sel:DWORD dst_unused:UNUSED_PAD src0_sel:BYTE_2
	v_cvt_f32_i32_sdwa v29, sext(v29) dst_sel:DWORD dst_unused:UNUSED_PAD src0_sel:BYTE_3
	v_cvt_f32_i32_sdwa v28, sext(v28) dst_sel:DWORD dst_unused:UNUSED_PAD src0_sel:BYTE_3
	;; [unrolled: 1-line block ×4, first 2 shown]
	s_waitcnt vmcnt(0)
	v_cvt_f32_i32_sdwa v43, sext(v13) dst_sel:DWORD dst_unused:UNUSED_PAD src0_sel:BYTE_0
	v_cvt_f32_i32_sdwa v44, sext(v13) dst_sel:DWORD dst_unused:UNUSED_PAD src0_sel:BYTE_1
	v_cvt_f32_i32_sdwa v34, sext(v13) dst_sel:DWORD dst_unused:UNUSED_PAD src0_sel:BYTE_2
	v_cvt_f32_i32_sdwa v36, sext(v13) dst_sel:DWORD dst_unused:UNUSED_PAD src0_sel:BYTE_3
	v_fmac_f32_e32 v24, v15, v43
	v_fmac_f32_e32 v25, v37, v43
	;; [unrolled: 1-line block ×8, first 2 shown]
	v_pk_fma_f32 v[6:7], v[6:7], v[34:35], v[24:25] op_sel_hi:[1,0,1]
	v_pk_fma_f32 v[22:23], v[32:33], v[34:35], v[22:23] op_sel_hi:[1,0,1]
	;; [unrolled: 1-line block ×4, first 2 shown]
	s_andn2_b64 exec, exec, s[18:19]
	s_cbranch_execnz .LBB83_17
; %bb.18:
	s_or_b64 exec, exec, s[18:19]
.LBB83_19:
	s_or_b64 exec, exec, s[10:11]
	s_mov_b64 s[10:11], 0x5f
	v_cmp_lt_u64_e32 vcc, s[10:11], v[0:1]
	s_and_saveexec_b64 s[10:11], vcc
	s_cbranch_execz .LBB83_23
; %bb.20:
	v_lshl_add_u64 v[0:1], v[10:11], 2, s[8:9]
	s_mov_b64 s[18:19], 0x100
	v_lshl_add_u64 v[28:29], v[0:1], 0, s[18:19]
	s_mov_b64 s[18:19], 0
	s_mov_b64 s[20:21], 0x80
	;; [unrolled: 1-line block ×4, first 2 shown]
.LBB83_21:                              ; =>This Inner Loop Header: Depth=1
	global_load_dword v13, v[28:29], off offset:-256
	global_load_dwordx4 v[0:3], v[26:27], off
	global_load_dword v15, v[28:29], off offset:-128
	global_load_dword v42, v[28:29], off
	global_load_dword v43, v[28:29], off offset:128
	global_load_dwordx4 v[4:7], v[26:27], off offset:1536
	global_load_dwordx4 v[30:33], v[26:27], off offset:512
	;; [unrolled: 1-line block ×3, first 2 shown]
	v_lshl_add_u64 v[10:11], v[10:11], 0, s[20:21]
	v_cmp_ge_i64_e32 vcc, v[10:11], v[18:19]
	v_lshl_add_u64 v[28:29], v[28:29], 0, s[22:23]
	v_lshl_add_u64 v[26:27], v[26:27], 0, s[24:25]
	s_or_b64 s[18:19], vcc, s[18:19]
	s_waitcnt vmcnt(7)
	v_subrev_u32_e32 v13, s16, v13
	v_lshlrev_b32_e32 v56, 2, v13
	s_waitcnt vmcnt(5)
	v_subrev_u32_e32 v15, s16, v15
	s_waitcnt vmcnt(4)
	v_subrev_u32_e32 v57, s16, v42
	s_waitcnt vmcnt(3)
	v_subrev_u32_e32 v43, s16, v43
	v_lshlrev_b32_e32 v58, 2, v15
	v_lshlrev_b32_e32 v60, 2, v57
	;; [unrolled: 1-line block ×3, first 2 shown]
	v_ashrrev_i32_e32 v57, 31, v56
	v_ashrrev_i32_e32 v59, 31, v58
	;; [unrolled: 1-line block ×4, first 2 shown]
	s_waitcnt lgkmcnt(0)
	v_lshl_add_u64 v[56:57], s[4:5], 0, v[56:57]
	v_lshl_add_u64 v[58:59], s[4:5], 0, v[58:59]
	;; [unrolled: 1-line block ×4, first 2 shown]
	global_load_dword v13, v[56:57], off
	global_load_dword v15, v[58:59], off
	;; [unrolled: 1-line block ×4, first 2 shown]
	v_cvt_f32_i32_sdwa v79, sext(v0) dst_sel:DWORD dst_unused:UNUSED_PAD src0_sel:BYTE_0
	v_cvt_f32_i32_sdwa v83, sext(v1) dst_sel:DWORD dst_unused:UNUSED_PAD src0_sel:BYTE_0
	;; [unrolled: 1-line block ×4, first 2 shown]
	v_cvt_f32_i32_sdwa v81, sext(v0) dst_sel:DWORD dst_unused:UNUSED_PAD src0_sel:BYTE_1
	v_cvt_f32_i32_sdwa v85, sext(v1) dst_sel:DWORD dst_unused:UNUSED_PAD src0_sel:BYTE_1
	;; [unrolled: 1-line block ×4, first 2 shown]
	v_cvt_f32_i32_sdwa v38, sext(v0) dst_sel:DWORD dst_unused:UNUSED_PAD src0_sel:BYTE_2
	v_cvt_f32_i32_sdwa v39, sext(v1) dst_sel:DWORD dst_unused:UNUSED_PAD src0_sel:BYTE_2
	;; [unrolled: 1-line block ×4, first 2 shown]
	v_cvt_f32_i32_sdwa v1, sext(v1) dst_sel:DWORD dst_unused:UNUSED_PAD src0_sel:BYTE_3
	v_cvt_f32_i32_sdwa v0, sext(v0) dst_sel:DWORD dst_unused:UNUSED_PAD src0_sel:BYTE_3
	;; [unrolled: 1-line block ×4, first 2 shown]
	s_waitcnt vmcnt(5)
	v_cvt_f32_i32_sdwa v45, sext(v31) dst_sel:DWORD dst_unused:UNUSED_PAD src0_sel:BYTE_0
	v_cvt_f32_i32_sdwa v44, sext(v30) dst_sel:DWORD dst_unused:UNUSED_PAD src0_sel:BYTE_0
	;; [unrolled: 1-line block ×4, first 2 shown]
	v_cvt_f32_i32_sdwa v47, sext(v31) dst_sel:DWORD dst_unused:UNUSED_PAD src0_sel:BYTE_1
	v_cvt_f32_i32_sdwa v46, sext(v30) dst_sel:DWORD dst_unused:UNUSED_PAD src0_sel:BYTE_1
	;; [unrolled: 1-line block ×4, first 2 shown]
	v_cvt_f32_i32_sdwa v49, sext(v31) dst_sel:DWORD dst_unused:UNUSED_PAD src0_sel:BYTE_2
	v_cvt_f32_i32_sdwa v48, sext(v30) dst_sel:DWORD dst_unused:UNUSED_PAD src0_sel:BYTE_2
	;; [unrolled: 1-line block ×4, first 2 shown]
	v_cvt_f32_i32_sdwa v31, sext(v31) dst_sel:DWORD dst_unused:UNUSED_PAD src0_sel:BYTE_3
	v_cvt_f32_i32_sdwa v30, sext(v30) dst_sel:DWORD dst_unused:UNUSED_PAD src0_sel:BYTE_3
	;; [unrolled: 1-line block ×4, first 2 shown]
	s_waitcnt vmcnt(4)
	v_cvt_f32_i32_sdwa v51, sext(v35) dst_sel:DWORD dst_unused:UNUSED_PAD src0_sel:BYTE_0
	v_cvt_f32_i32_sdwa v50, sext(v34) dst_sel:DWORD dst_unused:UNUSED_PAD src0_sel:BYTE_0
	;; [unrolled: 1-line block ×4, first 2 shown]
	v_cvt_f32_i32_sdwa v53, sext(v35) dst_sel:DWORD dst_unused:UNUSED_PAD src0_sel:BYTE_1
	v_cvt_f32_i32_sdwa v52, sext(v34) dst_sel:DWORD dst_unused:UNUSED_PAD src0_sel:BYTE_1
	v_cvt_f32_i32_sdwa v71, sext(v37) dst_sel:DWORD dst_unused:UNUSED_PAD src0_sel:BYTE_1
	v_cvt_f32_i32_sdwa v70, sext(v36) dst_sel:DWORD dst_unused:UNUSED_PAD src0_sel:BYTE_1
	v_cvt_f32_i32_sdwa v55, sext(v35) dst_sel:DWORD dst_unused:UNUSED_PAD src0_sel:BYTE_2
	v_cvt_f32_i32_sdwa v54, sext(v34) dst_sel:DWORD dst_unused:UNUSED_PAD src0_sel:BYTE_2
	;; [unrolled: 1-line block ×4, first 2 shown]
	v_cvt_f32_i32_sdwa v35, sext(v35) dst_sel:DWORD dst_unused:UNUSED_PAD src0_sel:BYTE_3
	v_cvt_f32_i32_sdwa v34, sext(v34) dst_sel:DWORD dst_unused:UNUSED_PAD src0_sel:BYTE_3
	;; [unrolled: 1-line block ×4, first 2 shown]
	v_cvt_f32_i32_sdwa v57, sext(v5) dst_sel:DWORD dst_unused:UNUSED_PAD src0_sel:BYTE_0
	v_cvt_f32_i32_sdwa v56, sext(v4) dst_sel:DWORD dst_unused:UNUSED_PAD src0_sel:BYTE_0
	;; [unrolled: 1-line block ×4, first 2 shown]
	v_cvt_f32_i32_sdwa v42, sext(v4) dst_sel:DWORD dst_unused:UNUSED_PAD src0_sel:BYTE_1
	v_cvt_f32_i32_sdwa v43, sext(v5) dst_sel:DWORD dst_unused:UNUSED_PAD src0_sel:BYTE_1
	;; [unrolled: 1-line block ×4, first 2 shown]
	v_cvt_f32_i32_sdwa v59, sext(v5) dst_sel:DWORD dst_unused:UNUSED_PAD src0_sel:BYTE_2
	v_cvt_f32_i32_sdwa v58, sext(v4) dst_sel:DWORD dst_unused:UNUSED_PAD src0_sel:BYTE_2
	;; [unrolled: 1-line block ×4, first 2 shown]
	v_cvt_f32_i32_sdwa v5, sext(v5) dst_sel:DWORD dst_unused:UNUSED_PAD src0_sel:BYTE_3
	v_cvt_f32_i32_sdwa v4, sext(v4) dst_sel:DWORD dst_unused:UNUSED_PAD src0_sel:BYTE_3
	;; [unrolled: 1-line block ×4, first 2 shown]
	s_waitcnt vmcnt(3)
	v_cvt_f32_i32_sdwa v92, sext(v13) dst_sel:DWORD dst_unused:UNUSED_PAD src0_sel:BYTE_0
	v_cvt_f32_i32_sdwa v98, sext(v13) dst_sel:DWORD dst_unused:UNUSED_PAD src0_sel:BYTE_1
	v_cvt_f32_i32_sdwa v78, sext(v13) dst_sel:DWORD dst_unused:UNUSED_PAD src0_sel:BYTE_2
	v_cvt_f32_i32_sdwa v80, sext(v13) dst_sel:DWORD dst_unused:UNUSED_PAD src0_sel:BYTE_3
	s_waitcnt vmcnt(2)
	v_cvt_f32_i32_sdwa v82, sext(v15) dst_sel:DWORD dst_unused:UNUSED_PAD src0_sel:BYTE_0
	v_fmac_f32_e32 v24, v79, v92
	v_fmac_f32_e32 v25, v83, v92
	;; [unrolled: 1-line block ×4, first 2 shown]
	v_cvt_f32_i32_sdwa v84, sext(v15) dst_sel:DWORD dst_unused:UNUSED_PAD src0_sel:BYTE_1
	v_fmac_f32_e32 v24, v81, v98
	v_fmac_f32_e32 v25, v85, v98
	;; [unrolled: 1-line block ×4, first 2 shown]
	v_cvt_f32_i32_sdwa v86, sext(v15) dst_sel:DWORD dst_unused:UNUSED_PAD src0_sel:BYTE_2
	v_pk_fma_f32 v[24:25], v[38:39], v[78:79], v[24:25] op_sel_hi:[1,0,1]
	v_pk_fma_f32 v[22:23], v[40:41], v[78:79], v[22:23] op_sel_hi:[1,0,1]
	v_cvt_f32_i32_sdwa v88, sext(v15) dst_sel:DWORD dst_unused:UNUSED_PAD src0_sel:BYTE_3
	v_pk_fma_f32 v[0:1], v[0:1], v[80:81], v[24:25] op_sel_hi:[1,0,1]
	v_pk_fma_f32 v[2:3], v[2:3], v[80:81], v[22:23] op_sel_hi:[1,0,1]
	s_waitcnt vmcnt(1)
	v_cvt_f32_i32_sdwa v90, sext(v95) dst_sel:DWORD dst_unused:UNUSED_PAD src0_sel:BYTE_0
	v_pk_fma_f32 v[0:1], v[44:45], v[82:83], v[0:1] op_sel_hi:[1,0,1]
	v_pk_fma_f32 v[2:3], v[62:63], v[82:83], v[2:3] op_sel_hi:[1,0,1]
	v_cvt_f32_i32_sdwa v92, sext(v95) dst_sel:DWORD dst_unused:UNUSED_PAD src0_sel:BYTE_1
	v_pk_fma_f32 v[0:1], v[46:47], v[84:85], v[0:1] op_sel_hi:[1,0,1]
	v_pk_fma_f32 v[2:3], v[64:65], v[84:85], v[2:3] op_sel_hi:[1,0,1]
	v_cvt_f32_i32_sdwa v94, sext(v95) dst_sel:DWORD dst_unused:UNUSED_PAD src0_sel:BYTE_2
	v_pk_fma_f32 v[0:1], v[48:49], v[86:87], v[0:1] op_sel_hi:[1,0,1]
	v_pk_fma_f32 v[2:3], v[66:67], v[86:87], v[2:3] op_sel_hi:[1,0,1]
	v_cvt_f32_i32_sdwa v96, sext(v95) dst_sel:DWORD dst_unused:UNUSED_PAD src0_sel:BYTE_3
	v_pk_fma_f32 v[0:1], v[30:31], v[88:89], v[0:1] op_sel_hi:[1,0,1]
	v_pk_fma_f32 v[2:3], v[32:33], v[88:89], v[2:3] op_sel_hi:[1,0,1]
	s_waitcnt vmcnt(0)
	v_cvt_f32_i32_sdwa v98, sext(v97) dst_sel:DWORD dst_unused:UNUSED_PAD src0_sel:BYTE_0
	v_pk_fma_f32 v[0:1], v[50:51], v[90:91], v[0:1] op_sel_hi:[1,0,1]
	v_pk_fma_f32 v[2:3], v[68:69], v[90:91], v[2:3] op_sel_hi:[1,0,1]
	v_cvt_f32_i32_sdwa v38, sext(v97) dst_sel:DWORD dst_unused:UNUSED_PAD src0_sel:BYTE_1
	v_pk_fma_f32 v[0:1], v[52:53], v[92:93], v[0:1] op_sel_hi:[1,0,1]
	v_pk_fma_f32 v[2:3], v[70:71], v[92:93], v[2:3] op_sel_hi:[1,0,1]
	v_cvt_f32_i32_sdwa v40, sext(v97) dst_sel:DWORD dst_unused:UNUSED_PAD src0_sel:BYTE_2
	v_pk_fma_f32 v[0:1], v[54:55], v[94:95], v[0:1] op_sel_hi:[1,0,1]
	v_pk_fma_f32 v[2:3], v[72:73], v[94:95], v[2:3] op_sel_hi:[1,0,1]
	v_cvt_f32_i32_sdwa v78, sext(v97) dst_sel:DWORD dst_unused:UNUSED_PAD src0_sel:BYTE_3
	v_pk_fma_f32 v[0:1], v[34:35], v[96:97], v[0:1] op_sel_hi:[1,0,1]
	v_pk_fma_f32 v[2:3], v[36:37], v[96:97], v[2:3] op_sel_hi:[1,0,1]
	;; [unrolled: 1-line block ×10, first 2 shown]
	s_andn2_b64 exec, exec, s[18:19]
	s_cbranch_execnz .LBB83_21
; %bb.22:
	s_or_b64 exec, exec, s[18:19]
.LBB83_23:
	s_or_b64 exec, exec, s[10:11]
	v_mov_b32_e32 v15, v23
.LBB83_24:
	s_or_b64 exec, exec, s[6:7]
	v_mov_b32_e32 v23, v15
	s_cbranch_execz .LBB83_26
	s_branch .LBB83_37
.LBB83_25:
                                        ; implicit-def: $vgpr23
                                        ; implicit-def: $vgpr25
.LBB83_26:
	v_mov_b32_e32 v23, 0
	v_mov_b32_e32 v22, 0
	;; [unrolled: 1-line block ×4, first 2 shown]
	s_and_saveexec_b64 s[6:7], s[2:3]
	s_cbranch_execz .LBB83_36
; %bb.27:
	v_or_b32_e32 v0, 32, v14
	v_subrev_co_u32_e32 v0, vcc, s16, v0
	v_not_b32_e32 v3, v9
	s_nop 0
	v_subb_co_u32_e64 v1, s[2:3], 0, 0, vcc
	v_lshl_add_u64 v[0:1], v[0:1], 0, v[8:9]
	v_cmp_gt_i64_e32 vcc, v[0:1], v[18:19]
	v_not_b32_e32 v2, v8
	v_mov_b32_e32 v22, 0
	v_cndmask_b32_e32 v1, v19, v1, vcc
	v_cndmask_b32_e32 v0, v18, v0, vcc
	v_sub_co_u32_e32 v4, vcc, s16, v14
	v_mov_b32_e32 v23, v22
	s_nop 0
	v_subb_co_u32_e64 v5, s[2:3], 0, 0, vcc
	v_lshl_add_u64 v[2:3], v[4:5], 0, v[2:3]
	v_lshl_add_u64 v[0:1], v[2:3], 0, v[0:1]
	v_and_b32_e32 v2, 0x60, v0
	v_mov_b32_e32 v3, v22
	s_mov_b64 s[2:3], 0x60
	v_cmp_ne_u64_e32 vcc, s[2:3], v[2:3]
	v_mov_b64_e32 v[24:25], v[22:23]
	s_and_saveexec_b64 s[2:3], vcc
	s_cbranch_execz .LBB83_31
; %bb.28:
	v_lshrrev_b32_e32 v2, 5, v0
	v_add_u32_e32 v2, 1, v2
	v_and_b32_e32 v4, 3, v2
	v_sub_co_u32_e32 v4, vcc, 0, v4
	v_lshl_add_u64 v[2:3], v[16:17], 2, s[8:9]
	s_nop 0
	v_subb_co_u32_e64 v5, s[18:19], 0, 0, vcc
	s_mov_b64 s[10:11], 0
	s_mov_b64 s[18:19], 0x200
	;; [unrolled: 1-line block ×3, first 2 shown]
	v_mov_b32_e32 v23, v22
	v_mov_b32_e32 v24, v22
	;; [unrolled: 1-line block ×3, first 2 shown]
.LBB83_29:                              ; =>This Inner Loop Header: Depth=1
	global_load_dword v10, v[2:3], off
	global_load_dwordx4 v[6:9], v[20:21], off
	v_lshl_add_u64 v[4:5], v[4:5], 0, 1
	v_cmp_eq_u64_e32 vcc, 0, v[4:5]
	v_lshl_add_u64 v[20:21], v[20:21], 0, s[18:19]
	v_lshl_add_u64 v[16:17], v[16:17], 0, 32
	;; [unrolled: 1-line block ×3, first 2 shown]
	s_or_b64 s[10:11], vcc, s[10:11]
	s_waitcnt vmcnt(1)
	v_subrev_u32_e32 v10, s16, v10
	v_lshlrev_b32_e32 v10, 2, v10
	v_ashrrev_i32_e32 v11, 31, v10
	s_waitcnt lgkmcnt(0)
	v_lshl_add_u64 v[10:11], s[4:5], 0, v[10:11]
	global_load_dword v13, v[10:11], off
	s_waitcnt vmcnt(1)
	v_cvt_f32_i32_sdwa v11, sext(v6) dst_sel:DWORD dst_unused:UNUSED_PAD src0_sel:BYTE_1
	v_cvt_f32_i32_sdwa v10, sext(v6) dst_sel:DWORD dst_unused:UNUSED_PAD src0_sel:BYTE_0
	v_cvt_f32_i32_sdwa v27, sext(v7) dst_sel:DWORD dst_unused:UNUSED_PAD src0_sel:BYTE_1
	v_cvt_f32_i32_sdwa v26, sext(v7) dst_sel:DWORD dst_unused:UNUSED_PAD src0_sel:BYTE_0
	v_cvt_f32_i32_sdwa v29, sext(v6) dst_sel:DWORD dst_unused:UNUSED_PAD src0_sel:BYTE_3
	v_cvt_f32_i32_sdwa v28, sext(v6) dst_sel:DWORD dst_unused:UNUSED_PAD src0_sel:BYTE_2
	v_cvt_f32_i32_sdwa v31, sext(v7) dst_sel:DWORD dst_unused:UNUSED_PAD src0_sel:BYTE_3
	v_cvt_f32_i32_sdwa v30, sext(v7) dst_sel:DWORD dst_unused:UNUSED_PAD src0_sel:BYTE_2
	v_cvt_f32_i32_sdwa v7, sext(v8) dst_sel:DWORD dst_unused:UNUSED_PAD src0_sel:BYTE_1
	v_cvt_f32_i32_sdwa v6, sext(v8) dst_sel:DWORD dst_unused:UNUSED_PAD src0_sel:BYTE_0
	v_cvt_f32_i32_sdwa v33, sext(v8) dst_sel:DWORD dst_unused:UNUSED_PAD src0_sel:BYTE_3
	v_cvt_f32_i32_sdwa v32, sext(v8) dst_sel:DWORD dst_unused:UNUSED_PAD src0_sel:BYTE_2
	v_cvt_f32_i32_sdwa v35, sext(v9) dst_sel:DWORD dst_unused:UNUSED_PAD src0_sel:BYTE_1
	v_cvt_f32_i32_sdwa v34, sext(v9) dst_sel:DWORD dst_unused:UNUSED_PAD src0_sel:BYTE_0
	v_cvt_f32_i32_sdwa v37, sext(v9) dst_sel:DWORD dst_unused:UNUSED_PAD src0_sel:BYTE_3
	v_cvt_f32_i32_sdwa v36, sext(v9) dst_sel:DWORD dst_unused:UNUSED_PAD src0_sel:BYTE_2
	s_waitcnt vmcnt(0)
	v_cvt_f32_i32_sdwa v8, sext(v13) dst_sel:DWORD dst_unused:UNUSED_PAD src0_sel:BYTE_0
	v_cvt_f32_i32_sdwa v38, sext(v13) dst_sel:DWORD dst_unused:UNUSED_PAD src0_sel:BYTE_1
	v_cvt_f32_i32_sdwa v40, sext(v13) dst_sel:DWORD dst_unused:UNUSED_PAD src0_sel:BYTE_2
	v_cvt_f32_i32_sdwa v42, sext(v13) dst_sel:DWORD dst_unused:UNUSED_PAD src0_sel:BYTE_3
	v_pk_fma_f32 v[10:11], v[10:11], v[8:9], v[24:25] op_sel_hi:[1,0,1]
	v_pk_fma_f32 v[8:9], v[28:29], v[8:9], v[22:23] op_sel_hi:[1,0,1]
	;; [unrolled: 1-line block ×8, first 2 shown]
	s_andn2_b64 exec, exec, s[10:11]
	s_cbranch_execnz .LBB83_29
; %bb.30:
	s_or_b64 exec, exec, s[10:11]
.LBB83_31:
	s_or_b64 exec, exec, s[2:3]
	s_mov_b64 s[2:3], 0x5f
	v_cmp_lt_u64_e32 vcc, s[2:3], v[0:1]
	s_and_saveexec_b64 s[2:3], vcc
	s_cbranch_execz .LBB83_35
; %bb.32:
	v_lshl_add_u64 v[0:1], v[16:17], 2, s[8:9]
	s_mov_b64 s[8:9], 0x100
	v_lshl_add_u64 v[26:27], v[0:1], 0, s[8:9]
	s_mov_b64 s[8:9], 0
	s_mov_b64 s[10:11], 0x800
	;; [unrolled: 1-line block ×4, first 2 shown]
.LBB83_33:                              ; =>This Inner Loop Header: Depth=1
	global_load_dwordx4 v[0:3], v[20:21], off
	global_load_dwordx4 v[4:7], v[20:21], off offset:512
	global_load_dwordx4 v[8:11], v[20:21], off offset:1024
	global_load_dword v13, v[26:27], off offset:-256
	global_load_dword v15, v[26:27], off offset:-128
	global_load_dword v54, v[26:27], off
	global_load_dword v56, v[26:27], off offset:128
	global_load_dwordx4 v[28:31], v[20:21], off offset:1536
	v_lshl_add_u64 v[16:17], v[16:17], 0, s[18:19]
	v_cmp_ge_i64_e32 vcc, v[16:17], v[18:19]
	v_lshl_add_u64 v[20:21], v[20:21], 0, s[10:11]
	v_lshl_add_u64 v[26:27], v[26:27], 0, s[20:21]
	s_or_b64 s[8:9], vcc, s[8:9]
	s_waitcnt vmcnt(7)
	v_cvt_f32_i32_sdwa v33, sext(v0) dst_sel:DWORD dst_unused:UNUSED_PAD src0_sel:BYTE_1
	v_cvt_f32_i32_sdwa v32, sext(v0) dst_sel:DWORD dst_unused:UNUSED_PAD src0_sel:BYTE_0
	v_cvt_f32_i32_sdwa v35, sext(v1) dst_sel:DWORD dst_unused:UNUSED_PAD src0_sel:BYTE_1
	v_cvt_f32_i32_sdwa v34, sext(v1) dst_sel:DWORD dst_unused:UNUSED_PAD src0_sel:BYTE_0
	v_cvt_f32_i32_sdwa v37, sext(v0) dst_sel:DWORD dst_unused:UNUSED_PAD src0_sel:BYTE_3
	v_cvt_f32_i32_sdwa v36, sext(v0) dst_sel:DWORD dst_unused:UNUSED_PAD src0_sel:BYTE_2
	v_cvt_f32_i32_sdwa v39, sext(v1) dst_sel:DWORD dst_unused:UNUSED_PAD src0_sel:BYTE_3
	v_cvt_f32_i32_sdwa v38, sext(v1) dst_sel:DWORD dst_unused:UNUSED_PAD src0_sel:BYTE_2
	v_cvt_f32_i32_sdwa v1, sext(v2) dst_sel:DWORD dst_unused:UNUSED_PAD src0_sel:BYTE_1
	v_cvt_f32_i32_sdwa v0, sext(v2) dst_sel:DWORD dst_unused:UNUSED_PAD src0_sel:BYTE_0
	v_cvt_f32_i32_sdwa v41, sext(v2) dst_sel:DWORD dst_unused:UNUSED_PAD src0_sel:BYTE_3
	v_cvt_f32_i32_sdwa v40, sext(v2) dst_sel:DWORD dst_unused:UNUSED_PAD src0_sel:BYTE_2
	s_waitcnt vmcnt(4)
	v_subrev_u32_e32 v2, s16, v13
	s_waitcnt vmcnt(3)
	v_subrev_u32_e32 v13, s16, v15
	;; [unrolled: 2-line block ×4, first 2 shown]
	v_lshlrev_b32_e32 v56, 2, v2
	v_lshlrev_b32_e32 v58, 2, v13
	;; [unrolled: 1-line block ×4, first 2 shown]
	v_ashrrev_i32_e32 v57, 31, v56
	v_ashrrev_i32_e32 v59, 31, v58
	;; [unrolled: 1-line block ×4, first 2 shown]
	s_waitcnt lgkmcnt(0)
	v_lshl_add_u64 v[56:57], s[4:5], 0, v[56:57]
	v_lshl_add_u64 v[58:59], s[4:5], 0, v[58:59]
	;; [unrolled: 1-line block ×4, first 2 shown]
	global_load_dword v13, v[56:57], off
	global_load_dword v15, v[58:59], off
	global_load_dword v83, v[60:61], off
	global_load_dword v85, v[62:63], off
	v_cvt_f32_i32_sdwa v43, sext(v3) dst_sel:DWORD dst_unused:UNUSED_PAD src0_sel:BYTE_1
	v_cvt_f32_i32_sdwa v42, sext(v3) dst_sel:DWORD dst_unused:UNUSED_PAD src0_sel:BYTE_0
	v_cvt_f32_i32_sdwa v45, sext(v4) dst_sel:DWORD dst_unused:UNUSED_PAD src0_sel:BYTE_1
	v_cvt_f32_i32_sdwa v44, sext(v4) dst_sel:DWORD dst_unused:UNUSED_PAD src0_sel:BYTE_0
	;; [unrolled: 2-line block ×7, first 2 shown]
	v_cvt_f32_i32_sdwa v57, sext(v3) dst_sel:DWORD dst_unused:UNUSED_PAD src0_sel:BYTE_3
	v_cvt_f32_i32_sdwa v56, sext(v3) dst_sel:DWORD dst_unused:UNUSED_PAD src0_sel:BYTE_2
	v_cvt_f32_i32_sdwa v3, sext(v4) dst_sel:DWORD dst_unused:UNUSED_PAD src0_sel:BYTE_3
	v_cvt_f32_i32_sdwa v2, sext(v4) dst_sel:DWORD dst_unused:UNUSED_PAD src0_sel:BYTE_2
	;; [unrolled: 2-line block ×5, first 2 shown]
	v_cvt_f32_i32_sdwa v7, sext(v10) dst_sel:DWORD dst_unused:UNUSED_PAD src0_sel:BYTE_1
	v_cvt_f32_i32_sdwa v6, sext(v10) dst_sel:DWORD dst_unused:UNUSED_PAD src0_sel:BYTE_0
	v_cvt_f32_i32_sdwa v63, sext(v11) dst_sel:DWORD dst_unused:UNUSED_PAD src0_sel:BYTE_1
	v_cvt_f32_i32_sdwa v62, sext(v11) dst_sel:DWORD dst_unused:UNUSED_PAD src0_sel:BYTE_0
	v_cvt_f32_i32_sdwa v65, sext(v8) dst_sel:DWORD dst_unused:UNUSED_PAD src0_sel:BYTE_3
	v_cvt_f32_i32_sdwa v64, sext(v8) dst_sel:DWORD dst_unused:UNUSED_PAD src0_sel:BYTE_2
	v_cvt_f32_i32_sdwa v67, sext(v9) dst_sel:DWORD dst_unused:UNUSED_PAD src0_sel:BYTE_3
	v_cvt_f32_i32_sdwa v66, sext(v9) dst_sel:DWORD dst_unused:UNUSED_PAD src0_sel:BYTE_2
	;; [unrolled: 2-line block ×4, first 2 shown]
	s_waitcnt vmcnt(4)
	v_cvt_f32_i32_sdwa v11, sext(v28) dst_sel:DWORD dst_unused:UNUSED_PAD src0_sel:BYTE_1
	v_cvt_f32_i32_sdwa v10, sext(v28) dst_sel:DWORD dst_unused:UNUSED_PAD src0_sel:BYTE_0
	v_cvt_f32_i32_sdwa v71, sext(v28) dst_sel:DWORD dst_unused:UNUSED_PAD src0_sel:BYTE_3
	v_cvt_f32_i32_sdwa v70, sext(v28) dst_sel:DWORD dst_unused:UNUSED_PAD src0_sel:BYTE_2
	v_cvt_f32_i32_sdwa v73, sext(v29) dst_sel:DWORD dst_unused:UNUSED_PAD src0_sel:BYTE_1
	v_cvt_f32_i32_sdwa v72, sext(v29) dst_sel:DWORD dst_unused:UNUSED_PAD src0_sel:BYTE_0
	v_cvt_f32_i32_sdwa v75, sext(v29) dst_sel:DWORD dst_unused:UNUSED_PAD src0_sel:BYTE_3
	v_cvt_f32_i32_sdwa v74, sext(v29) dst_sel:DWORD dst_unused:UNUSED_PAD src0_sel:BYTE_2
	;; [unrolled: 4-line block ×4, first 2 shown]
	s_waitcnt vmcnt(3)
	v_cvt_f32_i32_sdwa v30, sext(v13) dst_sel:DWORD dst_unused:UNUSED_PAD src0_sel:BYTE_0
	v_cvt_f32_i32_sdwa v82, sext(v13) dst_sel:DWORD dst_unused:UNUSED_PAD src0_sel:BYTE_1
	v_cvt_f32_i32_sdwa v84, sext(v13) dst_sel:DWORD dst_unused:UNUSED_PAD src0_sel:BYTE_2
	v_cvt_f32_i32_sdwa v86, sext(v13) dst_sel:DWORD dst_unused:UNUSED_PAD src0_sel:BYTE_3
	s_waitcnt vmcnt(2)
	v_cvt_f32_i32_sdwa v88, sext(v15) dst_sel:DWORD dst_unused:UNUSED_PAD src0_sel:BYTE_0
	v_pk_fma_f32 v[24:25], v[32:33], v[30:31], v[24:25] op_sel_hi:[1,0,1]
	v_pk_fma_f32 v[22:23], v[36:37], v[30:31], v[22:23] op_sel_hi:[1,0,1]
	v_cvt_f32_i32_sdwa v90, sext(v15) dst_sel:DWORD dst_unused:UNUSED_PAD src0_sel:BYTE_1
	s_waitcnt vmcnt(1)
	v_pk_fma_f32 v[24:25], v[34:35], v[82:83], v[24:25] op_sel_hi:[1,0,1]
	v_pk_fma_f32 v[22:23], v[38:39], v[82:83], v[22:23] op_sel_hi:[1,0,1]
	v_cvt_f32_i32_sdwa v32, sext(v15) dst_sel:DWORD dst_unused:UNUSED_PAD src0_sel:BYTE_2
	s_waitcnt vmcnt(0)
	v_pk_fma_f32 v[0:1], v[0:1], v[84:85], v[24:25] op_sel_hi:[1,0,1]
	v_pk_fma_f32 v[22:23], v[40:41], v[84:85], v[22:23] op_sel_hi:[1,0,1]
	v_cvt_f32_i32_sdwa v92, sext(v15) dst_sel:DWORD dst_unused:UNUSED_PAD src0_sel:BYTE_3
	v_pk_fma_f32 v[0:1], v[42:43], v[86:87], v[0:1] op_sel_hi:[1,0,1]
	v_pk_fma_f32 v[22:23], v[56:57], v[86:87], v[22:23] op_sel_hi:[1,0,1]
	v_cvt_f32_i32_sdwa v30, sext(v83) dst_sel:DWORD dst_unused:UNUSED_PAD src0_sel:BYTE_0
	v_pk_fma_f32 v[0:1], v[44:45], v[88:89], v[0:1] op_sel_hi:[1,0,1]
	v_pk_fma_f32 v[2:3], v[2:3], v[88:89], v[22:23] op_sel_hi:[1,0,1]
	v_cvt_f32_i32_sdwa v36, sext(v83) dst_sel:DWORD dst_unused:UNUSED_PAD src0_sel:BYTE_1
	v_pk_fma_f32 v[0:1], v[46:47], v[90:91], v[0:1] op_sel_hi:[1,0,1]
	v_pk_fma_f32 v[2:3], v[58:59], v[90:91], v[2:3] op_sel_hi:[1,0,1]
	v_cvt_f32_i32_sdwa v34, sext(v83) dst_sel:DWORD dst_unused:UNUSED_PAD src0_sel:BYTE_2
	v_pk_fma_f32 v[0:1], v[48:49], v[32:33], v[0:1] op_sel_hi:[1,0,1]
	v_pk_fma_f32 v[2:3], v[4:5], v[32:33], v[2:3] op_sel_hi:[1,0,1]
	v_cvt_f32_i32_sdwa v38, sext(v83) dst_sel:DWORD dst_unused:UNUSED_PAD src0_sel:BYTE_3
	v_pk_fma_f32 v[0:1], v[50:51], v[92:93], v[0:1] op_sel_hi:[1,0,1]
	v_pk_fma_f32 v[2:3], v[60:61], v[92:93], v[2:3] op_sel_hi:[1,0,1]
	v_cvt_f32_i32_sdwa v82, sext(v85) dst_sel:DWORD dst_unused:UNUSED_PAD src0_sel:BYTE_0
	v_pk_fma_f32 v[0:1], v[52:53], v[30:31], v[0:1] op_sel_hi:[1,0,1]
	v_pk_fma_f32 v[2:3], v[64:65], v[30:31], v[2:3] op_sel_hi:[1,0,1]
	v_cvt_f32_i32_sdwa v24, sext(v85) dst_sel:DWORD dst_unused:UNUSED_PAD src0_sel:BYTE_1
	v_pk_fma_f32 v[0:1], v[54:55], v[36:37], v[0:1] op_sel_hi:[1,0,1]
	v_pk_fma_f32 v[2:3], v[66:67], v[36:37], v[2:3] op_sel_hi:[1,0,1]
	v_cvt_f32_i32_sdwa v40, sext(v85) dst_sel:DWORD dst_unused:UNUSED_PAD src0_sel:BYTE_2
	v_pk_fma_f32 v[0:1], v[6:7], v[34:35], v[0:1] op_sel_hi:[1,0,1]
	v_pk_fma_f32 v[2:3], v[8:9], v[34:35], v[2:3] op_sel_hi:[1,0,1]
	v_cvt_f32_i32_sdwa v84, sext(v85) dst_sel:DWORD dst_unused:UNUSED_PAD src0_sel:BYTE_3
	v_pk_fma_f32 v[0:1], v[62:63], v[38:39], v[0:1] op_sel_hi:[1,0,1]
	v_pk_fma_f32 v[2:3], v[68:69], v[38:39], v[2:3] op_sel_hi:[1,0,1]
	;; [unrolled: 1-line block ×10, first 2 shown]
	s_andn2_b64 exec, exec, s[8:9]
	s_cbranch_execnz .LBB83_33
; %bb.34:
	s_or_b64 exec, exec, s[8:9]
.LBB83_35:
	s_or_b64 exec, exec, s[2:3]
.LBB83_36:
	s_or_b64 exec, exec, s[6:7]
.LBB83_37:
	v_mov_b32_dpp v0, v24 row_shr:1 row_mask:0xf bank_mask:0xf
	v_mov_b32_dpp v1, v25 row_shr:1 row_mask:0xf bank_mask:0xf
	;; [unrolled: 1-line block ×4, first 2 shown]
	v_pk_add_f32 v[0:1], v[24:25], v[0:1]
	v_pk_add_f32 v[4:5], v[22:23], v[4:5]
	v_cmp_eq_u32_e32 vcc, 31, v14
	v_mov_b32_dpp v2, v0 row_shr:2 row_mask:0xf bank_mask:0xf
	v_mov_b32_dpp v3, v1 row_shr:2 row_mask:0xf bank_mask:0xf
	v_mov_b32_dpp v6, v4 row_shr:2 row_mask:0xf bank_mask:0xf
	v_mov_b32_dpp v7, v5 row_shr:2 row_mask:0xf bank_mask:0xf
	v_pk_add_f32 v[0:1], v[0:1], v[2:3]
	v_pk_add_f32 v[4:5], v[4:5], v[6:7]
	s_nop 0
	v_mov_b32_dpp v2, v0 row_shr:4 row_mask:0xf bank_mask:0xe
	v_mov_b32_dpp v3, v1 row_shr:4 row_mask:0xf bank_mask:0xe
	v_mov_b32_dpp v6, v4 row_shr:4 row_mask:0xf bank_mask:0xe
	v_mov_b32_dpp v7, v5 row_shr:4 row_mask:0xf bank_mask:0xe
	v_pk_add_f32 v[0:1], v[0:1], v[2:3]
	v_pk_add_f32 v[4:5], v[4:5], v[6:7]
	s_nop 0
	;; [unrolled: 7-line block ×3, first 2 shown]
	v_mov_b32_dpp v2, v0 row_bcast:15 row_mask:0xa bank_mask:0xf
	v_mov_b32_dpp v3, v1 row_bcast:15 row_mask:0xa bank_mask:0xf
	v_mov_b32_dpp v6, v4 row_bcast:15 row_mask:0xa bank_mask:0xf
	v_mov_b32_dpp v7, v5 row_bcast:15 row_mask:0xa bank_mask:0xf
	s_and_b64 exec, exec, vcc
	s_cbranch_execz .LBB83_10
; %bb.38:
	s_load_dwordx2 s[0:1], s[0:1], 0x50
	v_cmp_eq_f32_e64 s[2:3], s14, 0
	v_pk_add_f32 v[2:3], v[0:1], v[2:3]
	v_pk_add_f32 v[0:1], v[4:5], v[6:7]
	s_and_b64 vcc, exec, s[2:3]
	v_lshlrev_b32_e32 v4, 2, v12
	s_cbranch_vccz .LBB83_40
; %bb.39:
	v_ashrrev_i32_e32 v5, 31, v4
	s_waitcnt lgkmcnt(0)
	v_lshl_add_u64 v[10:11], v[4:5], 2, s[0:1]
	v_pk_mul_f32 v[6:7], s[12:13], v[2:3] op_sel_hi:[0,1]
	v_pk_mul_f32 v[8:9], s[12:13], v[0:1] op_sel_hi:[0,1]
	global_store_dwordx4 v[10:11], v[6:9], off
	s_cbranch_execnz .LBB83_10
	s_branch .LBB83_41
.LBB83_40:
.LBB83_41:
	v_ashrrev_i32_e32 v5, 31, v4
	s_waitcnt lgkmcnt(0)
	v_lshl_add_u64 v[8:9], v[4:5], 2, s[0:1]
	global_load_dwordx4 v[4:7], v[8:9], off
	v_pk_mul_f32 v[2:3], s[12:13], v[2:3] op_sel_hi:[0,1]
	v_pk_mul_f32 v[10:11], s[12:13], v[0:1] op_sel_hi:[0,1]
	s_waitcnt vmcnt(0)
	v_pk_fma_f32 v[0:1], s[14:15], v[4:5], v[2:3] op_sel_hi:[0,1,1]
	v_pk_fma_f32 v[2:3], s[14:15], v[6:7], v[10:11] op_sel_hi:[0,1,1]
	global_store_dwordx4 v[8:9], v[0:3], off
	s_endpgm
	.section	.rodata,"a",@progbits
	.p2align	6, 0x0
	.amdhsa_kernel _ZN9rocsparseL18bsrxmvn_4x4_kernelILj128ELj32EfliaafEEvT3_20rocsparse_direction_NS_24const_host_device_scalarIT1_EES1_PKS1_PKT2_SA_S7_PKT4_PKT5_S5_PT6_21rocsparse_index_base_b
		.amdhsa_group_segment_fixed_size 0
		.amdhsa_private_segment_fixed_size 0
		.amdhsa_kernarg_size 96
		.amdhsa_user_sgpr_count 2
		.amdhsa_user_sgpr_dispatch_ptr 0
		.amdhsa_user_sgpr_queue_ptr 0
		.amdhsa_user_sgpr_kernarg_segment_ptr 1
		.amdhsa_user_sgpr_dispatch_id 0
		.amdhsa_user_sgpr_kernarg_preload_length 0
		.amdhsa_user_sgpr_kernarg_preload_offset 0
		.amdhsa_user_sgpr_private_segment_size 0
		.amdhsa_uses_dynamic_stack 0
		.amdhsa_enable_private_segment 0
		.amdhsa_system_sgpr_workgroup_id_x 1
		.amdhsa_system_sgpr_workgroup_id_y 0
		.amdhsa_system_sgpr_workgroup_id_z 0
		.amdhsa_system_sgpr_workgroup_info 0
		.amdhsa_system_vgpr_workitem_id 0
		.amdhsa_next_free_vgpr 100
		.amdhsa_next_free_sgpr 26
		.amdhsa_accum_offset 100
		.amdhsa_reserve_vcc 1
		.amdhsa_float_round_mode_32 0
		.amdhsa_float_round_mode_16_64 0
		.amdhsa_float_denorm_mode_32 3
		.amdhsa_float_denorm_mode_16_64 3
		.amdhsa_dx10_clamp 1
		.amdhsa_ieee_mode 1
		.amdhsa_fp16_overflow 0
		.amdhsa_tg_split 0
		.amdhsa_exception_fp_ieee_invalid_op 0
		.amdhsa_exception_fp_denorm_src 0
		.amdhsa_exception_fp_ieee_div_zero 0
		.amdhsa_exception_fp_ieee_overflow 0
		.amdhsa_exception_fp_ieee_underflow 0
		.amdhsa_exception_fp_ieee_inexact 0
		.amdhsa_exception_int_div_zero 0
	.end_amdhsa_kernel
	.section	.text._ZN9rocsparseL18bsrxmvn_4x4_kernelILj128ELj32EfliaafEEvT3_20rocsparse_direction_NS_24const_host_device_scalarIT1_EES1_PKS1_PKT2_SA_S7_PKT4_PKT5_S5_PT6_21rocsparse_index_base_b,"axG",@progbits,_ZN9rocsparseL18bsrxmvn_4x4_kernelILj128ELj32EfliaafEEvT3_20rocsparse_direction_NS_24const_host_device_scalarIT1_EES1_PKS1_PKT2_SA_S7_PKT4_PKT5_S5_PT6_21rocsparse_index_base_b,comdat
.Lfunc_end83:
	.size	_ZN9rocsparseL18bsrxmvn_4x4_kernelILj128ELj32EfliaafEEvT3_20rocsparse_direction_NS_24const_host_device_scalarIT1_EES1_PKS1_PKT2_SA_S7_PKT4_PKT5_S5_PT6_21rocsparse_index_base_b, .Lfunc_end83-_ZN9rocsparseL18bsrxmvn_4x4_kernelILj128ELj32EfliaafEEvT3_20rocsparse_direction_NS_24const_host_device_scalarIT1_EES1_PKS1_PKT2_SA_S7_PKT4_PKT5_S5_PT6_21rocsparse_index_base_b
                                        ; -- End function
	.set _ZN9rocsparseL18bsrxmvn_4x4_kernelILj128ELj32EfliaafEEvT3_20rocsparse_direction_NS_24const_host_device_scalarIT1_EES1_PKS1_PKT2_SA_S7_PKT4_PKT5_S5_PT6_21rocsparse_index_base_b.num_vgpr, 100
	.set _ZN9rocsparseL18bsrxmvn_4x4_kernelILj128ELj32EfliaafEEvT3_20rocsparse_direction_NS_24const_host_device_scalarIT1_EES1_PKS1_PKT2_SA_S7_PKT4_PKT5_S5_PT6_21rocsparse_index_base_b.num_agpr, 0
	.set _ZN9rocsparseL18bsrxmvn_4x4_kernelILj128ELj32EfliaafEEvT3_20rocsparse_direction_NS_24const_host_device_scalarIT1_EES1_PKS1_PKT2_SA_S7_PKT4_PKT5_S5_PT6_21rocsparse_index_base_b.numbered_sgpr, 26
	.set _ZN9rocsparseL18bsrxmvn_4x4_kernelILj128ELj32EfliaafEEvT3_20rocsparse_direction_NS_24const_host_device_scalarIT1_EES1_PKS1_PKT2_SA_S7_PKT4_PKT5_S5_PT6_21rocsparse_index_base_b.num_named_barrier, 0
	.set _ZN9rocsparseL18bsrxmvn_4x4_kernelILj128ELj32EfliaafEEvT3_20rocsparse_direction_NS_24const_host_device_scalarIT1_EES1_PKS1_PKT2_SA_S7_PKT4_PKT5_S5_PT6_21rocsparse_index_base_b.private_seg_size, 0
	.set _ZN9rocsparseL18bsrxmvn_4x4_kernelILj128ELj32EfliaafEEvT3_20rocsparse_direction_NS_24const_host_device_scalarIT1_EES1_PKS1_PKT2_SA_S7_PKT4_PKT5_S5_PT6_21rocsparse_index_base_b.uses_vcc, 1
	.set _ZN9rocsparseL18bsrxmvn_4x4_kernelILj128ELj32EfliaafEEvT3_20rocsparse_direction_NS_24const_host_device_scalarIT1_EES1_PKS1_PKT2_SA_S7_PKT4_PKT5_S5_PT6_21rocsparse_index_base_b.uses_flat_scratch, 0
	.set _ZN9rocsparseL18bsrxmvn_4x4_kernelILj128ELj32EfliaafEEvT3_20rocsparse_direction_NS_24const_host_device_scalarIT1_EES1_PKS1_PKT2_SA_S7_PKT4_PKT5_S5_PT6_21rocsparse_index_base_b.has_dyn_sized_stack, 0
	.set _ZN9rocsparseL18bsrxmvn_4x4_kernelILj128ELj32EfliaafEEvT3_20rocsparse_direction_NS_24const_host_device_scalarIT1_EES1_PKS1_PKT2_SA_S7_PKT4_PKT5_S5_PT6_21rocsparse_index_base_b.has_recursion, 0
	.set _ZN9rocsparseL18bsrxmvn_4x4_kernelILj128ELj32EfliaafEEvT3_20rocsparse_direction_NS_24const_host_device_scalarIT1_EES1_PKS1_PKT2_SA_S7_PKT4_PKT5_S5_PT6_21rocsparse_index_base_b.has_indirect_call, 0
	.section	.AMDGPU.csdata,"",@progbits
; Kernel info:
; codeLenInByte = 4456
; TotalNumSgprs: 32
; NumVgprs: 100
; NumAgprs: 0
; TotalNumVgprs: 100
; ScratchSize: 0
; MemoryBound: 0
; FloatMode: 240
; IeeeMode: 1
; LDSByteSize: 0 bytes/workgroup (compile time only)
; SGPRBlocks: 3
; VGPRBlocks: 12
; NumSGPRsForWavesPerEU: 32
; NumVGPRsForWavesPerEU: 100
; AccumOffset: 100
; Occupancy: 4
; WaveLimiterHint : 1
; COMPUTE_PGM_RSRC2:SCRATCH_EN: 0
; COMPUTE_PGM_RSRC2:USER_SGPR: 2
; COMPUTE_PGM_RSRC2:TRAP_HANDLER: 0
; COMPUTE_PGM_RSRC2:TGID_X_EN: 1
; COMPUTE_PGM_RSRC2:TGID_Y_EN: 0
; COMPUTE_PGM_RSRC2:TGID_Z_EN: 0
; COMPUTE_PGM_RSRC2:TIDIG_COMP_CNT: 0
; COMPUTE_PGM_RSRC3_GFX90A:ACCUM_OFFSET: 24
; COMPUTE_PGM_RSRC3_GFX90A:TG_SPLIT: 0
	.section	.text._ZN9rocsparseL18bsrxmvn_4x4_kernelILj128ELj64EfliaafEEvT3_20rocsparse_direction_NS_24const_host_device_scalarIT1_EES1_PKS1_PKT2_SA_S7_PKT4_PKT5_S5_PT6_21rocsparse_index_base_b,"axG",@progbits,_ZN9rocsparseL18bsrxmvn_4x4_kernelILj128ELj64EfliaafEEvT3_20rocsparse_direction_NS_24const_host_device_scalarIT1_EES1_PKS1_PKT2_SA_S7_PKT4_PKT5_S5_PT6_21rocsparse_index_base_b,comdat
	.globl	_ZN9rocsparseL18bsrxmvn_4x4_kernelILj128ELj64EfliaafEEvT3_20rocsparse_direction_NS_24const_host_device_scalarIT1_EES1_PKS1_PKT2_SA_S7_PKT4_PKT5_S5_PT6_21rocsparse_index_base_b ; -- Begin function _ZN9rocsparseL18bsrxmvn_4x4_kernelILj128ELj64EfliaafEEvT3_20rocsparse_direction_NS_24const_host_device_scalarIT1_EES1_PKS1_PKT2_SA_S7_PKT4_PKT5_S5_PT6_21rocsparse_index_base_b
	.p2align	8
	.type	_ZN9rocsparseL18bsrxmvn_4x4_kernelILj128ELj64EfliaafEEvT3_20rocsparse_direction_NS_24const_host_device_scalarIT1_EES1_PKS1_PKT2_SA_S7_PKT4_PKT5_S5_PT6_21rocsparse_index_base_b,@function
_ZN9rocsparseL18bsrxmvn_4x4_kernelILj128ELj64EfliaafEEvT3_20rocsparse_direction_NS_24const_host_device_scalarIT1_EES1_PKS1_PKT2_SA_S7_PKT4_PKT5_S5_PT6_21rocsparse_index_base_b: ; @_ZN9rocsparseL18bsrxmvn_4x4_kernelILj128ELj64EfliaafEEvT3_20rocsparse_direction_NS_24const_host_device_scalarIT1_EES1_PKS1_PKT2_SA_S7_PKT4_PKT5_S5_PT6_21rocsparse_index_base_b
; %bb.0:
	s_load_dwordx2 s[16:17], s[0:1], 0x58
	s_load_dwordx2 s[12:13], s[0:1], 0x8
	;; [unrolled: 1-line block ×3, first 2 shown]
	s_waitcnt lgkmcnt(0)
	s_bitcmp1_b32 s17, 0
	s_cselect_b64 s[6:7], -1, 0
	s_xor_b64 s[4:5], s[6:7], -1
	s_and_b64 vcc, exec, s[6:7]
	s_cbranch_vccnz .LBB84_2
; %bb.1:
	s_load_dword s12, s[12:13], 0x0
.LBB84_2:
	s_andn2_b64 vcc, exec, s[4:5]
	s_cbranch_vccnz .LBB84_4
; %bb.3:
	s_load_dword s14, s[14:15], 0x0
.LBB84_4:
	s_waitcnt lgkmcnt(0)
	v_cmp_neq_f32_e64 s[4:5], s12, 0
	v_cmp_neq_f32_e64 s[6:7], s14, 1.0
	s_or_b64 s[4:5], s[4:5], s[6:7]
	s_andn2_b64 vcc, exec, s[4:5]
	s_cbranch_vccnz .LBB84_10
; %bb.5:
	s_load_dwordx2 s[4:5], s[0:1], 0x18
	s_load_dwordx2 s[18:19], s[0:1], 0x0
	v_lshrrev_b32_e32 v1, 6, v0
	v_lshl_or_b32 v12, s2, 1, v1
	s_mov_b64 s[2:3], 0
	s_waitcnt lgkmcnt(0)
	s_cmp_lg_u64 s[4:5], 0
	s_cbranch_scc0 .LBB84_11
; %bb.6:
	s_load_dword s6, s[0:1], 0x10
                                        ; implicit-def: $vgpr1
	s_waitcnt lgkmcnt(0)
	v_cmp_gt_i32_e32 vcc, s6, v12
	s_and_saveexec_b64 s[6:7], vcc
	s_xor_b64 s[6:7], exec, s[6:7]
	s_cbranch_execz .LBB84_8
; %bb.7:
	v_ashrrev_i32_e32 v13, 31, v12
	v_lshl_add_u64 v[2:3], v[12:13], 2, s[4:5]
	global_load_dword v1, v[2:3], off
	s_mov_b64 s[2:3], exec
	s_waitcnt vmcnt(0)
	v_subrev_u32_e32 v1, s16, v1
.LBB84_8:
	s_or_b64 exec, exec, s[6:7]
	s_branch .LBB84_12
.LBB84_9:
	v_cmp_gt_i32_e32 vcc, s18, v12
	s_andn2_b64 s[2:3], s[2:3], exec
	s_and_b64 s[4:5], vcc, exec
	s_or_b64 s[2:3], s[2:3], s[4:5]
	s_and_saveexec_b64 s[4:5], s[2:3]
	s_cbranch_execnz .LBB84_13
.LBB84_10:
	s_endpgm
.LBB84_11:
                                        ; implicit-def: $vgpr1
	s_cbranch_execnz .LBB84_9
.LBB84_12:
	v_mov_b32_e32 v12, v1
	s_and_saveexec_b64 s[4:5], s[2:3]
	s_cbranch_execz .LBB84_10
.LBB84_13:
	s_load_dwordx8 s[4:11], s[0:1], 0x20
	v_ashrrev_i32_e32 v13, 31, v12
	v_lshlrev_b64 v[2:3], 3, v[12:13]
	v_and_b32_e32 v14, 63, v0
	v_mov_b32_e32 v15, 0
	s_waitcnt lgkmcnt(0)
	v_lshl_add_u64 v[6:7], s[4:5], 0, v[2:3]
	s_cmp_eq_u64 s[6:7], 0
	v_lshl_add_u64 v[2:3], s[6:7], 0, v[2:3]
	global_load_dwordx2 v[4:5], v[6:7], off
	v_lshl_add_u64 v[6:7], v[6:7], 0, 8
	s_cselect_b64 vcc, -1, 0
	v_cndmask_b32_e32 v3, v3, v7, vcc
	v_cndmask_b32_e32 v2, v2, v6, vcc
	global_load_dwordx2 v[2:3], v[2:3], off
	s_load_dwordx2 s[4:5], s[0:1], 0x40
	s_cmp_eq_u32 s19, 1
	s_waitcnt vmcnt(1)
	v_subrev_co_u32_e32 v0, vcc, s16, v4
	s_nop 1
	v_subbrev_co_u32_e32 v1, vcc, 0, v5, vcc
	v_lshl_add_u64 v[16:17], v[0:1], 0, v[14:15]
	s_waitcnt vmcnt(0)
	v_subrev_co_u32_e32 v18, vcc, s16, v2
	v_lshl_add_u64 v[20:21], v[16:17], 4, s[10:11]
	s_nop 0
	v_subbrev_co_u32_e32 v19, vcc, 0, v3, vcc
	v_cmp_lt_i64_e64 s[2:3], v[16:17], v[18:19]
	s_cbranch_scc1 .LBB84_25
; %bb.14:
	v_mov_b32_e32 v22, v15
	v_mov_b32_e32 v25, v15
	;; [unrolled: 1-line block ×3, first 2 shown]
	s_and_saveexec_b64 s[6:7], s[2:3]
	s_cbranch_execz .LBB84_24
; %bb.15:
	v_or_b32_e32 v0, 64, v14
	v_subrev_co_u32_e32 v0, vcc, s16, v0
	v_not_b32_e32 v3, v5
	s_nop 0
	v_subb_co_u32_e64 v1, s[10:11], 0, 0, vcc
	v_lshl_add_u64 v[0:1], v[0:1], 0, v[4:5]
	v_cmp_gt_i64_e32 vcc, v[0:1], v[18:19]
	v_not_b32_e32 v2, v4
	v_mov_b32_e32 v25, 0
	v_cndmask_b32_e32 v1, v19, v1, vcc
	v_cndmask_b32_e32 v0, v18, v0, vcc
	v_sub_co_u32_e32 v6, vcc, s16, v14
	v_mov_b32_e32 v22, v25
	s_nop 0
	v_subb_co_u32_e64 v7, s[10:11], 0, 0, vcc
	v_lshl_add_u64 v[2:3], v[6:7], 0, v[2:3]
	v_lshl_add_u64 v[0:1], v[2:3], 0, v[0:1]
	v_and_b32_e32 v24, 0xc0, v0
	s_mov_b64 s[10:11], 0xc0
	v_cmp_ne_u64_e32 vcc, s[10:11], v[24:25]
	v_mov_b32_e32 v24, v25
	v_mov_b32_e32 v23, v25
	v_mov_b64_e32 v[6:7], v[16:17]
	v_mov_b64_e32 v[8:9], v[20:21]
	s_and_saveexec_b64 s[10:11], vcc
	s_cbranch_execz .LBB84_19
; %bb.16:
	v_lshrrev_b32_e32 v2, 6, v0
	v_add_u32_e32 v2, 1, v2
	v_and_b32_e32 v6, 3, v2
	v_sub_co_u32_e32 v10, vcc, 0, v6
	v_mov_b32_e32 v23, 0
	s_nop 0
	v_subb_co_u32_e64 v11, s[20:21], 0, 0, vcc
	v_lshl_add_u64 v[2:3], v[16:17], 2, s[8:9]
	s_mov_b64 s[18:19], 0
	s_mov_b64 s[20:21], 0x400
	;; [unrolled: 1-line block ×3, first 2 shown]
	v_mov_b64_e32 v[8:9], v[20:21]
	v_mov_b64_e32 v[6:7], v[16:17]
	v_mov_b32_e32 v22, v23
	v_mov_b32_e32 v25, v23
	;; [unrolled: 1-line block ×3, first 2 shown]
.LBB84_17:                              ; =>This Inner Loop Header: Depth=1
	global_load_dword v13, v[2:3], off
	global_load_dwordx4 v[26:29], v[8:9], off
	v_lshl_add_u64 v[10:11], v[10:11], 0, 1
	v_cmp_eq_u64_e32 vcc, 0, v[10:11]
	v_lshl_add_u64 v[8:9], v[8:9], 0, s[20:21]
	v_lshl_add_u64 v[6:7], v[6:7], 0, 64
	;; [unrolled: 1-line block ×3, first 2 shown]
	s_or_b64 s[18:19], vcc, s[18:19]
	s_waitcnt vmcnt(1)
	v_subrev_u32_e32 v13, s16, v13
	v_lshlrev_b32_e32 v30, 2, v13
	v_ashrrev_i32_e32 v31, 31, v30
	s_waitcnt lgkmcnt(0)
	v_lshl_add_u64 v[30:31], s[4:5], 0, v[30:31]
	global_load_dword v13, v[30:31], off
	s_waitcnt vmcnt(1)
	v_cvt_f32_i32_sdwa v15, sext(v26) dst_sel:DWORD dst_unused:UNUSED_PAD src0_sel:BYTE_0
	v_cvt_f32_i32_sdwa v33, sext(v27) dst_sel:DWORD dst_unused:UNUSED_PAD src0_sel:BYTE_0
	;; [unrolled: 1-line block ×4, first 2 shown]
	v_cvt_f32_i32_sdwa v31, sext(v26) dst_sel:DWORD dst_unused:UNUSED_PAD src0_sel:BYTE_1
	v_cvt_f32_i32_sdwa v34, sext(v27) dst_sel:DWORD dst_unused:UNUSED_PAD src0_sel:BYTE_1
	;; [unrolled: 1-line block ×4, first 2 shown]
	v_cvt_f32_i32_sdwa v32, sext(v26) dst_sel:DWORD dst_unused:UNUSED_PAD src0_sel:BYTE_2
	v_cvt_f32_i32_sdwa v35, sext(v27) dst_sel:DWORD dst_unused:UNUSED_PAD src0_sel:BYTE_2
	;; [unrolled: 1-line block ×4, first 2 shown]
	v_cvt_f32_i32_sdwa v26, sext(v26) dst_sel:DWORD dst_unused:UNUSED_PAD src0_sel:BYTE_3
	v_cvt_f32_i32_sdwa v27, sext(v27) dst_sel:DWORD dst_unused:UNUSED_PAD src0_sel:BYTE_3
	;; [unrolled: 1-line block ×4, first 2 shown]
	s_waitcnt vmcnt(0)
	v_cvt_f32_i32_sdwa v42, sext(v13) dst_sel:DWORD dst_unused:UNUSED_PAD src0_sel:BYTE_0
	v_cvt_f32_i32_sdwa v43, sext(v13) dst_sel:DWORD dst_unused:UNUSED_PAD src0_sel:BYTE_1
	v_cvt_f32_i32_sdwa v44, sext(v13) dst_sel:DWORD dst_unused:UNUSED_PAD src0_sel:BYTE_2
	v_cvt_f32_i32_sdwa v30, sext(v13) dst_sel:DWORD dst_unused:UNUSED_PAD src0_sel:BYTE_3
	v_fmac_f32_e32 v24, v15, v42
	v_fmac_f32_e32 v25, v33, v42
	;; [unrolled: 1-line block ×12, first 2 shown]
	v_pk_fma_f32 v[24:25], v[26:27], v[30:31], v[24:25] op_sel_hi:[1,0,1]
	v_pk_fma_f32 v[22:23], v[28:29], v[30:31], v[22:23] op_sel_hi:[1,0,1]
	s_andn2_b64 exec, exec, s[18:19]
	s_cbranch_execnz .LBB84_17
; %bb.18:
	s_or_b64 exec, exec, s[18:19]
.LBB84_19:
	s_or_b64 exec, exec, s[10:11]
	s_mov_b64 s[10:11], 0xbf
	v_cmp_lt_u64_e32 vcc, s[10:11], v[0:1]
	s_and_saveexec_b64 s[10:11], vcc
	s_cbranch_execz .LBB84_23
; %bb.20:
	v_lshl_add_u64 v[0:1], v[6:7], 2, s[8:9]
	s_mov_b64 s[18:19], 0x200
	v_lshl_add_u64 v[10:11], v[0:1], 0, s[18:19]
	s_mov_b64 s[18:19], 0
	s_mov_b64 s[20:21], 0x100
	;; [unrolled: 1-line block ×4, first 2 shown]
.LBB84_21:                              ; =>This Inner Loop Header: Depth=1
	global_load_dword v13, v[10:11], off offset:-512
	global_load_dwordx4 v[0:3], v[8:9], off
	global_load_dword v15, v[10:11], off offset:-256
	global_load_dword v38, v[10:11], off
	global_load_dword v39, v[10:11], off offset:256
	global_load_dwordx4 v[26:29], v[8:9], off offset:3072
	global_load_dwordx4 v[30:33], v[8:9], off offset:1024
	;; [unrolled: 1-line block ×3, first 2 shown]
	v_lshl_add_u64 v[6:7], v[6:7], 0, s[20:21]
	v_cmp_ge_i64_e32 vcc, v[6:7], v[18:19]
	v_lshl_add_u64 v[10:11], v[10:11], 0, s[22:23]
	v_lshl_add_u64 v[8:9], v[8:9], 0, s[24:25]
	s_or_b64 s[18:19], vcc, s[18:19]
	s_waitcnt vmcnt(7)
	v_subrev_u32_e32 v13, s16, v13
	v_lshlrev_b32_e32 v52, 2, v13
	s_waitcnt vmcnt(5)
	v_subrev_u32_e32 v15, s16, v15
	s_waitcnt vmcnt(4)
	v_subrev_u32_e32 v53, s16, v38
	;; [unrolled: 2-line block ×3, first 2 shown]
	v_lshlrev_b32_e32 v54, 2, v15
	v_lshlrev_b32_e32 v56, 2, v53
	;; [unrolled: 1-line block ×3, first 2 shown]
	v_ashrrev_i32_e32 v53, 31, v52
	v_ashrrev_i32_e32 v55, 31, v54
	;; [unrolled: 1-line block ×4, first 2 shown]
	s_waitcnt lgkmcnt(0)
	v_lshl_add_u64 v[52:53], s[4:5], 0, v[52:53]
	v_lshl_add_u64 v[54:55], s[4:5], 0, v[54:55]
	;; [unrolled: 1-line block ×4, first 2 shown]
	global_load_dword v13, v[52:53], off
	global_load_dword v15, v[54:55], off
	;; [unrolled: 1-line block ×4, first 2 shown]
	v_cvt_f32_i32_sdwa v75, sext(v0) dst_sel:DWORD dst_unused:UNUSED_PAD src0_sel:BYTE_0
	v_cvt_f32_i32_sdwa v81, sext(v1) dst_sel:DWORD dst_unused:UNUSED_PAD src0_sel:BYTE_0
	;; [unrolled: 1-line block ×4, first 2 shown]
	v_cvt_f32_i32_sdwa v77, sext(v0) dst_sel:DWORD dst_unused:UNUSED_PAD src0_sel:BYTE_1
	v_cvt_f32_i32_sdwa v83, sext(v1) dst_sel:DWORD dst_unused:UNUSED_PAD src0_sel:BYTE_1
	v_cvt_f32_i32_sdwa v87, sext(v2) dst_sel:DWORD dst_unused:UNUSED_PAD src0_sel:BYTE_1
	v_cvt_f32_i32_sdwa v91, sext(v3) dst_sel:DWORD dst_unused:UNUSED_PAD src0_sel:BYTE_1
	v_cvt_f32_i32_sdwa v79, sext(v0) dst_sel:DWORD dst_unused:UNUSED_PAD src0_sel:BYTE_2
	v_cvt_f32_i32_sdwa v85, sext(v1) dst_sel:DWORD dst_unused:UNUSED_PAD src0_sel:BYTE_2
	;; [unrolled: 1-line block ×4, first 2 shown]
	v_cvt_f32_i32_sdwa v0, sext(v0) dst_sel:DWORD dst_unused:UNUSED_PAD src0_sel:BYTE_3
	v_cvt_f32_i32_sdwa v1, sext(v1) dst_sel:DWORD dst_unused:UNUSED_PAD src0_sel:BYTE_3
	;; [unrolled: 1-line block ×4, first 2 shown]
	s_waitcnt vmcnt(5)
	v_cvt_f32_i32_sdwa v41, sext(v31) dst_sel:DWORD dst_unused:UNUSED_PAD src0_sel:BYTE_0
	v_cvt_f32_i32_sdwa v40, sext(v30) dst_sel:DWORD dst_unused:UNUSED_PAD src0_sel:BYTE_0
	;; [unrolled: 1-line block ×4, first 2 shown]
	v_cvt_f32_i32_sdwa v43, sext(v31) dst_sel:DWORD dst_unused:UNUSED_PAD src0_sel:BYTE_1
	v_cvt_f32_i32_sdwa v42, sext(v30) dst_sel:DWORD dst_unused:UNUSED_PAD src0_sel:BYTE_1
	;; [unrolled: 1-line block ×4, first 2 shown]
	v_cvt_f32_i32_sdwa v45, sext(v31) dst_sel:DWORD dst_unused:UNUSED_PAD src0_sel:BYTE_2
	v_cvt_f32_i32_sdwa v44, sext(v30) dst_sel:DWORD dst_unused:UNUSED_PAD src0_sel:BYTE_2
	;; [unrolled: 1-line block ×4, first 2 shown]
	v_cvt_f32_i32_sdwa v31, sext(v31) dst_sel:DWORD dst_unused:UNUSED_PAD src0_sel:BYTE_3
	v_cvt_f32_i32_sdwa v30, sext(v30) dst_sel:DWORD dst_unused:UNUSED_PAD src0_sel:BYTE_3
	;; [unrolled: 1-line block ×4, first 2 shown]
	s_waitcnt vmcnt(4)
	v_cvt_f32_i32_sdwa v47, sext(v35) dst_sel:DWORD dst_unused:UNUSED_PAD src0_sel:BYTE_0
	v_cvt_f32_i32_sdwa v46, sext(v34) dst_sel:DWORD dst_unused:UNUSED_PAD src0_sel:BYTE_0
	;; [unrolled: 1-line block ×4, first 2 shown]
	v_cvt_f32_i32_sdwa v49, sext(v35) dst_sel:DWORD dst_unused:UNUSED_PAD src0_sel:BYTE_1
	v_cvt_f32_i32_sdwa v48, sext(v34) dst_sel:DWORD dst_unused:UNUSED_PAD src0_sel:BYTE_1
	;; [unrolled: 1-line block ×4, first 2 shown]
	v_cvt_f32_i32_sdwa v51, sext(v35) dst_sel:DWORD dst_unused:UNUSED_PAD src0_sel:BYTE_2
	v_cvt_f32_i32_sdwa v50, sext(v34) dst_sel:DWORD dst_unused:UNUSED_PAD src0_sel:BYTE_2
	v_cvt_f32_i32_sdwa v69, sext(v37) dst_sel:DWORD dst_unused:UNUSED_PAD src0_sel:BYTE_2
	v_cvt_f32_i32_sdwa v68, sext(v36) dst_sel:DWORD dst_unused:UNUSED_PAD src0_sel:BYTE_2
	v_cvt_f32_i32_sdwa v35, sext(v35) dst_sel:DWORD dst_unused:UNUSED_PAD src0_sel:BYTE_3
	v_cvt_f32_i32_sdwa v34, sext(v34) dst_sel:DWORD dst_unused:UNUSED_PAD src0_sel:BYTE_3
	;; [unrolled: 1-line block ×4, first 2 shown]
	v_cvt_f32_i32_sdwa v53, sext(v27) dst_sel:DWORD dst_unused:UNUSED_PAD src0_sel:BYTE_0
	v_cvt_f32_i32_sdwa v52, sext(v26) dst_sel:DWORD dst_unused:UNUSED_PAD src0_sel:BYTE_0
	;; [unrolled: 1-line block ×4, first 2 shown]
	v_cvt_f32_i32_sdwa v55, sext(v27) dst_sel:DWORD dst_unused:UNUSED_PAD src0_sel:BYTE_1
	v_cvt_f32_i32_sdwa v54, sext(v26) dst_sel:DWORD dst_unused:UNUSED_PAD src0_sel:BYTE_1
	;; [unrolled: 1-line block ×4, first 2 shown]
	v_cvt_f32_i32_sdwa v38, sext(v26) dst_sel:DWORD dst_unused:UNUSED_PAD src0_sel:BYTE_2
	v_cvt_f32_i32_sdwa v39, sext(v27) dst_sel:DWORD dst_unused:UNUSED_PAD src0_sel:BYTE_2
	;; [unrolled: 1-line block ×4, first 2 shown]
	v_cvt_f32_i32_sdwa v27, sext(v27) dst_sel:DWORD dst_unused:UNUSED_PAD src0_sel:BYTE_3
	v_cvt_f32_i32_sdwa v26, sext(v26) dst_sel:DWORD dst_unused:UNUSED_PAD src0_sel:BYTE_3
	;; [unrolled: 1-line block ×4, first 2 shown]
	s_waitcnt vmcnt(3)
	v_cvt_f32_i32_sdwa v92, sext(v13) dst_sel:DWORD dst_unused:UNUSED_PAD src0_sel:BYTE_0
	v_cvt_f32_i32_sdwa v94, sext(v13) dst_sel:DWORD dst_unused:UNUSED_PAD src0_sel:BYTE_1
	v_cvt_f32_i32_sdwa v97, sext(v13) dst_sel:DWORD dst_unused:UNUSED_PAD src0_sel:BYTE_2
	v_cvt_f32_i32_sdwa v74, sext(v13) dst_sel:DWORD dst_unused:UNUSED_PAD src0_sel:BYTE_3
	s_waitcnt vmcnt(2)
	v_cvt_f32_i32_sdwa v76, sext(v15) dst_sel:DWORD dst_unused:UNUSED_PAD src0_sel:BYTE_0
	v_fmac_f32_e32 v24, v75, v92
	v_fmac_f32_e32 v25, v81, v92
	;; [unrolled: 1-line block ×4, first 2 shown]
	v_cvt_f32_i32_sdwa v78, sext(v15) dst_sel:DWORD dst_unused:UNUSED_PAD src0_sel:BYTE_1
	v_fmac_f32_e32 v24, v77, v94
	v_fmac_f32_e32 v25, v83, v94
	;; [unrolled: 1-line block ×4, first 2 shown]
	v_cvt_f32_i32_sdwa v80, sext(v15) dst_sel:DWORD dst_unused:UNUSED_PAD src0_sel:BYTE_2
	v_fmac_f32_e32 v24, v79, v97
	v_fmac_f32_e32 v25, v85, v97
	;; [unrolled: 1-line block ×4, first 2 shown]
	v_cvt_f32_i32_sdwa v82, sext(v15) dst_sel:DWORD dst_unused:UNUSED_PAD src0_sel:BYTE_3
	v_pk_fma_f32 v[0:1], v[0:1], v[74:75], v[24:25] op_sel_hi:[1,0,1]
	v_pk_fma_f32 v[2:3], v[2:3], v[74:75], v[22:23] op_sel_hi:[1,0,1]
	s_waitcnt vmcnt(1)
	v_cvt_f32_i32_sdwa v84, sext(v90) dst_sel:DWORD dst_unused:UNUSED_PAD src0_sel:BYTE_0
	v_pk_fma_f32 v[0:1], v[40:41], v[76:77], v[0:1] op_sel_hi:[1,0,1]
	v_pk_fma_f32 v[2:3], v[58:59], v[76:77], v[2:3] op_sel_hi:[1,0,1]
	v_cvt_f32_i32_sdwa v86, sext(v90) dst_sel:DWORD dst_unused:UNUSED_PAD src0_sel:BYTE_1
	v_pk_fma_f32 v[0:1], v[42:43], v[78:79], v[0:1] op_sel_hi:[1,0,1]
	v_pk_fma_f32 v[2:3], v[60:61], v[78:79], v[2:3] op_sel_hi:[1,0,1]
	v_cvt_f32_i32_sdwa v88, sext(v90) dst_sel:DWORD dst_unused:UNUSED_PAD src0_sel:BYTE_2
	v_pk_fma_f32 v[0:1], v[44:45], v[80:81], v[0:1] op_sel_hi:[1,0,1]
	v_pk_fma_f32 v[2:3], v[62:63], v[80:81], v[2:3] op_sel_hi:[1,0,1]
	v_cvt_f32_i32_sdwa v90, sext(v90) dst_sel:DWORD dst_unused:UNUSED_PAD src0_sel:BYTE_3
	v_pk_fma_f32 v[0:1], v[30:31], v[82:83], v[0:1] op_sel_hi:[1,0,1]
	v_pk_fma_f32 v[2:3], v[32:33], v[82:83], v[2:3] op_sel_hi:[1,0,1]
	s_waitcnt vmcnt(0)
	v_cvt_f32_i32_sdwa v92, sext(v95) dst_sel:DWORD dst_unused:UNUSED_PAD src0_sel:BYTE_0
	v_pk_fma_f32 v[0:1], v[46:47], v[84:85], v[0:1] op_sel_hi:[1,0,1]
	v_pk_fma_f32 v[2:3], v[64:65], v[84:85], v[2:3] op_sel_hi:[1,0,1]
	v_cvt_f32_i32_sdwa v94, sext(v95) dst_sel:DWORD dst_unused:UNUSED_PAD src0_sel:BYTE_1
	v_pk_fma_f32 v[0:1], v[48:49], v[86:87], v[0:1] op_sel_hi:[1,0,1]
	v_pk_fma_f32 v[2:3], v[66:67], v[86:87], v[2:3] op_sel_hi:[1,0,1]
	v_cvt_f32_i32_sdwa v96, sext(v95) dst_sel:DWORD dst_unused:UNUSED_PAD src0_sel:BYTE_2
	v_pk_fma_f32 v[0:1], v[50:51], v[88:89], v[0:1] op_sel_hi:[1,0,1]
	v_pk_fma_f32 v[2:3], v[68:69], v[88:89], v[2:3] op_sel_hi:[1,0,1]
	v_cvt_f32_i32_sdwa v98, sext(v95) dst_sel:DWORD dst_unused:UNUSED_PAD src0_sel:BYTE_3
	v_pk_fma_f32 v[0:1], v[34:35], v[90:91], v[0:1] op_sel_hi:[1,0,1]
	v_pk_fma_f32 v[2:3], v[36:37], v[90:91], v[2:3] op_sel_hi:[1,0,1]
	;; [unrolled: 1-line block ×10, first 2 shown]
	s_andn2_b64 exec, exec, s[18:19]
	s_cbranch_execnz .LBB84_21
; %bb.22:
	s_or_b64 exec, exec, s[18:19]
.LBB84_23:
	s_or_b64 exec, exec, s[10:11]
	v_mov_b32_e32 v15, v23
.LBB84_24:
	s_or_b64 exec, exec, s[6:7]
	v_mov_b32_e32 v23, v15
	s_cbranch_execz .LBB84_26
	s_branch .LBB84_37
.LBB84_25:
                                        ; implicit-def: $vgpr23
                                        ; implicit-def: $vgpr25
.LBB84_26:
	v_mov_b32_e32 v23, 0
	v_mov_b32_e32 v22, 0
	;; [unrolled: 1-line block ×4, first 2 shown]
	s_and_saveexec_b64 s[6:7], s[2:3]
	s_cbranch_execz .LBB84_36
; %bb.27:
	v_or_b32_e32 v0, 64, v14
	v_subrev_co_u32_e32 v0, vcc, s16, v0
	v_not_b32_e32 v2, v4
	s_nop 0
	v_subb_co_u32_e64 v1, s[2:3], 0, 0, vcc
	v_lshl_add_u64 v[0:1], v[0:1], 0, v[4:5]
	v_cmp_gt_i64_e32 vcc, v[0:1], v[18:19]
	v_not_b32_e32 v3, v5
	v_mov_b32_e32 v22, 0
	v_cndmask_b32_e32 v1, v19, v1, vcc
	v_cndmask_b32_e32 v0, v18, v0, vcc
	v_sub_co_u32_e32 v4, vcc, s16, v14
	v_mov_b32_e32 v23, v22
	s_nop 0
	v_subb_co_u32_e64 v5, s[2:3], 0, 0, vcc
	v_lshl_add_u64 v[2:3], v[4:5], 0, v[2:3]
	v_lshl_add_u64 v[0:1], v[2:3], 0, v[0:1]
	v_and_b32_e32 v2, 0xc0, v0
	v_mov_b32_e32 v3, v22
	s_mov_b64 s[2:3], 0xc0
	v_cmp_ne_u64_e32 vcc, s[2:3], v[2:3]
	v_mov_b64_e32 v[24:25], v[22:23]
	s_and_saveexec_b64 s[2:3], vcc
	s_cbranch_execz .LBB84_31
; %bb.28:
	v_lshrrev_b32_e32 v2, 6, v0
	v_add_u32_e32 v2, 1, v2
	v_and_b32_e32 v4, 3, v2
	v_sub_co_u32_e32 v4, vcc, 0, v4
	v_lshl_add_u64 v[2:3], v[16:17], 2, s[8:9]
	s_nop 0
	v_subb_co_u32_e64 v5, s[18:19], 0, 0, vcc
	s_mov_b64 s[10:11], 0
	s_mov_b64 s[18:19], 0x400
	;; [unrolled: 1-line block ×3, first 2 shown]
	v_mov_b32_e32 v23, v22
	v_mov_b32_e32 v24, v22
	;; [unrolled: 1-line block ×3, first 2 shown]
.LBB84_29:                              ; =>This Inner Loop Header: Depth=1
	global_load_dword v10, v[2:3], off
	global_load_dwordx4 v[6:9], v[20:21], off
	v_lshl_add_u64 v[4:5], v[4:5], 0, 1
	v_cmp_eq_u64_e32 vcc, 0, v[4:5]
	v_lshl_add_u64 v[20:21], v[20:21], 0, s[18:19]
	v_lshl_add_u64 v[16:17], v[16:17], 0, 64
	v_lshl_add_u64 v[2:3], v[2:3], 0, s[20:21]
	s_or_b64 s[10:11], vcc, s[10:11]
	s_waitcnt vmcnt(1)
	v_subrev_u32_e32 v10, s16, v10
	v_lshlrev_b32_e32 v10, 2, v10
	v_ashrrev_i32_e32 v11, 31, v10
	s_waitcnt lgkmcnt(0)
	v_lshl_add_u64 v[10:11], s[4:5], 0, v[10:11]
	global_load_dword v13, v[10:11], off
	s_waitcnt vmcnt(1)
	v_cvt_f32_i32_sdwa v11, sext(v6) dst_sel:DWORD dst_unused:UNUSED_PAD src0_sel:BYTE_1
	v_cvt_f32_i32_sdwa v10, sext(v6) dst_sel:DWORD dst_unused:UNUSED_PAD src0_sel:BYTE_0
	v_cvt_f32_i32_sdwa v27, sext(v7) dst_sel:DWORD dst_unused:UNUSED_PAD src0_sel:BYTE_1
	v_cvt_f32_i32_sdwa v26, sext(v7) dst_sel:DWORD dst_unused:UNUSED_PAD src0_sel:BYTE_0
	;; [unrolled: 2-line block ×3, first 2 shown]
	v_cvt_f32_i32_sdwa v31, sext(v6) dst_sel:DWORD dst_unused:UNUSED_PAD src0_sel:BYTE_3
	v_cvt_f32_i32_sdwa v30, sext(v6) dst_sel:DWORD dst_unused:UNUSED_PAD src0_sel:BYTE_2
	v_cvt_f32_i32_sdwa v33, sext(v7) dst_sel:DWORD dst_unused:UNUSED_PAD src0_sel:BYTE_3
	v_cvt_f32_i32_sdwa v32, sext(v7) dst_sel:DWORD dst_unused:UNUSED_PAD src0_sel:BYTE_2
	v_cvt_f32_i32_sdwa v7, sext(v8) dst_sel:DWORD dst_unused:UNUSED_PAD src0_sel:BYTE_3
	v_cvt_f32_i32_sdwa v6, sext(v8) dst_sel:DWORD dst_unused:UNUSED_PAD src0_sel:BYTE_2
	v_cvt_f32_i32_sdwa v35, sext(v9) dst_sel:DWORD dst_unused:UNUSED_PAD src0_sel:BYTE_1
	v_cvt_f32_i32_sdwa v34, sext(v9) dst_sel:DWORD dst_unused:UNUSED_PAD src0_sel:BYTE_0
	v_cvt_f32_i32_sdwa v37, sext(v9) dst_sel:DWORD dst_unused:UNUSED_PAD src0_sel:BYTE_3
	v_cvt_f32_i32_sdwa v36, sext(v9) dst_sel:DWORD dst_unused:UNUSED_PAD src0_sel:BYTE_2
	s_waitcnt vmcnt(0)
	v_cvt_f32_i32_sdwa v8, sext(v13) dst_sel:DWORD dst_unused:UNUSED_PAD src0_sel:BYTE_0
	v_cvt_f32_i32_sdwa v38, sext(v13) dst_sel:DWORD dst_unused:UNUSED_PAD src0_sel:BYTE_1
	v_cvt_f32_i32_sdwa v40, sext(v13) dst_sel:DWORD dst_unused:UNUSED_PAD src0_sel:BYTE_2
	v_cvt_f32_i32_sdwa v42, sext(v13) dst_sel:DWORD dst_unused:UNUSED_PAD src0_sel:BYTE_3
	v_pk_fma_f32 v[10:11], v[10:11], v[8:9], v[24:25] op_sel_hi:[1,0,1]
	v_pk_fma_f32 v[8:9], v[30:31], v[8:9], v[22:23] op_sel_hi:[1,0,1]
	;; [unrolled: 1-line block ×8, first 2 shown]
	s_andn2_b64 exec, exec, s[10:11]
	s_cbranch_execnz .LBB84_29
; %bb.30:
	s_or_b64 exec, exec, s[10:11]
.LBB84_31:
	s_or_b64 exec, exec, s[2:3]
	s_mov_b64 s[2:3], 0xbf
	v_cmp_lt_u64_e32 vcc, s[2:3], v[0:1]
	s_and_saveexec_b64 s[2:3], vcc
	s_cbranch_execz .LBB84_35
; %bb.32:
	v_lshl_add_u64 v[0:1], v[16:17], 2, s[8:9]
	s_mov_b64 s[8:9], 0x200
	v_lshl_add_u64 v[26:27], v[0:1], 0, s[8:9]
	s_mov_b64 s[8:9], 0
	s_mov_b64 s[10:11], 0x1000
	;; [unrolled: 1-line block ×4, first 2 shown]
.LBB84_33:                              ; =>This Inner Loop Header: Depth=1
	global_load_dwordx4 v[0:3], v[20:21], off
	global_load_dwordx4 v[4:7], v[20:21], off offset:1024
	global_load_dwordx4 v[8:11], v[20:21], off offset:2048
	global_load_dword v13, v[26:27], off offset:-512
	global_load_dword v15, v[26:27], off offset:-256
	global_load_dword v52, v[26:27], off
	global_load_dword v54, v[26:27], off offset:256
	global_load_dwordx4 v[28:31], v[20:21], off offset:3072
	v_lshl_add_u64 v[16:17], v[16:17], 0, s[18:19]
	v_cmp_ge_i64_e32 vcc, v[16:17], v[18:19]
	v_lshl_add_u64 v[20:21], v[20:21], 0, s[10:11]
	v_lshl_add_u64 v[26:27], v[26:27], 0, s[20:21]
	s_or_b64 s[8:9], vcc, s[8:9]
	s_waitcnt vmcnt(7)
	v_cvt_f32_i32_sdwa v33, sext(v0) dst_sel:DWORD dst_unused:UNUSED_PAD src0_sel:BYTE_1
	v_cvt_f32_i32_sdwa v32, sext(v0) dst_sel:DWORD dst_unused:UNUSED_PAD src0_sel:BYTE_0
	v_cvt_f32_i32_sdwa v35, sext(v1) dst_sel:DWORD dst_unused:UNUSED_PAD src0_sel:BYTE_1
	s_waitcnt vmcnt(4)
	v_subrev_u32_e32 v13, s16, v13
	s_waitcnt vmcnt(3)
	v_subrev_u32_e32 v15, s16, v15
	;; [unrolled: 2-line block ×4, first 2 shown]
	v_lshlrev_b32_e32 v54, 2, v13
	v_lshlrev_b32_e32 v56, 2, v15
	;; [unrolled: 1-line block ×4, first 2 shown]
	v_ashrrev_i32_e32 v55, 31, v54
	v_ashrrev_i32_e32 v57, 31, v56
	v_ashrrev_i32_e32 v59, 31, v58
	v_ashrrev_i32_e32 v61, 31, v60
	s_waitcnt lgkmcnt(0)
	v_lshl_add_u64 v[54:55], s[4:5], 0, v[54:55]
	v_lshl_add_u64 v[56:57], s[4:5], 0, v[56:57]
	;; [unrolled: 1-line block ×4, first 2 shown]
	global_load_dword v13, v[54:55], off
	global_load_dword v15, v[56:57], off
	;; [unrolled: 1-line block ×4, first 2 shown]
	v_cvt_f32_i32_sdwa v34, sext(v1) dst_sel:DWORD dst_unused:UNUSED_PAD src0_sel:BYTE_0
	v_cvt_f32_i32_sdwa v37, sext(v2) dst_sel:DWORD dst_unused:UNUSED_PAD src0_sel:BYTE_1
	v_cvt_f32_i32_sdwa v36, sext(v2) dst_sel:DWORD dst_unused:UNUSED_PAD src0_sel:BYTE_0
	v_cvt_f32_i32_sdwa v39, sext(v0) dst_sel:DWORD dst_unused:UNUSED_PAD src0_sel:BYTE_3
	v_cvt_f32_i32_sdwa v38, sext(v0) dst_sel:DWORD dst_unused:UNUSED_PAD src0_sel:BYTE_2
	v_cvt_f32_i32_sdwa v41, sext(v1) dst_sel:DWORD dst_unused:UNUSED_PAD src0_sel:BYTE_3
	v_cvt_f32_i32_sdwa v40, sext(v1) dst_sel:DWORD dst_unused:UNUSED_PAD src0_sel:BYTE_2
	;; [unrolled: 2-line block ×3, first 2 shown]
	v_cvt_f32_i32_sdwa v43, sext(v3) dst_sel:DWORD dst_unused:UNUSED_PAD src0_sel:BYTE_1
	v_cvt_f32_i32_sdwa v42, sext(v3) dst_sel:DWORD dst_unused:UNUSED_PAD src0_sel:BYTE_0
	v_cvt_f32_i32_sdwa v45, sext(v3) dst_sel:DWORD dst_unused:UNUSED_PAD src0_sel:BYTE_3
	v_cvt_f32_i32_sdwa v44, sext(v3) dst_sel:DWORD dst_unused:UNUSED_PAD src0_sel:BYTE_2
	v_cvt_f32_i32_sdwa v3, sext(v4) dst_sel:DWORD dst_unused:UNUSED_PAD src0_sel:BYTE_1
	v_cvt_f32_i32_sdwa v2, sext(v4) dst_sel:DWORD dst_unused:UNUSED_PAD src0_sel:BYTE_0
	v_cvt_f32_i32_sdwa v47, sext(v5) dst_sel:DWORD dst_unused:UNUSED_PAD src0_sel:BYTE_1
	v_cvt_f32_i32_sdwa v46, sext(v5) dst_sel:DWORD dst_unused:UNUSED_PAD src0_sel:BYTE_0
	v_cvt_f32_i32_sdwa v49, sext(v6) dst_sel:DWORD dst_unused:UNUSED_PAD src0_sel:BYTE_1
	v_cvt_f32_i32_sdwa v48, sext(v6) dst_sel:DWORD dst_unused:UNUSED_PAD src0_sel:BYTE_0
	v_cvt_f32_i32_sdwa v51, sext(v7) dst_sel:DWORD dst_unused:UNUSED_PAD src0_sel:BYTE_1
	v_cvt_f32_i32_sdwa v50, sext(v7) dst_sel:DWORD dst_unused:UNUSED_PAD src0_sel:BYTE_0
	v_cvt_f32_i32_sdwa v53, sext(v8) dst_sel:DWORD dst_unused:UNUSED_PAD src0_sel:BYTE_1
	v_cvt_f32_i32_sdwa v52, sext(v8) dst_sel:DWORD dst_unused:UNUSED_PAD src0_sel:BYTE_0
	v_cvt_f32_i32_sdwa v55, sext(v9) dst_sel:DWORD dst_unused:UNUSED_PAD src0_sel:BYTE_1
	v_cvt_f32_i32_sdwa v54, sext(v9) dst_sel:DWORD dst_unused:UNUSED_PAD src0_sel:BYTE_0
	v_cvt_f32_i32_sdwa v57, sext(v4) dst_sel:DWORD dst_unused:UNUSED_PAD src0_sel:BYTE_3
	v_cvt_f32_i32_sdwa v56, sext(v4) dst_sel:DWORD dst_unused:UNUSED_PAD src0_sel:BYTE_2
	v_cvt_f32_i32_sdwa v59, sext(v5) dst_sel:DWORD dst_unused:UNUSED_PAD src0_sel:BYTE_3
	v_cvt_f32_i32_sdwa v58, sext(v5) dst_sel:DWORD dst_unused:UNUSED_PAD src0_sel:BYTE_2
	v_cvt_f32_i32_sdwa v5, sext(v6) dst_sel:DWORD dst_unused:UNUSED_PAD src0_sel:BYTE_3
	v_cvt_f32_i32_sdwa v4, sext(v6) dst_sel:DWORD dst_unused:UNUSED_PAD src0_sel:BYTE_2
	v_cvt_f32_i32_sdwa v61, sext(v7) dst_sel:DWORD dst_unused:UNUSED_PAD src0_sel:BYTE_3
	v_cvt_f32_i32_sdwa v60, sext(v7) dst_sel:DWORD dst_unused:UNUSED_PAD src0_sel:BYTE_2
	v_cvt_f32_i32_sdwa v7, sext(v10) dst_sel:DWORD dst_unused:UNUSED_PAD src0_sel:BYTE_1
	v_cvt_f32_i32_sdwa v6, sext(v10) dst_sel:DWORD dst_unused:UNUSED_PAD src0_sel:BYTE_0
	v_cvt_f32_i32_sdwa v63, sext(v11) dst_sel:DWORD dst_unused:UNUSED_PAD src0_sel:BYTE_1
	v_cvt_f32_i32_sdwa v62, sext(v11) dst_sel:DWORD dst_unused:UNUSED_PAD src0_sel:BYTE_0
	v_cvt_f32_i32_sdwa v65, sext(v8) dst_sel:DWORD dst_unused:UNUSED_PAD src0_sel:BYTE_3
	v_cvt_f32_i32_sdwa v64, sext(v8) dst_sel:DWORD dst_unused:UNUSED_PAD src0_sel:BYTE_2
	v_cvt_f32_i32_sdwa v67, sext(v9) dst_sel:DWORD dst_unused:UNUSED_PAD src0_sel:BYTE_3
	v_cvt_f32_i32_sdwa v66, sext(v9) dst_sel:DWORD dst_unused:UNUSED_PAD src0_sel:BYTE_2
	;; [unrolled: 2-line block ×4, first 2 shown]
	s_waitcnt vmcnt(4)
	v_cvt_f32_i32_sdwa v11, sext(v28) dst_sel:DWORD dst_unused:UNUSED_PAD src0_sel:BYTE_1
	v_cvt_f32_i32_sdwa v10, sext(v28) dst_sel:DWORD dst_unused:UNUSED_PAD src0_sel:BYTE_0
	v_cvt_f32_i32_sdwa v71, sext(v29) dst_sel:DWORD dst_unused:UNUSED_PAD src0_sel:BYTE_1
	v_cvt_f32_i32_sdwa v70, sext(v29) dst_sel:DWORD dst_unused:UNUSED_PAD src0_sel:BYTE_0
	v_cvt_f32_i32_sdwa v73, sext(v28) dst_sel:DWORD dst_unused:UNUSED_PAD src0_sel:BYTE_3
	v_cvt_f32_i32_sdwa v72, sext(v28) dst_sel:DWORD dst_unused:UNUSED_PAD src0_sel:BYTE_2
	v_cvt_f32_i32_sdwa v75, sext(v29) dst_sel:DWORD dst_unused:UNUSED_PAD src0_sel:BYTE_3
	v_cvt_f32_i32_sdwa v74, sext(v29) dst_sel:DWORD dst_unused:UNUSED_PAD src0_sel:BYTE_2
	v_cvt_f32_i32_sdwa v29, sext(v30) dst_sel:DWORD dst_unused:UNUSED_PAD src0_sel:BYTE_1
	v_cvt_f32_i32_sdwa v28, sext(v30) dst_sel:DWORD dst_unused:UNUSED_PAD src0_sel:BYTE_0
	v_cvt_f32_i32_sdwa v77, sext(v30) dst_sel:DWORD dst_unused:UNUSED_PAD src0_sel:BYTE_3
	v_cvt_f32_i32_sdwa v76, sext(v30) dst_sel:DWORD dst_unused:UNUSED_PAD src0_sel:BYTE_2
	v_cvt_f32_i32_sdwa v79, sext(v31) dst_sel:DWORD dst_unused:UNUSED_PAD src0_sel:BYTE_1
	v_cvt_f32_i32_sdwa v78, sext(v31) dst_sel:DWORD dst_unused:UNUSED_PAD src0_sel:BYTE_0
	v_cvt_f32_i32_sdwa v81, sext(v31) dst_sel:DWORD dst_unused:UNUSED_PAD src0_sel:BYTE_3
	v_cvt_f32_i32_sdwa v80, sext(v31) dst_sel:DWORD dst_unused:UNUSED_PAD src0_sel:BYTE_2
	s_waitcnt vmcnt(3)
	v_cvt_f32_i32_sdwa v30, sext(v13) dst_sel:DWORD dst_unused:UNUSED_PAD src0_sel:BYTE_0
	v_cvt_f32_i32_sdwa v82, sext(v13) dst_sel:DWORD dst_unused:UNUSED_PAD src0_sel:BYTE_1
	v_cvt_f32_i32_sdwa v84, sext(v13) dst_sel:DWORD dst_unused:UNUSED_PAD src0_sel:BYTE_2
	v_cvt_f32_i32_sdwa v86, sext(v13) dst_sel:DWORD dst_unused:UNUSED_PAD src0_sel:BYTE_3
	s_waitcnt vmcnt(2)
	v_cvt_f32_i32_sdwa v88, sext(v15) dst_sel:DWORD dst_unused:UNUSED_PAD src0_sel:BYTE_0
	v_pk_fma_f32 v[24:25], v[32:33], v[30:31], v[24:25] op_sel_hi:[1,0,1]
	v_pk_fma_f32 v[22:23], v[38:39], v[30:31], v[22:23] op_sel_hi:[1,0,1]
	v_cvt_f32_i32_sdwa v90, sext(v15) dst_sel:DWORD dst_unused:UNUSED_PAD src0_sel:BYTE_1
	s_waitcnt vmcnt(1)
	v_pk_fma_f32 v[24:25], v[34:35], v[82:83], v[24:25] op_sel_hi:[1,0,1]
	v_pk_fma_f32 v[22:23], v[40:41], v[82:83], v[22:23] op_sel_hi:[1,0,1]
	v_cvt_f32_i32_sdwa v32, sext(v15) dst_sel:DWORD dst_unused:UNUSED_PAD src0_sel:BYTE_2
	s_waitcnt vmcnt(0)
	v_pk_fma_f32 v[24:25], v[36:37], v[84:85], v[24:25] op_sel_hi:[1,0,1]
	v_pk_fma_f32 v[0:1], v[0:1], v[84:85], v[22:23] op_sel_hi:[1,0,1]
	v_cvt_f32_i32_sdwa v92, sext(v15) dst_sel:DWORD dst_unused:UNUSED_PAD src0_sel:BYTE_3
	v_pk_fma_f32 v[24:25], v[42:43], v[86:87], v[24:25] op_sel_hi:[1,0,1]
	v_pk_fma_f32 v[0:1], v[44:45], v[86:87], v[0:1] op_sel_hi:[1,0,1]
	v_cvt_f32_i32_sdwa v30, sext(v83) dst_sel:DWORD dst_unused:UNUSED_PAD src0_sel:BYTE_0
	v_pk_fma_f32 v[2:3], v[2:3], v[88:89], v[24:25] op_sel_hi:[1,0,1]
	v_pk_fma_f32 v[0:1], v[56:57], v[88:89], v[0:1] op_sel_hi:[1,0,1]
	v_cvt_f32_i32_sdwa v38, sext(v83) dst_sel:DWORD dst_unused:UNUSED_PAD src0_sel:BYTE_1
	v_pk_fma_f32 v[2:3], v[46:47], v[90:91], v[2:3] op_sel_hi:[1,0,1]
	v_pk_fma_f32 v[0:1], v[58:59], v[90:91], v[0:1] op_sel_hi:[1,0,1]
	v_cvt_f32_i32_sdwa v34, sext(v83) dst_sel:DWORD dst_unused:UNUSED_PAD src0_sel:BYTE_2
	v_pk_fma_f32 v[2:3], v[48:49], v[32:33], v[2:3] op_sel_hi:[1,0,1]
	v_pk_fma_f32 v[0:1], v[4:5], v[32:33], v[0:1] op_sel_hi:[1,0,1]
	v_cvt_f32_i32_sdwa v40, sext(v83) dst_sel:DWORD dst_unused:UNUSED_PAD src0_sel:BYTE_3
	v_pk_fma_f32 v[2:3], v[50:51], v[92:93], v[2:3] op_sel_hi:[1,0,1]
	v_pk_fma_f32 v[0:1], v[60:61], v[92:93], v[0:1] op_sel_hi:[1,0,1]
	v_cvt_f32_i32_sdwa v82, sext(v85) dst_sel:DWORD dst_unused:UNUSED_PAD src0_sel:BYTE_0
	v_pk_fma_f32 v[2:3], v[52:53], v[30:31], v[2:3] op_sel_hi:[1,0,1]
	v_pk_fma_f32 v[0:1], v[64:65], v[30:31], v[0:1] op_sel_hi:[1,0,1]
	v_cvt_f32_i32_sdwa v36, sext(v85) dst_sel:DWORD dst_unused:UNUSED_PAD src0_sel:BYTE_1
	v_pk_fma_f32 v[2:3], v[54:55], v[38:39], v[2:3] op_sel_hi:[1,0,1]
	v_pk_fma_f32 v[0:1], v[66:67], v[38:39], v[0:1] op_sel_hi:[1,0,1]
	v_cvt_f32_i32_sdwa v22, sext(v85) dst_sel:DWORD dst_unused:UNUSED_PAD src0_sel:BYTE_2
	v_pk_fma_f32 v[2:3], v[6:7], v[34:35], v[2:3] op_sel_hi:[1,0,1]
	v_pk_fma_f32 v[0:1], v[8:9], v[34:35], v[0:1] op_sel_hi:[1,0,1]
	v_cvt_f32_i32_sdwa v84, sext(v85) dst_sel:DWORD dst_unused:UNUSED_PAD src0_sel:BYTE_3
	v_pk_fma_f32 v[2:3], v[62:63], v[40:41], v[2:3] op_sel_hi:[1,0,1]
	v_pk_fma_f32 v[0:1], v[68:69], v[40:41], v[0:1] op_sel_hi:[1,0,1]
	;; [unrolled: 1-line block ×10, first 2 shown]
	s_andn2_b64 exec, exec, s[8:9]
	s_cbranch_execnz .LBB84_33
; %bb.34:
	s_or_b64 exec, exec, s[8:9]
.LBB84_35:
	s_or_b64 exec, exec, s[2:3]
.LBB84_36:
	s_or_b64 exec, exec, s[6:7]
.LBB84_37:
	v_mov_b32_dpp v0, v24 row_shr:1 row_mask:0xf bank_mask:0xf
	v_mov_b32_dpp v1, v25 row_shr:1 row_mask:0xf bank_mask:0xf
	;; [unrolled: 1-line block ×4, first 2 shown]
	v_pk_add_f32 v[0:1], v[24:25], v[0:1]
	v_pk_add_f32 v[4:5], v[22:23], v[4:5]
	v_cmp_eq_u32_e32 vcc, 63, v14
	v_mov_b32_dpp v2, v0 row_shr:2 row_mask:0xf bank_mask:0xf
	v_mov_b32_dpp v3, v1 row_shr:2 row_mask:0xf bank_mask:0xf
	v_mov_b32_dpp v6, v4 row_shr:2 row_mask:0xf bank_mask:0xf
	v_mov_b32_dpp v7, v5 row_shr:2 row_mask:0xf bank_mask:0xf
	v_pk_add_f32 v[0:1], v[0:1], v[2:3]
	v_pk_add_f32 v[4:5], v[4:5], v[6:7]
	s_nop 0
	v_mov_b32_dpp v2, v0 row_shr:4 row_mask:0xf bank_mask:0xe
	v_mov_b32_dpp v3, v1 row_shr:4 row_mask:0xf bank_mask:0xe
	v_mov_b32_dpp v6, v4 row_shr:4 row_mask:0xf bank_mask:0xe
	v_mov_b32_dpp v7, v5 row_shr:4 row_mask:0xf bank_mask:0xe
	v_pk_add_f32 v[0:1], v[0:1], v[2:3]
	v_pk_add_f32 v[4:5], v[4:5], v[6:7]
	s_nop 0
	;; [unrolled: 7-line block ×3, first 2 shown]
	v_mov_b32_dpp v2, v0 row_bcast:15 row_mask:0xa bank_mask:0xf
	v_mov_b32_dpp v3, v1 row_bcast:15 row_mask:0xa bank_mask:0xf
	;; [unrolled: 1-line block ×4, first 2 shown]
	v_pk_add_f32 v[0:1], v[0:1], v[2:3]
	v_pk_add_f32 v[4:5], v[4:5], v[6:7]
	s_nop 0
	v_mov_b32_dpp v2, v0 row_bcast:31 row_mask:0xc bank_mask:0xf
	v_mov_b32_dpp v3, v1 row_bcast:31 row_mask:0xc bank_mask:0xf
	;; [unrolled: 1-line block ×4, first 2 shown]
	s_and_b64 exec, exec, vcc
	s_cbranch_execz .LBB84_10
; %bb.38:
	s_load_dwordx2 s[0:1], s[0:1], 0x50
	v_cmp_eq_f32_e64 s[2:3], s14, 0
	v_pk_add_f32 v[2:3], v[0:1], v[2:3]
	v_pk_add_f32 v[0:1], v[4:5], v[6:7]
	s_and_b64 vcc, exec, s[2:3]
	v_lshlrev_b32_e32 v4, 2, v12
	s_cbranch_vccz .LBB84_40
; %bb.39:
	v_ashrrev_i32_e32 v5, 31, v4
	s_waitcnt lgkmcnt(0)
	v_lshl_add_u64 v[10:11], v[4:5], 2, s[0:1]
	v_pk_mul_f32 v[6:7], s[12:13], v[2:3] op_sel_hi:[0,1]
	v_pk_mul_f32 v[8:9], s[12:13], v[0:1] op_sel_hi:[0,1]
	global_store_dwordx4 v[10:11], v[6:9], off
	s_cbranch_execnz .LBB84_10
	s_branch .LBB84_41
.LBB84_40:
.LBB84_41:
	v_ashrrev_i32_e32 v5, 31, v4
	s_waitcnt lgkmcnt(0)
	v_lshl_add_u64 v[8:9], v[4:5], 2, s[0:1]
	global_load_dwordx4 v[4:7], v[8:9], off
	v_pk_mul_f32 v[2:3], s[12:13], v[2:3] op_sel_hi:[0,1]
	v_pk_mul_f32 v[10:11], s[12:13], v[0:1] op_sel_hi:[0,1]
	s_waitcnt vmcnt(0)
	v_pk_fma_f32 v[0:1], s[14:15], v[4:5], v[2:3] op_sel_hi:[0,1,1]
	v_pk_fma_f32 v[2:3], s[14:15], v[6:7], v[10:11] op_sel_hi:[0,1,1]
	global_store_dwordx4 v[8:9], v[0:3], off
	s_endpgm
	.section	.rodata,"a",@progbits
	.p2align	6, 0x0
	.amdhsa_kernel _ZN9rocsparseL18bsrxmvn_4x4_kernelILj128ELj64EfliaafEEvT3_20rocsparse_direction_NS_24const_host_device_scalarIT1_EES1_PKS1_PKT2_SA_S7_PKT4_PKT5_S5_PT6_21rocsparse_index_base_b
		.amdhsa_group_segment_fixed_size 0
		.amdhsa_private_segment_fixed_size 0
		.amdhsa_kernarg_size 96
		.amdhsa_user_sgpr_count 2
		.amdhsa_user_sgpr_dispatch_ptr 0
		.amdhsa_user_sgpr_queue_ptr 0
		.amdhsa_user_sgpr_kernarg_segment_ptr 1
		.amdhsa_user_sgpr_dispatch_id 0
		.amdhsa_user_sgpr_kernarg_preload_length 0
		.amdhsa_user_sgpr_kernarg_preload_offset 0
		.amdhsa_user_sgpr_private_segment_size 0
		.amdhsa_uses_dynamic_stack 0
		.amdhsa_enable_private_segment 0
		.amdhsa_system_sgpr_workgroup_id_x 1
		.amdhsa_system_sgpr_workgroup_id_y 0
		.amdhsa_system_sgpr_workgroup_id_z 0
		.amdhsa_system_sgpr_workgroup_info 0
		.amdhsa_system_vgpr_workitem_id 0
		.amdhsa_next_free_vgpr 100
		.amdhsa_next_free_sgpr 26
		.amdhsa_accum_offset 100
		.amdhsa_reserve_vcc 1
		.amdhsa_float_round_mode_32 0
		.amdhsa_float_round_mode_16_64 0
		.amdhsa_float_denorm_mode_32 3
		.amdhsa_float_denorm_mode_16_64 3
		.amdhsa_dx10_clamp 1
		.amdhsa_ieee_mode 1
		.amdhsa_fp16_overflow 0
		.amdhsa_tg_split 0
		.amdhsa_exception_fp_ieee_invalid_op 0
		.amdhsa_exception_fp_denorm_src 0
		.amdhsa_exception_fp_ieee_div_zero 0
		.amdhsa_exception_fp_ieee_overflow 0
		.amdhsa_exception_fp_ieee_underflow 0
		.amdhsa_exception_fp_ieee_inexact 0
		.amdhsa_exception_int_div_zero 0
	.end_amdhsa_kernel
	.section	.text._ZN9rocsparseL18bsrxmvn_4x4_kernelILj128ELj64EfliaafEEvT3_20rocsparse_direction_NS_24const_host_device_scalarIT1_EES1_PKS1_PKT2_SA_S7_PKT4_PKT5_S5_PT6_21rocsparse_index_base_b,"axG",@progbits,_ZN9rocsparseL18bsrxmvn_4x4_kernelILj128ELj64EfliaafEEvT3_20rocsparse_direction_NS_24const_host_device_scalarIT1_EES1_PKS1_PKT2_SA_S7_PKT4_PKT5_S5_PT6_21rocsparse_index_base_b,comdat
.Lfunc_end84:
	.size	_ZN9rocsparseL18bsrxmvn_4x4_kernelILj128ELj64EfliaafEEvT3_20rocsparse_direction_NS_24const_host_device_scalarIT1_EES1_PKS1_PKT2_SA_S7_PKT4_PKT5_S5_PT6_21rocsparse_index_base_b, .Lfunc_end84-_ZN9rocsparseL18bsrxmvn_4x4_kernelILj128ELj64EfliaafEEvT3_20rocsparse_direction_NS_24const_host_device_scalarIT1_EES1_PKS1_PKT2_SA_S7_PKT4_PKT5_S5_PT6_21rocsparse_index_base_b
                                        ; -- End function
	.set _ZN9rocsparseL18bsrxmvn_4x4_kernelILj128ELj64EfliaafEEvT3_20rocsparse_direction_NS_24const_host_device_scalarIT1_EES1_PKS1_PKT2_SA_S7_PKT4_PKT5_S5_PT6_21rocsparse_index_base_b.num_vgpr, 100
	.set _ZN9rocsparseL18bsrxmvn_4x4_kernelILj128ELj64EfliaafEEvT3_20rocsparse_direction_NS_24const_host_device_scalarIT1_EES1_PKS1_PKT2_SA_S7_PKT4_PKT5_S5_PT6_21rocsparse_index_base_b.num_agpr, 0
	.set _ZN9rocsparseL18bsrxmvn_4x4_kernelILj128ELj64EfliaafEEvT3_20rocsparse_direction_NS_24const_host_device_scalarIT1_EES1_PKS1_PKT2_SA_S7_PKT4_PKT5_S5_PT6_21rocsparse_index_base_b.numbered_sgpr, 26
	.set _ZN9rocsparseL18bsrxmvn_4x4_kernelILj128ELj64EfliaafEEvT3_20rocsparse_direction_NS_24const_host_device_scalarIT1_EES1_PKS1_PKT2_SA_S7_PKT4_PKT5_S5_PT6_21rocsparse_index_base_b.num_named_barrier, 0
	.set _ZN9rocsparseL18bsrxmvn_4x4_kernelILj128ELj64EfliaafEEvT3_20rocsparse_direction_NS_24const_host_device_scalarIT1_EES1_PKS1_PKT2_SA_S7_PKT4_PKT5_S5_PT6_21rocsparse_index_base_b.private_seg_size, 0
	.set _ZN9rocsparseL18bsrxmvn_4x4_kernelILj128ELj64EfliaafEEvT3_20rocsparse_direction_NS_24const_host_device_scalarIT1_EES1_PKS1_PKT2_SA_S7_PKT4_PKT5_S5_PT6_21rocsparse_index_base_b.uses_vcc, 1
	.set _ZN9rocsparseL18bsrxmvn_4x4_kernelILj128ELj64EfliaafEEvT3_20rocsparse_direction_NS_24const_host_device_scalarIT1_EES1_PKS1_PKT2_SA_S7_PKT4_PKT5_S5_PT6_21rocsparse_index_base_b.uses_flat_scratch, 0
	.set _ZN9rocsparseL18bsrxmvn_4x4_kernelILj128ELj64EfliaafEEvT3_20rocsparse_direction_NS_24const_host_device_scalarIT1_EES1_PKS1_PKT2_SA_S7_PKT4_PKT5_S5_PT6_21rocsparse_index_base_b.has_dyn_sized_stack, 0
	.set _ZN9rocsparseL18bsrxmvn_4x4_kernelILj128ELj64EfliaafEEvT3_20rocsparse_direction_NS_24const_host_device_scalarIT1_EES1_PKS1_PKT2_SA_S7_PKT4_PKT5_S5_PT6_21rocsparse_index_base_b.has_recursion, 0
	.set _ZN9rocsparseL18bsrxmvn_4x4_kernelILj128ELj64EfliaafEEvT3_20rocsparse_direction_NS_24const_host_device_scalarIT1_EES1_PKS1_PKT2_SA_S7_PKT4_PKT5_S5_PT6_21rocsparse_index_base_b.has_indirect_call, 0
	.section	.AMDGPU.csdata,"",@progbits
; Kernel info:
; codeLenInByte = 4508
; TotalNumSgprs: 32
; NumVgprs: 100
; NumAgprs: 0
; TotalNumVgprs: 100
; ScratchSize: 0
; MemoryBound: 0
; FloatMode: 240
; IeeeMode: 1
; LDSByteSize: 0 bytes/workgroup (compile time only)
; SGPRBlocks: 3
; VGPRBlocks: 12
; NumSGPRsForWavesPerEU: 32
; NumVGPRsForWavesPerEU: 100
; AccumOffset: 100
; Occupancy: 4
; WaveLimiterHint : 1
; COMPUTE_PGM_RSRC2:SCRATCH_EN: 0
; COMPUTE_PGM_RSRC2:USER_SGPR: 2
; COMPUTE_PGM_RSRC2:TRAP_HANDLER: 0
; COMPUTE_PGM_RSRC2:TGID_X_EN: 1
; COMPUTE_PGM_RSRC2:TGID_Y_EN: 0
; COMPUTE_PGM_RSRC2:TGID_Z_EN: 0
; COMPUTE_PGM_RSRC2:TIDIG_COMP_CNT: 0
; COMPUTE_PGM_RSRC3_GFX90A:ACCUM_OFFSET: 24
; COMPUTE_PGM_RSRC3_GFX90A:TG_SPLIT: 0
	.section	.text._ZN9rocsparseL18bsrxmvn_4x4_kernelILj128ELj4EfllaafEEvT3_20rocsparse_direction_NS_24const_host_device_scalarIT1_EES1_PKS1_PKT2_SA_S7_PKT4_PKT5_S5_PT6_21rocsparse_index_base_b,"axG",@progbits,_ZN9rocsparseL18bsrxmvn_4x4_kernelILj128ELj4EfllaafEEvT3_20rocsparse_direction_NS_24const_host_device_scalarIT1_EES1_PKS1_PKT2_SA_S7_PKT4_PKT5_S5_PT6_21rocsparse_index_base_b,comdat
	.globl	_ZN9rocsparseL18bsrxmvn_4x4_kernelILj128ELj4EfllaafEEvT3_20rocsparse_direction_NS_24const_host_device_scalarIT1_EES1_PKS1_PKT2_SA_S7_PKT4_PKT5_S5_PT6_21rocsparse_index_base_b ; -- Begin function _ZN9rocsparseL18bsrxmvn_4x4_kernelILj128ELj4EfllaafEEvT3_20rocsparse_direction_NS_24const_host_device_scalarIT1_EES1_PKS1_PKT2_SA_S7_PKT4_PKT5_S5_PT6_21rocsparse_index_base_b
	.p2align	8
	.type	_ZN9rocsparseL18bsrxmvn_4x4_kernelILj128ELj4EfllaafEEvT3_20rocsparse_direction_NS_24const_host_device_scalarIT1_EES1_PKS1_PKT2_SA_S7_PKT4_PKT5_S5_PT6_21rocsparse_index_base_b,@function
_ZN9rocsparseL18bsrxmvn_4x4_kernelILj128ELj4EfllaafEEvT3_20rocsparse_direction_NS_24const_host_device_scalarIT1_EES1_PKS1_PKT2_SA_S7_PKT4_PKT5_S5_PT6_21rocsparse_index_base_b: ; @_ZN9rocsparseL18bsrxmvn_4x4_kernelILj128ELj4EfllaafEEvT3_20rocsparse_direction_NS_24const_host_device_scalarIT1_EES1_PKS1_PKT2_SA_S7_PKT4_PKT5_S5_PT6_21rocsparse_index_base_b
; %bb.0:
	s_load_dwordx2 s[4:5], s[0:1], 0x60
	s_load_dwordx4 s[12:15], s[0:1], 0x10
	s_load_dwordx2 s[16:17], s[0:1], 0x50
	s_waitcnt lgkmcnt(0)
	s_bitcmp1_b32 s5, 0
	s_cselect_b64 s[8:9], -1, 0
	s_xor_b64 s[6:7], s[8:9], -1
	s_and_b64 vcc, exec, s[8:9]
	s_cbranch_vccnz .LBB85_2
; %bb.1:
	s_load_dword s12, s[12:13], 0x0
.LBB85_2:
	s_andn2_b64 vcc, exec, s[6:7]
	s_cbranch_vccnz .LBB85_4
; %bb.3:
	s_load_dword s16, s[16:17], 0x0
.LBB85_4:
	s_waitcnt lgkmcnt(0)
	v_cmp_neq_f32_e64 s[6:7], s12, 0
	v_cmp_neq_f32_e64 s[8:9], s16, 1.0
	s_or_b64 s[6:7], s[6:7], s[8:9]
	s_andn2_b64 vcc, exec, s[6:7]
	s_cbranch_vccnz .LBB85_10
; %bb.5:
	s_load_dwordx2 s[6:7], s[0:1], 0x20
	v_lshrrev_b32_e32 v1, 2, v0
	v_lshl_or_b32 v2, s2, 5, v1
	v_mov_b32_e32 v3, 0
	s_mov_b64 s[2:3], 0
	s_waitcnt lgkmcnt(0)
	s_cmp_lg_u64 s[6:7], 0
	s_cbranch_scc0 .LBB85_11
; %bb.6:
	v_cmp_gt_i64_e32 vcc, s[14:15], v[2:3]
                                        ; implicit-def: $vgpr12_vgpr13
                                        ; implicit-def: $vgpr14_vgpr15
	s_and_saveexec_b64 s[8:9], vcc
	s_xor_b64 s[8:9], exec, s[8:9]
	s_cbranch_execz .LBB85_8
; %bb.7:
	v_lshl_add_u64 v[4:5], v[2:3], 3, s[6:7]
	global_load_dwordx2 v[4:5], v[4:5], off
	s_mov_b32 s5, 0
	s_mov_b64 s[2:3], exec
	v_mov_b64_e32 v[14:15], s[4:5]
	s_waitcnt vmcnt(0)
	v_subrev_co_u32_e32 v12, vcc, s4, v4
	s_nop 1
	v_subbrev_co_u32_e32 v13, vcc, 0, v5, vcc
.LBB85_8:
	s_or_b64 exec, exec, s[8:9]
.LBB85_9:
	s_and_saveexec_b64 s[4:5], s[2:3]
	s_cbranch_execnz .LBB85_15
.LBB85_10:
	s_endpgm
.LBB85_11:
                                        ; implicit-def: $vgpr12_vgpr13
                                        ; implicit-def: $vgpr14_vgpr15
	s_cbranch_execz .LBB85_9
; %bb.12:
	s_load_dwordx2 s[6:7], s[0:1], 0x0
	s_waitcnt lgkmcnt(0)
	v_cmp_gt_i64_e32 vcc, s[6:7], v[2:3]
	s_and_saveexec_b64 s[6:7], vcc
; %bb.13:
	s_mov_b32 s5, 0
	s_or_b64 s[2:3], s[2:3], exec
; %bb.14:
	s_or_b64 exec, exec, s[6:7]
	v_mov_b64_e32 v[14:15], s[4:5]
	v_mov_b64_e32 v[12:13], v[2:3]
	s_and_saveexec_b64 s[4:5], s[2:3]
	s_cbranch_execz .LBB85_10
.LBB85_15:
	s_load_dwordx8 s[4:11], s[0:1], 0x28
	v_lshlrev_b64 v[2:3], 3, v[12:13]
	s_load_dword s2, s[0:1], 0x8
	v_and_b32_e32 v16, 3, v0
	v_mov_b32_e32 v17, 0
	s_waitcnt lgkmcnt(0)
	v_lshl_add_u64 v[4:5], s[4:5], 0, v[2:3]
	s_cmp_eq_u64 s[6:7], 0
	v_lshl_add_u64 v[2:3], s[6:7], 0, v[2:3]
	global_load_dwordx2 v[8:9], v[4:5], off
	v_lshl_add_u64 v[4:5], v[4:5], 0, 8
	s_cselect_b64 vcc, -1, 0
	v_cndmask_b32_e32 v3, v3, v5, vcc
	v_cndmask_b32_e32 v2, v2, v4, vcc
	global_load_dwordx2 v[2:3], v[2:3], off
	s_load_dwordx2 s[4:5], s[0:1], 0x48
	s_cmp_eq_u32 s2, 1
	s_waitcnt vmcnt(1)
	v_sub_co_u32_e32 v0, vcc, v8, v14
	s_nop 1
	v_subb_co_u32_e32 v1, vcc, v9, v15, vcc
	v_lshl_add_u64 v[18:19], v[0:1], 0, v[16:17]
	s_waitcnt vmcnt(0)
	v_sub_co_u32_e32 v20, vcc, v2, v14
	v_lshl_add_u64 v[22:23], v[18:19], 4, s[10:11]
	s_nop 0
	v_subb_co_u32_e32 v21, vcc, v3, v15, vcc
	v_cmp_lt_i64_e64 s[2:3], v[18:19], v[20:21]
	s_cbranch_scc1 .LBB85_27
; %bb.16:
	v_mov_b32_e32 v26, v17
	v_mov_b32_e32 v25, v17
	;; [unrolled: 1-line block ×3, first 2 shown]
	s_and_saveexec_b64 s[6:7], s[2:3]
	s_cbranch_execz .LBB85_26
; %bb.17:
	v_or_b32_e32 v0, 4, v16
	v_sub_co_u32_e32 v0, vcc, v0, v14
	v_not_b32_e32 v3, v9
	s_nop 0
	v_subb_co_u32_e32 v1, vcc, 0, v15, vcc
	v_lshl_add_u64 v[0:1], v[0:1], 0, v[8:9]
	v_cmp_gt_i64_e32 vcc, v[0:1], v[20:21]
	v_not_b32_e32 v2, v8
	v_mov_b32_e32 v25, 0
	v_cndmask_b32_e32 v1, v21, v1, vcc
	v_cndmask_b32_e32 v0, v20, v0, vcc
	v_sub_co_u32_e32 v4, vcc, v14, v16
	v_mov_b32_e32 v26, v25
	s_nop 0
	v_subbrev_co_u32_e32 v5, vcc, 0, v15, vcc
	v_lshl_add_u64 v[2:3], v[4:5], 0, v[2:3]
	v_lshl_add_u64 v[0:1], v[2:3], 0, v[0:1]
	v_and_b32_e32 v24, 12, v0
	v_cmp_ne_u64_e32 vcc, 12, v[24:25]
	v_mov_b32_e32 v24, v25
	v_mov_b32_e32 v27, v25
	v_mov_b64_e32 v[10:11], v[18:19]
	v_mov_b64_e32 v[28:29], v[22:23]
	s_and_saveexec_b64 s[10:11], vcc
	s_cbranch_execz .LBB85_21
; %bb.18:
	v_lshrrev_b32_e32 v2, 2, v0
	v_add_u32_e32 v2, 1, v2
	v_and_b32_e32 v4, 3, v2
	v_mov_b32_e32 v24, 0
	v_sub_co_u32_e32 v4, vcc, 0, v4
	v_lshl_add_u64 v[2:3], v[18:19], 3, s[8:9]
	s_mov_b64 s[14:15], 0
	v_subb_co_u32_e64 v5, s[18:19], 0, 0, vcc
	v_mov_b64_e32 v[28:29], v[22:23]
	v_mov_b64_e32 v[10:11], v[18:19]
	v_mov_b32_e32 v25, v24
	v_mov_b32_e32 v26, v24
	;; [unrolled: 1-line block ×3, first 2 shown]
.LBB85_19:                              ; =>This Inner Loop Header: Depth=1
	global_load_dwordx2 v[6:7], v[2:3], off
	global_load_dwordx4 v[30:33], v[28:29], off
	v_lshl_add_u64 v[4:5], v[4:5], 0, 1
	v_lshl_add_u64 v[28:29], v[28:29], 0, 64
	;; [unrolled: 1-line block ×4, first 2 shown]
	s_waitcnt vmcnt(1)
	v_sub_co_u32_e32 v6, vcc, v6, v14
	s_nop 1
	v_subb_co_u32_e32 v7, vcc, v7, v15, vcc
	s_waitcnt lgkmcnt(0)
	v_lshl_add_u64 v[6:7], v[6:7], 2, s[4:5]
	global_load_dword v17, v[6:7], off
	s_waitcnt vmcnt(1)
	v_cvt_f32_i32_sdwa v7, sext(v31) dst_sel:DWORD dst_unused:UNUSED_PAD src0_sel:BYTE_0
	v_cvt_f32_i32_sdwa v6, sext(v30) dst_sel:DWORD dst_unused:UNUSED_PAD src0_sel:BYTE_0
	;; [unrolled: 1-line block ×4, first 2 shown]
	v_cvt_f32_i32_sdwa v35, sext(v31) dst_sel:DWORD dst_unused:UNUSED_PAD src0_sel:BYTE_1
	v_cvt_f32_i32_sdwa v34, sext(v30) dst_sel:DWORD dst_unused:UNUSED_PAD src0_sel:BYTE_1
	;; [unrolled: 1-line block ×4, first 2 shown]
	v_cvt_f32_i32_sdwa v37, sext(v31) dst_sel:DWORD dst_unused:UNUSED_PAD src0_sel:BYTE_2
	v_cvt_f32_i32_sdwa v36, sext(v30) dst_sel:DWORD dst_unused:UNUSED_PAD src0_sel:BYTE_2
	;; [unrolled: 1-line block ×4, first 2 shown]
	v_cvt_f32_i32_sdwa v31, sext(v31) dst_sel:DWORD dst_unused:UNUSED_PAD src0_sel:BYTE_3
	v_cvt_f32_i32_sdwa v30, sext(v30) dst_sel:DWORD dst_unused:UNUSED_PAD src0_sel:BYTE_3
	;; [unrolled: 1-line block ×4, first 2 shown]
	v_cmp_eq_u64_e32 vcc, 0, v[4:5]
	s_or_b64 s[14:15], vcc, s[14:15]
	s_waitcnt vmcnt(0)
	v_cvt_f32_i32_sdwa v44, sext(v17) dst_sel:DWORD dst_unused:UNUSED_PAD src0_sel:BYTE_0
	v_cvt_f32_i32_sdwa v46, sext(v17) dst_sel:DWORD dst_unused:UNUSED_PAD src0_sel:BYTE_1
	v_cvt_f32_i32_sdwa v48, sext(v17) dst_sel:DWORD dst_unused:UNUSED_PAD src0_sel:BYTE_2
	v_cvt_f32_i32_sdwa v50, sext(v17) dst_sel:DWORD dst_unused:UNUSED_PAD src0_sel:BYTE_3
	v_pk_fma_f32 v[6:7], v[6:7], v[44:45], v[24:25] op_sel_hi:[1,0,1]
	v_pk_fma_f32 v[24:25], v[38:39], v[44:45], v[26:27] op_sel_hi:[1,0,1]
	;; [unrolled: 1-line block ×8, first 2 shown]
	s_andn2_b64 exec, exec, s[14:15]
	s_cbranch_execnz .LBB85_19
; %bb.20:
	s_or_b64 exec, exec, s[14:15]
.LBB85_21:
	s_or_b64 exec, exec, s[10:11]
	v_cmp_lt_u64_e32 vcc, 11, v[0:1]
	s_and_saveexec_b64 s[10:11], vcc
	s_cbranch_execz .LBB85_25
; %bb.22:
	v_lshl_add_u64 v[0:1], v[10:11], 3, s[8:9]
	v_lshl_add_u64 v[30:31], v[0:1], 0, 64
	s_mov_b64 s[14:15], 0
	s_mov_b64 s[18:19], 0x100
	;; [unrolled: 1-line block ×3, first 2 shown]
.LBB85_23:                              ; =>This Inner Loop Header: Depth=1
	global_load_dwordx2 v[40:41], v[30:31], off offset:-64
	global_load_dwordx2 v[42:43], v[30:31], off offset:-32
	global_load_dwordx2 v[44:45], v[30:31], off
	global_load_dwordx4 v[0:3], v[28:29], off offset:128
	global_load_dwordx4 v[4:7], v[28:29], off
	global_load_dwordx4 v[32:35], v[28:29], off offset:64
	global_load_dwordx2 v[46:47], v[30:31], off offset:32
	global_load_dwordx4 v[36:39], v[28:29], off offset:192
	v_lshl_add_u64 v[10:11], v[10:11], 0, 16
	v_cmp_ge_i64_e32 vcc, v[10:11], v[20:21]
	s_or_b64 s[14:15], vcc, s[14:15]
	v_lshl_add_u64 v[28:29], v[28:29], 0, s[18:19]
	v_lshl_add_u64 v[30:31], v[30:31], 0, s[20:21]
	s_waitcnt vmcnt(7)
	v_sub_co_u32_e32 v40, vcc, v40, v14
	s_nop 1
	v_subb_co_u32_e32 v41, vcc, v41, v15, vcc
	s_waitcnt vmcnt(6)
	v_sub_co_u32_e32 v42, vcc, v42, v14
	s_waitcnt lgkmcnt(0)
	v_lshl_add_u64 v[40:41], v[40:41], 2, s[4:5]
	v_subb_co_u32_e32 v43, vcc, v43, v15, vcc
	s_waitcnt vmcnt(5)
	v_sub_co_u32_e32 v44, vcc, v44, v14
	v_lshl_add_u64 v[42:43], v[42:43], 2, s[4:5]
	s_nop 0
	v_subb_co_u32_e32 v45, vcc, v45, v15, vcc
	s_waitcnt vmcnt(1)
	v_sub_co_u32_e32 v46, vcc, v46, v14
	v_lshl_add_u64 v[44:45], v[44:45], 2, s[4:5]
	s_nop 0
	v_subb_co_u32_e32 v47, vcc, v47, v15, vcc
	v_lshl_add_u64 v[46:47], v[46:47], 2, s[4:5]
	global_load_dword v17, v[40:41], off
	global_load_dword v89, v[42:43], off
	;; [unrolled: 1-line block ×4, first 2 shown]
	v_cvt_f32_i32_sdwa v51, sext(v5) dst_sel:DWORD dst_unused:UNUSED_PAD src0_sel:BYTE_0
	v_cvt_f32_i32_sdwa v50, sext(v4) dst_sel:DWORD dst_unused:UNUSED_PAD src0_sel:BYTE_0
	v_cvt_f32_i32_sdwa v69, sext(v7) dst_sel:DWORD dst_unused:UNUSED_PAD src0_sel:BYTE_0
	v_cvt_f32_i32_sdwa v68, sext(v6) dst_sel:DWORD dst_unused:UNUSED_PAD src0_sel:BYTE_0
	v_cvt_f32_i32_sdwa v53, sext(v5) dst_sel:DWORD dst_unused:UNUSED_PAD src0_sel:BYTE_1
	v_cvt_f32_i32_sdwa v52, sext(v4) dst_sel:DWORD dst_unused:UNUSED_PAD src0_sel:BYTE_1
	v_cvt_f32_i32_sdwa v41, sext(v7) dst_sel:DWORD dst_unused:UNUSED_PAD src0_sel:BYTE_1
	v_cvt_f32_i32_sdwa v40, sext(v6) dst_sel:DWORD dst_unused:UNUSED_PAD src0_sel:BYTE_1
	v_cvt_f32_i32_sdwa v55, sext(v5) dst_sel:DWORD dst_unused:UNUSED_PAD src0_sel:BYTE_2
	v_cvt_f32_i32_sdwa v54, sext(v4) dst_sel:DWORD dst_unused:UNUSED_PAD src0_sel:BYTE_2
	v_cvt_f32_i32_sdwa v43, sext(v7) dst_sel:DWORD dst_unused:UNUSED_PAD src0_sel:BYTE_2
	v_cvt_f32_i32_sdwa v42, sext(v6) dst_sel:DWORD dst_unused:UNUSED_PAD src0_sel:BYTE_2
	v_cvt_f32_i32_sdwa v5, sext(v5) dst_sel:DWORD dst_unused:UNUSED_PAD src0_sel:BYTE_3
	v_cvt_f32_i32_sdwa v4, sext(v4) dst_sel:DWORD dst_unused:UNUSED_PAD src0_sel:BYTE_3
	v_cvt_f32_i32_sdwa v7, sext(v7) dst_sel:DWORD dst_unused:UNUSED_PAD src0_sel:BYTE_3
	v_cvt_f32_i32_sdwa v6, sext(v6) dst_sel:DWORD dst_unused:UNUSED_PAD src0_sel:BYTE_3
	v_cvt_f32_i32_sdwa v57, sext(v33) dst_sel:DWORD dst_unused:UNUSED_PAD src0_sel:BYTE_0
	v_cvt_f32_i32_sdwa v56, sext(v32) dst_sel:DWORD dst_unused:UNUSED_PAD src0_sel:BYTE_0
	v_cvt_f32_i32_sdwa v45, sext(v35) dst_sel:DWORD dst_unused:UNUSED_PAD src0_sel:BYTE_0
	v_cvt_f32_i32_sdwa v44, sext(v34) dst_sel:DWORD dst_unused:UNUSED_PAD src0_sel:BYTE_0
	v_cvt_f32_i32_sdwa v59, sext(v33) dst_sel:DWORD dst_unused:UNUSED_PAD src0_sel:BYTE_1
	v_cvt_f32_i32_sdwa v58, sext(v32) dst_sel:DWORD dst_unused:UNUSED_PAD src0_sel:BYTE_1
	v_cvt_f32_i32_sdwa v47, sext(v35) dst_sel:DWORD dst_unused:UNUSED_PAD src0_sel:BYTE_1
	v_cvt_f32_i32_sdwa v46, sext(v34) dst_sel:DWORD dst_unused:UNUSED_PAD src0_sel:BYTE_1
	v_cvt_f32_i32_sdwa v61, sext(v33) dst_sel:DWORD dst_unused:UNUSED_PAD src0_sel:BYTE_2
	v_cvt_f32_i32_sdwa v60, sext(v32) dst_sel:DWORD dst_unused:UNUSED_PAD src0_sel:BYTE_2
	v_cvt_f32_i32_sdwa v71, sext(v35) dst_sel:DWORD dst_unused:UNUSED_PAD src0_sel:BYTE_2
	v_cvt_f32_i32_sdwa v70, sext(v34) dst_sel:DWORD dst_unused:UNUSED_PAD src0_sel:BYTE_2
	v_cvt_f32_i32_sdwa v33, sext(v33) dst_sel:DWORD dst_unused:UNUSED_PAD src0_sel:BYTE_3
	v_cvt_f32_i32_sdwa v32, sext(v32) dst_sel:DWORD dst_unused:UNUSED_PAD src0_sel:BYTE_3
	v_cvt_f32_i32_sdwa v35, sext(v35) dst_sel:DWORD dst_unused:UNUSED_PAD src0_sel:BYTE_3
	v_cvt_f32_i32_sdwa v34, sext(v34) dst_sel:DWORD dst_unused:UNUSED_PAD src0_sel:BYTE_3
	;; [unrolled: 16-line block ×3, first 2 shown]
	s_waitcnt vmcnt(4)
	v_cvt_f32_i32_sdwa v77, sext(v37) dst_sel:DWORD dst_unused:UNUSED_PAD src0_sel:BYTE_0
	v_cvt_f32_i32_sdwa v76, sext(v36) dst_sel:DWORD dst_unused:UNUSED_PAD src0_sel:BYTE_0
	;; [unrolled: 1-line block ×4, first 2 shown]
	v_cvt_f32_i32_sdwa v79, sext(v37) dst_sel:DWORD dst_unused:UNUSED_PAD src0_sel:BYTE_1
	v_cvt_f32_i32_sdwa v78, sext(v36) dst_sel:DWORD dst_unused:UNUSED_PAD src0_sel:BYTE_1
	;; [unrolled: 1-line block ×4, first 2 shown]
	v_cvt_f32_i32_sdwa v81, sext(v37) dst_sel:DWORD dst_unused:UNUSED_PAD src0_sel:BYTE_2
	v_cvt_f32_i32_sdwa v80, sext(v36) dst_sel:DWORD dst_unused:UNUSED_PAD src0_sel:BYTE_2
	;; [unrolled: 1-line block ×4, first 2 shown]
	v_cvt_f32_i32_sdwa v37, sext(v37) dst_sel:DWORD dst_unused:UNUSED_PAD src0_sel:BYTE_3
	v_cvt_f32_i32_sdwa v36, sext(v36) dst_sel:DWORD dst_unused:UNUSED_PAD src0_sel:BYTE_3
	;; [unrolled: 1-line block ×4, first 2 shown]
	s_waitcnt vmcnt(3)
	v_cvt_f32_i32_sdwa v88, sext(v17) dst_sel:DWORD dst_unused:UNUSED_PAD src0_sel:BYTE_0
	v_cvt_f32_i32_sdwa v90, sext(v17) dst_sel:DWORD dst_unused:UNUSED_PAD src0_sel:BYTE_1
	v_cvt_f32_i32_sdwa v92, sext(v17) dst_sel:DWORD dst_unused:UNUSED_PAD src0_sel:BYTE_2
	v_cvt_f32_i32_sdwa v94, sext(v17) dst_sel:DWORD dst_unused:UNUSED_PAD src0_sel:BYTE_3
	s_waitcnt vmcnt(2)
	v_cvt_f32_i32_sdwa v96, sext(v89) dst_sel:DWORD dst_unused:UNUSED_PAD src0_sel:BYTE_0
	v_pk_fma_f32 v[24:25], v[50:51], v[88:89], v[24:25] op_sel_hi:[1,0,1]
	v_pk_fma_f32 v[26:27], v[68:69], v[88:89], v[26:27] op_sel_hi:[1,0,1]
	v_cvt_f32_i32_sdwa v98, sext(v89) dst_sel:DWORD dst_unused:UNUSED_PAD src0_sel:BYTE_1
	s_waitcnt vmcnt(1)
	v_pk_fma_f32 v[24:25], v[52:53], v[90:91], v[24:25] op_sel_hi:[1,0,1]
	v_pk_fma_f32 v[26:27], v[40:41], v[90:91], v[26:27] op_sel_hi:[1,0,1]
	v_cvt_f32_i32_sdwa v100, sext(v89) dst_sel:DWORD dst_unused:UNUSED_PAD src0_sel:BYTE_2
	s_waitcnt vmcnt(0)
	v_pk_fma_f32 v[24:25], v[54:55], v[92:93], v[24:25] op_sel_hi:[1,0,1]
	v_pk_fma_f32 v[26:27], v[42:43], v[92:93], v[26:27] op_sel_hi:[1,0,1]
	v_cvt_f32_i32_sdwa v102, sext(v89) dst_sel:DWORD dst_unused:UNUSED_PAD src0_sel:BYTE_3
	v_pk_fma_f32 v[4:5], v[4:5], v[94:95], v[24:25] op_sel_hi:[1,0,1]
	v_pk_fma_f32 v[6:7], v[6:7], v[94:95], v[26:27] op_sel_hi:[1,0,1]
	v_cvt_f32_i32_sdwa v104, sext(v91) dst_sel:DWORD dst_unused:UNUSED_PAD src0_sel:BYTE_0
	v_pk_fma_f32 v[4:5], v[56:57], v[96:97], v[4:5] op_sel_hi:[1,0,1]
	v_pk_fma_f32 v[6:7], v[44:45], v[96:97], v[6:7] op_sel_hi:[1,0,1]
	v_cvt_f32_i32_sdwa v106, sext(v91) dst_sel:DWORD dst_unused:UNUSED_PAD src0_sel:BYTE_1
	v_pk_fma_f32 v[4:5], v[58:59], v[98:99], v[4:5] op_sel_hi:[1,0,1]
	v_pk_fma_f32 v[6:7], v[46:47], v[98:99], v[6:7] op_sel_hi:[1,0,1]
	v_cvt_f32_i32_sdwa v108, sext(v91) dst_sel:DWORD dst_unused:UNUSED_PAD src0_sel:BYTE_2
	v_pk_fma_f32 v[4:5], v[60:61], v[100:101], v[4:5] op_sel_hi:[1,0,1]
	v_pk_fma_f32 v[6:7], v[70:71], v[100:101], v[6:7] op_sel_hi:[1,0,1]
	v_cvt_f32_i32_sdwa v110, sext(v91) dst_sel:DWORD dst_unused:UNUSED_PAD src0_sel:BYTE_3
	v_pk_fma_f32 v[4:5], v[32:33], v[102:103], v[4:5] op_sel_hi:[1,0,1]
	v_pk_fma_f32 v[6:7], v[34:35], v[102:103], v[6:7] op_sel_hi:[1,0,1]
	v_cvt_f32_i32_sdwa v112, sext(v93) dst_sel:DWORD dst_unused:UNUSED_PAD src0_sel:BYTE_0
	v_pk_fma_f32 v[4:5], v[62:63], v[104:105], v[4:5] op_sel_hi:[1,0,1]
	v_pk_fma_f32 v[6:7], v[72:73], v[104:105], v[6:7] op_sel_hi:[1,0,1]
	v_cvt_f32_i32_sdwa v114, sext(v93) dst_sel:DWORD dst_unused:UNUSED_PAD src0_sel:BYTE_1
	v_pk_fma_f32 v[4:5], v[64:65], v[106:107], v[4:5] op_sel_hi:[1,0,1]
	v_pk_fma_f32 v[6:7], v[74:75], v[106:107], v[6:7] op_sel_hi:[1,0,1]
	v_cvt_f32_i32_sdwa v116, sext(v93) dst_sel:DWORD dst_unused:UNUSED_PAD src0_sel:BYTE_2
	v_pk_fma_f32 v[4:5], v[48:49], v[108:109], v[4:5] op_sel_hi:[1,0,1]
	v_pk_fma_f32 v[6:7], v[66:67], v[108:109], v[6:7] op_sel_hi:[1,0,1]
	v_cvt_f32_i32_sdwa v118, sext(v93) dst_sel:DWORD dst_unused:UNUSED_PAD src0_sel:BYTE_3
	v_pk_fma_f32 v[0:1], v[0:1], v[110:111], v[4:5] op_sel_hi:[1,0,1]
	v_pk_fma_f32 v[2:3], v[2:3], v[110:111], v[6:7] op_sel_hi:[1,0,1]
	v_pk_fma_f32 v[0:1], v[76:77], v[112:113], v[0:1] op_sel_hi:[1,0,1]
	v_pk_fma_f32 v[2:3], v[82:83], v[112:113], v[2:3] op_sel_hi:[1,0,1]
	v_pk_fma_f32 v[0:1], v[78:79], v[114:115], v[0:1] op_sel_hi:[1,0,1]
	v_pk_fma_f32 v[2:3], v[84:85], v[114:115], v[2:3] op_sel_hi:[1,0,1]
	v_pk_fma_f32 v[0:1], v[80:81], v[116:117], v[0:1] op_sel_hi:[1,0,1]
	v_pk_fma_f32 v[2:3], v[86:87], v[116:117], v[2:3] op_sel_hi:[1,0,1]
	v_pk_fma_f32 v[24:25], v[36:37], v[118:119], v[0:1] op_sel_hi:[1,0,1]
	v_pk_fma_f32 v[26:27], v[38:39], v[118:119], v[2:3] op_sel_hi:[1,0,1]
	s_andn2_b64 exec, exec, s[14:15]
	s_cbranch_execnz .LBB85_23
; %bb.24:
	s_or_b64 exec, exec, s[14:15]
.LBB85_25:
	s_or_b64 exec, exec, s[10:11]
	v_mov_b32_e32 v17, v27
.LBB85_26:
	s_or_b64 exec, exec, s[6:7]
	v_mov_b32_e32 v27, v17
	s_cbranch_execz .LBB85_28
	s_branch .LBB85_39
.LBB85_27:
                                        ; implicit-def: $vgpr27
                                        ; implicit-def: $vgpr25
.LBB85_28:
	v_mov_b32_e32 v27, 0
	v_mov_b32_e32 v26, 0
	;; [unrolled: 1-line block ×4, first 2 shown]
	s_and_saveexec_b64 s[6:7], s[2:3]
	s_cbranch_execz .LBB85_38
; %bb.29:
	v_or_b32_e32 v0, 4, v16
	v_sub_co_u32_e32 v0, vcc, v0, v14
	v_not_b32_e32 v3, v9
	s_nop 0
	v_subb_co_u32_e32 v1, vcc, 0, v15, vcc
	v_lshl_add_u64 v[0:1], v[0:1], 0, v[8:9]
	v_cmp_gt_i64_e32 vcc, v[0:1], v[20:21]
	v_not_b32_e32 v2, v8
	v_mov_b32_e32 v25, 0
	v_cndmask_b32_e32 v1, v21, v1, vcc
	v_cndmask_b32_e32 v0, v20, v0, vcc
	v_sub_co_u32_e32 v4, vcc, v14, v16
	v_mov_b32_e32 v26, v25
	s_nop 0
	v_subbrev_co_u32_e32 v5, vcc, 0, v15, vcc
	v_lshl_add_u64 v[2:3], v[4:5], 0, v[2:3]
	v_lshl_add_u64 v[0:1], v[2:3], 0, v[0:1]
	v_and_b32_e32 v24, 12, v0
	v_cmp_ne_u64_e32 vcc, 12, v[24:25]
	v_mov_b32_e32 v24, v25
	v_mov_b32_e32 v27, v25
	s_and_saveexec_b64 s[2:3], vcc
	s_cbranch_execz .LBB85_33
; %bb.30:
	v_lshrrev_b32_e32 v2, 2, v0
	v_add_u32_e32 v2, 1, v2
	v_and_b32_e32 v4, 3, v2
	v_mov_b32_e32 v24, 0
	v_sub_co_u32_e32 v4, vcc, 0, v4
	v_lshl_add_u64 v[2:3], v[18:19], 3, s[8:9]
	s_mov_b64 s[10:11], 0
	v_subb_co_u32_e64 v5, s[14:15], 0, 0, vcc
	v_mov_b32_e32 v25, v24
	v_mov_b32_e32 v26, v24
	;; [unrolled: 1-line block ×3, first 2 shown]
.LBB85_31:                              ; =>This Inner Loop Header: Depth=1
	global_load_dwordx2 v[10:11], v[2:3], off
	global_load_dwordx4 v[6:9], v[22:23], off
	v_lshl_add_u64 v[4:5], v[4:5], 0, 1
	v_lshl_add_u64 v[22:23], v[22:23], 0, 64
	;; [unrolled: 1-line block ×4, first 2 shown]
	s_waitcnt vmcnt(1)
	v_sub_co_u32_e32 v10, vcc, v10, v14
	s_nop 1
	v_subb_co_u32_e32 v11, vcc, v11, v15, vcc
	s_waitcnt lgkmcnt(0)
	v_lshl_add_u64 v[10:11], v[10:11], 2, s[4:5]
	global_load_dword v17, v[10:11], off
	s_waitcnt vmcnt(1)
	v_cvt_f32_i32_sdwa v11, sext(v6) dst_sel:DWORD dst_unused:UNUSED_PAD src0_sel:BYTE_1
	v_cvt_f32_i32_sdwa v10, sext(v6) dst_sel:DWORD dst_unused:UNUSED_PAD src0_sel:BYTE_0
	v_cvt_f32_i32_sdwa v29, sext(v7) dst_sel:DWORD dst_unused:UNUSED_PAD src0_sel:BYTE_1
	v_cvt_f32_i32_sdwa v28, sext(v7) dst_sel:DWORD dst_unused:UNUSED_PAD src0_sel:BYTE_0
	;; [unrolled: 2-line block ×3, first 2 shown]
	v_cvt_f32_i32_sdwa v35, sext(v6) dst_sel:DWORD dst_unused:UNUSED_PAD src0_sel:BYTE_3
	v_cvt_f32_i32_sdwa v34, sext(v6) dst_sel:DWORD dst_unused:UNUSED_PAD src0_sel:BYTE_2
	v_cvt_f32_i32_sdwa v37, sext(v7) dst_sel:DWORD dst_unused:UNUSED_PAD src0_sel:BYTE_3
	v_cvt_f32_i32_sdwa v36, sext(v7) dst_sel:DWORD dst_unused:UNUSED_PAD src0_sel:BYTE_2
	;; [unrolled: 2-line block ×3, first 2 shown]
	v_cvt_f32_i32_sdwa v33, sext(v9) dst_sel:DWORD dst_unused:UNUSED_PAD src0_sel:BYTE_1
	v_cvt_f32_i32_sdwa v32, sext(v9) dst_sel:DWORD dst_unused:UNUSED_PAD src0_sel:BYTE_0
	v_cvt_f32_i32_sdwa v39, sext(v9) dst_sel:DWORD dst_unused:UNUSED_PAD src0_sel:BYTE_3
	v_cvt_f32_i32_sdwa v38, sext(v9) dst_sel:DWORD dst_unused:UNUSED_PAD src0_sel:BYTE_2
	v_cmp_eq_u64_e32 vcc, 0, v[4:5]
	s_or_b64 s[10:11], vcc, s[10:11]
	s_waitcnt vmcnt(0)
	v_cvt_f32_i32_sdwa v8, sext(v17) dst_sel:DWORD dst_unused:UNUSED_PAD src0_sel:BYTE_0
	v_cvt_f32_i32_sdwa v40, sext(v17) dst_sel:DWORD dst_unused:UNUSED_PAD src0_sel:BYTE_1
	v_cvt_f32_i32_sdwa v42, sext(v17) dst_sel:DWORD dst_unused:UNUSED_PAD src0_sel:BYTE_2
	v_cvt_f32_i32_sdwa v44, sext(v17) dst_sel:DWORD dst_unused:UNUSED_PAD src0_sel:BYTE_3
	v_pk_fma_f32 v[10:11], v[10:11], v[8:9], v[24:25] op_sel_hi:[1,0,1]
	v_pk_fma_f32 v[8:9], v[34:35], v[8:9], v[26:27] op_sel_hi:[1,0,1]
	;; [unrolled: 1-line block ×8, first 2 shown]
	s_andn2_b64 exec, exec, s[10:11]
	s_cbranch_execnz .LBB85_31
; %bb.32:
	s_or_b64 exec, exec, s[10:11]
.LBB85_33:
	s_or_b64 exec, exec, s[2:3]
	v_cmp_lt_u64_e32 vcc, 11, v[0:1]
	s_and_saveexec_b64 s[2:3], vcc
	s_cbranch_execz .LBB85_37
; %bb.34:
	v_lshl_add_u64 v[0:1], v[18:19], 3, s[8:9]
	v_lshl_add_u64 v[28:29], v[0:1], 0, 64
	s_mov_b64 s[8:9], 0
	s_mov_b64 s[10:11], 0x80
	;; [unrolled: 1-line block ×3, first 2 shown]
.LBB85_35:                              ; =>This Inner Loop Header: Depth=1
	global_load_dwordx4 v[0:3], v[22:23], off
	global_load_dwordx4 v[4:7], v[22:23], off offset:64
	global_load_dwordx4 v[8:11], v[22:23], off offset:128
	global_load_dwordx2 v[34:35], v[28:29], off offset:-64
	global_load_dwordx2 v[36:37], v[28:29], off offset:-32
	global_load_dwordx2 v[38:39], v[28:29], off
	global_load_dwordx2 v[40:41], v[28:29], off offset:32
	global_load_dwordx4 v[30:33], v[22:23], off offset:192
	v_lshl_add_u64 v[18:19], v[18:19], 0, 16
	v_cmp_ge_i64_e32 vcc, v[18:19], v[20:21]
	s_or_b64 s[8:9], vcc, s[8:9]
	v_lshl_add_u64 v[28:29], v[28:29], 0, s[10:11]
	v_lshl_add_u64 v[22:23], v[22:23], 0, s[14:15]
	s_waitcnt vmcnt(7)
	v_cvt_f32_i32_sdwa v43, sext(v0) dst_sel:DWORD dst_unused:UNUSED_PAD src0_sel:BYTE_1
	v_cvt_f32_i32_sdwa v42, sext(v0) dst_sel:DWORD dst_unused:UNUSED_PAD src0_sel:BYTE_0
	v_cvt_f32_i32_sdwa v45, sext(v1) dst_sel:DWORD dst_unused:UNUSED_PAD src0_sel:BYTE_1
	s_waitcnt vmcnt(4)
	v_sub_co_u32_e32 v34, vcc, v34, v14
	v_cvt_f32_i32_sdwa v44, sext(v1) dst_sel:DWORD dst_unused:UNUSED_PAD src0_sel:BYTE_0
	s_nop 0
	v_subb_co_u32_e32 v35, vcc, v35, v15, vcc
	s_waitcnt vmcnt(3)
	v_sub_co_u32_e32 v36, vcc, v36, v14
	s_waitcnt lgkmcnt(0)
	v_lshl_add_u64 v[34:35], v[34:35], 2, s[4:5]
	v_subb_co_u32_e32 v37, vcc, v37, v15, vcc
	s_waitcnt vmcnt(2)
	v_sub_co_u32_e32 v38, vcc, v38, v14
	v_lshl_add_u64 v[36:37], v[36:37], 2, s[4:5]
	s_nop 0
	v_subb_co_u32_e32 v39, vcc, v39, v15, vcc
	s_waitcnt vmcnt(1)
	v_sub_co_u32_e32 v40, vcc, v40, v14
	v_lshl_add_u64 v[38:39], v[38:39], 2, s[4:5]
	s_nop 0
	v_subb_co_u32_e32 v41, vcc, v41, v15, vcc
	v_lshl_add_u64 v[40:41], v[40:41], 2, s[4:5]
	global_load_dword v17, v[34:35], off
	global_load_dword v85, v[36:37], off
	;; [unrolled: 1-line block ×4, first 2 shown]
	v_cvt_f32_i32_sdwa v47, sext(v2) dst_sel:DWORD dst_unused:UNUSED_PAD src0_sel:BYTE_1
	v_cvt_f32_i32_sdwa v46, sext(v2) dst_sel:DWORD dst_unused:UNUSED_PAD src0_sel:BYTE_0
	v_cvt_f32_i32_sdwa v49, sext(v3) dst_sel:DWORD dst_unused:UNUSED_PAD src0_sel:BYTE_1
	v_cvt_f32_i32_sdwa v48, sext(v3) dst_sel:DWORD dst_unused:UNUSED_PAD src0_sel:BYTE_0
	v_cvt_f32_i32_sdwa v51, sext(v4) dst_sel:DWORD dst_unused:UNUSED_PAD src0_sel:BYTE_1
	v_cvt_f32_i32_sdwa v50, sext(v4) dst_sel:DWORD dst_unused:UNUSED_PAD src0_sel:BYTE_0
	v_cvt_f32_i32_sdwa v53, sext(v5) dst_sel:DWORD dst_unused:UNUSED_PAD src0_sel:BYTE_1
	v_cvt_f32_i32_sdwa v52, sext(v5) dst_sel:DWORD dst_unused:UNUSED_PAD src0_sel:BYTE_0
	v_cvt_f32_i32_sdwa v55, sext(v6) dst_sel:DWORD dst_unused:UNUSED_PAD src0_sel:BYTE_1
	v_cvt_f32_i32_sdwa v54, sext(v6) dst_sel:DWORD dst_unused:UNUSED_PAD src0_sel:BYTE_0
	v_cvt_f32_i32_sdwa v57, sext(v7) dst_sel:DWORD dst_unused:UNUSED_PAD src0_sel:BYTE_1
	v_cvt_f32_i32_sdwa v56, sext(v7) dst_sel:DWORD dst_unused:UNUSED_PAD src0_sel:BYTE_0
	v_cvt_f32_i32_sdwa v59, sext(v8) dst_sel:DWORD dst_unused:UNUSED_PAD src0_sel:BYTE_1
	v_cvt_f32_i32_sdwa v58, sext(v8) dst_sel:DWORD dst_unused:UNUSED_PAD src0_sel:BYTE_0
	v_cvt_f32_i32_sdwa v61, sext(v0) dst_sel:DWORD dst_unused:UNUSED_PAD src0_sel:BYTE_3
	v_cvt_f32_i32_sdwa v60, sext(v0) dst_sel:DWORD dst_unused:UNUSED_PAD src0_sel:BYTE_2
	v_cvt_f32_i32_sdwa v63, sext(v1) dst_sel:DWORD dst_unused:UNUSED_PAD src0_sel:BYTE_3
	v_cvt_f32_i32_sdwa v62, sext(v1) dst_sel:DWORD dst_unused:UNUSED_PAD src0_sel:BYTE_2
	;; [unrolled: 2-line block ×8, first 2 shown]
	v_cvt_f32_i32_sdwa v7, sext(v9) dst_sel:DWORD dst_unused:UNUSED_PAD src0_sel:BYTE_1
	v_cvt_f32_i32_sdwa v6, sext(v9) dst_sel:DWORD dst_unused:UNUSED_PAD src0_sel:BYTE_0
	v_cvt_f32_i32_sdwa v39, sext(v8) dst_sel:DWORD dst_unused:UNUSED_PAD src0_sel:BYTE_3
	v_cvt_f32_i32_sdwa v38, sext(v8) dst_sel:DWORD dst_unused:UNUSED_PAD src0_sel:BYTE_2
	v_cvt_f32_i32_sdwa v41, sext(v9) dst_sel:DWORD dst_unused:UNUSED_PAD src0_sel:BYTE_3
	v_cvt_f32_i32_sdwa v40, sext(v9) dst_sel:DWORD dst_unused:UNUSED_PAD src0_sel:BYTE_2
	v_cvt_f32_i32_sdwa v9, sext(v10) dst_sel:DWORD dst_unused:UNUSED_PAD src0_sel:BYTE_1
	v_cvt_f32_i32_sdwa v8, sext(v10) dst_sel:DWORD dst_unused:UNUSED_PAD src0_sel:BYTE_0
	v_cvt_f32_i32_sdwa v67, sext(v10) dst_sel:DWORD dst_unused:UNUSED_PAD src0_sel:BYTE_3
	v_cvt_f32_i32_sdwa v66, sext(v10) dst_sel:DWORD dst_unused:UNUSED_PAD src0_sel:BYTE_2
	v_cvt_f32_i32_sdwa v69, sext(v11) dst_sel:DWORD dst_unused:UNUSED_PAD src0_sel:BYTE_1
	v_cvt_f32_i32_sdwa v68, sext(v11) dst_sel:DWORD dst_unused:UNUSED_PAD src0_sel:BYTE_0
	v_cvt_f32_i32_sdwa v71, sext(v11) dst_sel:DWORD dst_unused:UNUSED_PAD src0_sel:BYTE_3
	v_cvt_f32_i32_sdwa v70, sext(v11) dst_sel:DWORD dst_unused:UNUSED_PAD src0_sel:BYTE_2
	s_waitcnt vmcnt(4)
	v_cvt_f32_i32_sdwa v11, sext(v30) dst_sel:DWORD dst_unused:UNUSED_PAD src0_sel:BYTE_1
	v_cvt_f32_i32_sdwa v10, sext(v30) dst_sel:DWORD dst_unused:UNUSED_PAD src0_sel:BYTE_0
	v_cvt_f32_i32_sdwa v73, sext(v31) dst_sel:DWORD dst_unused:UNUSED_PAD src0_sel:BYTE_1
	v_cvt_f32_i32_sdwa v72, sext(v31) dst_sel:DWORD dst_unused:UNUSED_PAD src0_sel:BYTE_0
	;; [unrolled: 2-line block ×3, first 2 shown]
	v_cvt_f32_i32_sdwa v79, sext(v30) dst_sel:DWORD dst_unused:UNUSED_PAD src0_sel:BYTE_3
	v_cvt_f32_i32_sdwa v78, sext(v30) dst_sel:DWORD dst_unused:UNUSED_PAD src0_sel:BYTE_2
	v_cvt_f32_i32_sdwa v81, sext(v31) dst_sel:DWORD dst_unused:UNUSED_PAD src0_sel:BYTE_3
	v_cvt_f32_i32_sdwa v80, sext(v31) dst_sel:DWORD dst_unused:UNUSED_PAD src0_sel:BYTE_2
	;; [unrolled: 2-line block ×3, first 2 shown]
	v_cvt_f32_i32_sdwa v77, sext(v33) dst_sel:DWORD dst_unused:UNUSED_PAD src0_sel:BYTE_1
	v_cvt_f32_i32_sdwa v76, sext(v33) dst_sel:DWORD dst_unused:UNUSED_PAD src0_sel:BYTE_0
	v_cvt_f32_i32_sdwa v83, sext(v33) dst_sel:DWORD dst_unused:UNUSED_PAD src0_sel:BYTE_3
	v_cvt_f32_i32_sdwa v82, sext(v33) dst_sel:DWORD dst_unused:UNUSED_PAD src0_sel:BYTE_2
	s_waitcnt vmcnt(3)
	v_cvt_f32_i32_sdwa v32, sext(v17) dst_sel:DWORD dst_unused:UNUSED_PAD src0_sel:BYTE_0
	v_cvt_f32_i32_sdwa v84, sext(v17) dst_sel:DWORD dst_unused:UNUSED_PAD src0_sel:BYTE_1
	v_cvt_f32_i32_sdwa v86, sext(v17) dst_sel:DWORD dst_unused:UNUSED_PAD src0_sel:BYTE_2
	v_cvt_f32_i32_sdwa v88, sext(v17) dst_sel:DWORD dst_unused:UNUSED_PAD src0_sel:BYTE_3
	s_waitcnt vmcnt(2)
	v_cvt_f32_i32_sdwa v90, sext(v85) dst_sel:DWORD dst_unused:UNUSED_PAD src0_sel:BYTE_0
	v_pk_fma_f32 v[24:25], v[42:43], v[32:33], v[24:25] op_sel_hi:[1,0,1]
	v_pk_fma_f32 v[26:27], v[60:61], v[32:33], v[26:27] op_sel_hi:[1,0,1]
	v_cvt_f32_i32_sdwa v92, sext(v85) dst_sel:DWORD dst_unused:UNUSED_PAD src0_sel:BYTE_1
	v_pk_fma_f32 v[24:25], v[44:45], v[84:85], v[24:25] op_sel_hi:[1,0,1]
	v_pk_fma_f32 v[26:27], v[62:63], v[84:85], v[26:27] op_sel_hi:[1,0,1]
	v_cvt_f32_i32_sdwa v94, sext(v85) dst_sel:DWORD dst_unused:UNUSED_PAD src0_sel:BYTE_2
	s_waitcnt vmcnt(1)
	v_pk_fma_f32 v[24:25], v[46:47], v[86:87], v[24:25] op_sel_hi:[1,0,1]
	v_pk_fma_f32 v[0:1], v[0:1], v[86:87], v[26:27] op_sel_hi:[1,0,1]
	v_cvt_f32_i32_sdwa v96, sext(v85) dst_sel:DWORD dst_unused:UNUSED_PAD src0_sel:BYTE_3
	s_waitcnt vmcnt(0)
	v_pk_fma_f32 v[24:25], v[48:49], v[88:89], v[24:25] op_sel_hi:[1,0,1]
	v_pk_fma_f32 v[0:1], v[64:65], v[88:89], v[0:1] op_sel_hi:[1,0,1]
	v_cvt_f32_i32_sdwa v98, sext(v87) dst_sel:DWORD dst_unused:UNUSED_PAD src0_sel:BYTE_0
	v_pk_fma_f32 v[24:25], v[50:51], v[90:91], v[24:25] op_sel_hi:[1,0,1]
	v_pk_fma_f32 v[0:1], v[2:3], v[90:91], v[0:1] op_sel_hi:[1,0,1]
	v_cvt_f32_i32_sdwa v100, sext(v87) dst_sel:DWORD dst_unused:UNUSED_PAD src0_sel:BYTE_1
	v_pk_fma_f32 v[2:3], v[52:53], v[92:93], v[24:25] op_sel_hi:[1,0,1]
	v_pk_fma_f32 v[0:1], v[34:35], v[92:93], v[0:1] op_sel_hi:[1,0,1]
	v_cvt_f32_i32_sdwa v102, sext(v87) dst_sel:DWORD dst_unused:UNUSED_PAD src0_sel:BYTE_2
	v_pk_fma_f32 v[2:3], v[54:55], v[94:95], v[2:3] op_sel_hi:[1,0,1]
	v_pk_fma_f32 v[0:1], v[4:5], v[94:95], v[0:1] op_sel_hi:[1,0,1]
	v_cvt_f32_i32_sdwa v104, sext(v87) dst_sel:DWORD dst_unused:UNUSED_PAD src0_sel:BYTE_3
	v_pk_fma_f32 v[2:3], v[56:57], v[96:97], v[2:3] op_sel_hi:[1,0,1]
	v_pk_fma_f32 v[0:1], v[36:37], v[96:97], v[0:1] op_sel_hi:[1,0,1]
	v_cvt_f32_i32_sdwa v106, sext(v89) dst_sel:DWORD dst_unused:UNUSED_PAD src0_sel:BYTE_0
	v_pk_fma_f32 v[2:3], v[58:59], v[98:99], v[2:3] op_sel_hi:[1,0,1]
	v_pk_fma_f32 v[0:1], v[38:39], v[98:99], v[0:1] op_sel_hi:[1,0,1]
	v_cvt_f32_i32_sdwa v108, sext(v89) dst_sel:DWORD dst_unused:UNUSED_PAD src0_sel:BYTE_1
	v_pk_fma_f32 v[2:3], v[6:7], v[100:101], v[2:3] op_sel_hi:[1,0,1]
	v_pk_fma_f32 v[0:1], v[40:41], v[100:101], v[0:1] op_sel_hi:[1,0,1]
	v_cvt_f32_i32_sdwa v110, sext(v89) dst_sel:DWORD dst_unused:UNUSED_PAD src0_sel:BYTE_2
	v_pk_fma_f32 v[2:3], v[8:9], v[102:103], v[2:3] op_sel_hi:[1,0,1]
	v_pk_fma_f32 v[0:1], v[66:67], v[102:103], v[0:1] op_sel_hi:[1,0,1]
	v_cvt_f32_i32_sdwa v112, sext(v89) dst_sel:DWORD dst_unused:UNUSED_PAD src0_sel:BYTE_3
	v_pk_fma_f32 v[2:3], v[68:69], v[104:105], v[2:3] op_sel_hi:[1,0,1]
	v_pk_fma_f32 v[0:1], v[70:71], v[104:105], v[0:1] op_sel_hi:[1,0,1]
	;; [unrolled: 1-line block ×10, first 2 shown]
	s_andn2_b64 exec, exec, s[8:9]
	s_cbranch_execnz .LBB85_35
; %bb.36:
	s_or_b64 exec, exec, s[8:9]
.LBB85_37:
	s_or_b64 exec, exec, s[2:3]
.LBB85_38:
	s_or_b64 exec, exec, s[6:7]
.LBB85_39:
	v_mov_b32_dpp v0, v24 row_shr:1 row_mask:0xf bank_mask:0xf
	v_mov_b32_dpp v1, v25 row_shr:1 row_mask:0xf bank_mask:0xf
	;; [unrolled: 1-line block ×4, first 2 shown]
	v_pk_add_f32 v[0:1], v[24:25], v[0:1]
	v_pk_add_f32 v[6:7], v[26:27], v[4:5]
	v_cmp_eq_u32_e32 vcc, 3, v16
	v_mov_b32_dpp v2, v0 row_shr:2 row_mask:0xf bank_mask:0xf
	v_mov_b32_dpp v3, v1 row_shr:2 row_mask:0xf bank_mask:0xf
	;; [unrolled: 1-line block ×4, first 2 shown]
	s_and_b64 exec, exec, vcc
	s_cbranch_execz .LBB85_10
; %bb.40:
	s_load_dwordx2 s[0:1], s[0:1], 0x58
	v_cmp_eq_f32_e64 s[2:3], s16, 0
	v_pk_add_f32 v[4:5], v[0:1], v[2:3]
	v_pk_add_f32 v[2:3], v[6:7], v[8:9]
	s_and_b64 vcc, exec, s[2:3]
	s_waitcnt lgkmcnt(0)
	v_lshl_add_u64 v[0:1], v[12:13], 4, s[0:1]
	s_cbranch_vccz .LBB85_42
; %bb.41:
	v_pk_mul_f32 v[6:7], s[12:13], v[4:5] op_sel_hi:[0,1]
	v_pk_mul_f32 v[8:9], s[12:13], v[2:3] op_sel_hi:[0,1]
	global_store_dwordx4 v[0:1], v[6:9], off
	s_cbranch_execnz .LBB85_10
	s_branch .LBB85_43
.LBB85_42:
.LBB85_43:
	global_load_dwordx4 v[6:9], v[0:1], off
	v_pk_mul_f32 v[4:5], s[12:13], v[4:5] op_sel_hi:[0,1]
	v_pk_mul_f32 v[10:11], s[12:13], v[2:3] op_sel_hi:[0,1]
	s_waitcnt vmcnt(0)
	v_pk_fma_f32 v[2:3], s[16:17], v[6:7], v[4:5] op_sel_hi:[0,1,1]
	v_pk_fma_f32 v[4:5], s[16:17], v[8:9], v[10:11] op_sel_hi:[0,1,1]
	global_store_dwordx4 v[0:1], v[2:5], off
	s_endpgm
	.section	.rodata,"a",@progbits
	.p2align	6, 0x0
	.amdhsa_kernel _ZN9rocsparseL18bsrxmvn_4x4_kernelILj128ELj4EfllaafEEvT3_20rocsparse_direction_NS_24const_host_device_scalarIT1_EES1_PKS1_PKT2_SA_S7_PKT4_PKT5_S5_PT6_21rocsparse_index_base_b
		.amdhsa_group_segment_fixed_size 0
		.amdhsa_private_segment_fixed_size 0
		.amdhsa_kernarg_size 104
		.amdhsa_user_sgpr_count 2
		.amdhsa_user_sgpr_dispatch_ptr 0
		.amdhsa_user_sgpr_queue_ptr 0
		.amdhsa_user_sgpr_kernarg_segment_ptr 1
		.amdhsa_user_sgpr_dispatch_id 0
		.amdhsa_user_sgpr_kernarg_preload_length 0
		.amdhsa_user_sgpr_kernarg_preload_offset 0
		.amdhsa_user_sgpr_private_segment_size 0
		.amdhsa_uses_dynamic_stack 0
		.amdhsa_enable_private_segment 0
		.amdhsa_system_sgpr_workgroup_id_x 1
		.amdhsa_system_sgpr_workgroup_id_y 0
		.amdhsa_system_sgpr_workgroup_id_z 0
		.amdhsa_system_sgpr_workgroup_info 0
		.amdhsa_system_vgpr_workitem_id 0
		.amdhsa_next_free_vgpr 120
		.amdhsa_next_free_sgpr 22
		.amdhsa_accum_offset 120
		.amdhsa_reserve_vcc 1
		.amdhsa_float_round_mode_32 0
		.amdhsa_float_round_mode_16_64 0
		.amdhsa_float_denorm_mode_32 3
		.amdhsa_float_denorm_mode_16_64 3
		.amdhsa_dx10_clamp 1
		.amdhsa_ieee_mode 1
		.amdhsa_fp16_overflow 0
		.amdhsa_tg_split 0
		.amdhsa_exception_fp_ieee_invalid_op 0
		.amdhsa_exception_fp_denorm_src 0
		.amdhsa_exception_fp_ieee_div_zero 0
		.amdhsa_exception_fp_ieee_overflow 0
		.amdhsa_exception_fp_ieee_underflow 0
		.amdhsa_exception_fp_ieee_inexact 0
		.amdhsa_exception_int_div_zero 0
	.end_amdhsa_kernel
	.section	.text._ZN9rocsparseL18bsrxmvn_4x4_kernelILj128ELj4EfllaafEEvT3_20rocsparse_direction_NS_24const_host_device_scalarIT1_EES1_PKS1_PKT2_SA_S7_PKT4_PKT5_S5_PT6_21rocsparse_index_base_b,"axG",@progbits,_ZN9rocsparseL18bsrxmvn_4x4_kernelILj128ELj4EfllaafEEvT3_20rocsparse_direction_NS_24const_host_device_scalarIT1_EES1_PKS1_PKT2_SA_S7_PKT4_PKT5_S5_PT6_21rocsparse_index_base_b,comdat
.Lfunc_end85:
	.size	_ZN9rocsparseL18bsrxmvn_4x4_kernelILj128ELj4EfllaafEEvT3_20rocsparse_direction_NS_24const_host_device_scalarIT1_EES1_PKS1_PKT2_SA_S7_PKT4_PKT5_S5_PT6_21rocsparse_index_base_b, .Lfunc_end85-_ZN9rocsparseL18bsrxmvn_4x4_kernelILj128ELj4EfllaafEEvT3_20rocsparse_direction_NS_24const_host_device_scalarIT1_EES1_PKS1_PKT2_SA_S7_PKT4_PKT5_S5_PT6_21rocsparse_index_base_b
                                        ; -- End function
	.set _ZN9rocsparseL18bsrxmvn_4x4_kernelILj128ELj4EfllaafEEvT3_20rocsparse_direction_NS_24const_host_device_scalarIT1_EES1_PKS1_PKT2_SA_S7_PKT4_PKT5_S5_PT6_21rocsparse_index_base_b.num_vgpr, 120
	.set _ZN9rocsparseL18bsrxmvn_4x4_kernelILj128ELj4EfllaafEEvT3_20rocsparse_direction_NS_24const_host_device_scalarIT1_EES1_PKS1_PKT2_SA_S7_PKT4_PKT5_S5_PT6_21rocsparse_index_base_b.num_agpr, 0
	.set _ZN9rocsparseL18bsrxmvn_4x4_kernelILj128ELj4EfllaafEEvT3_20rocsparse_direction_NS_24const_host_device_scalarIT1_EES1_PKS1_PKT2_SA_S7_PKT4_PKT5_S5_PT6_21rocsparse_index_base_b.numbered_sgpr, 22
	.set _ZN9rocsparseL18bsrxmvn_4x4_kernelILj128ELj4EfllaafEEvT3_20rocsparse_direction_NS_24const_host_device_scalarIT1_EES1_PKS1_PKT2_SA_S7_PKT4_PKT5_S5_PT6_21rocsparse_index_base_b.num_named_barrier, 0
	.set _ZN9rocsparseL18bsrxmvn_4x4_kernelILj128ELj4EfllaafEEvT3_20rocsparse_direction_NS_24const_host_device_scalarIT1_EES1_PKS1_PKT2_SA_S7_PKT4_PKT5_S5_PT6_21rocsparse_index_base_b.private_seg_size, 0
	.set _ZN9rocsparseL18bsrxmvn_4x4_kernelILj128ELj4EfllaafEEvT3_20rocsparse_direction_NS_24const_host_device_scalarIT1_EES1_PKS1_PKT2_SA_S7_PKT4_PKT5_S5_PT6_21rocsparse_index_base_b.uses_vcc, 1
	.set _ZN9rocsparseL18bsrxmvn_4x4_kernelILj128ELj4EfllaafEEvT3_20rocsparse_direction_NS_24const_host_device_scalarIT1_EES1_PKS1_PKT2_SA_S7_PKT4_PKT5_S5_PT6_21rocsparse_index_base_b.uses_flat_scratch, 0
	.set _ZN9rocsparseL18bsrxmvn_4x4_kernelILj128ELj4EfllaafEEvT3_20rocsparse_direction_NS_24const_host_device_scalarIT1_EES1_PKS1_PKT2_SA_S7_PKT4_PKT5_S5_PT6_21rocsparse_index_base_b.has_dyn_sized_stack, 0
	.set _ZN9rocsparseL18bsrxmvn_4x4_kernelILj128ELj4EfllaafEEvT3_20rocsparse_direction_NS_24const_host_device_scalarIT1_EES1_PKS1_PKT2_SA_S7_PKT4_PKT5_S5_PT6_21rocsparse_index_base_b.has_recursion, 0
	.set _ZN9rocsparseL18bsrxmvn_4x4_kernelILj128ELj4EfllaafEEvT3_20rocsparse_direction_NS_24const_host_device_scalarIT1_EES1_PKS1_PKT2_SA_S7_PKT4_PKT5_S5_PT6_21rocsparse_index_base_b.has_indirect_call, 0
	.section	.AMDGPU.csdata,"",@progbits
; Kernel info:
; codeLenInByte = 4156
; TotalNumSgprs: 28
; NumVgprs: 120
; NumAgprs: 0
; TotalNumVgprs: 120
; ScratchSize: 0
; MemoryBound: 0
; FloatMode: 240
; IeeeMode: 1
; LDSByteSize: 0 bytes/workgroup (compile time only)
; SGPRBlocks: 3
; VGPRBlocks: 14
; NumSGPRsForWavesPerEU: 28
; NumVGPRsForWavesPerEU: 120
; AccumOffset: 120
; Occupancy: 4
; WaveLimiterHint : 1
; COMPUTE_PGM_RSRC2:SCRATCH_EN: 0
; COMPUTE_PGM_RSRC2:USER_SGPR: 2
; COMPUTE_PGM_RSRC2:TRAP_HANDLER: 0
; COMPUTE_PGM_RSRC2:TGID_X_EN: 1
; COMPUTE_PGM_RSRC2:TGID_Y_EN: 0
; COMPUTE_PGM_RSRC2:TGID_Z_EN: 0
; COMPUTE_PGM_RSRC2:TIDIG_COMP_CNT: 0
; COMPUTE_PGM_RSRC3_GFX90A:ACCUM_OFFSET: 29
; COMPUTE_PGM_RSRC3_GFX90A:TG_SPLIT: 0
	.section	.text._ZN9rocsparseL18bsrxmvn_4x4_kernelILj128ELj8EfllaafEEvT3_20rocsparse_direction_NS_24const_host_device_scalarIT1_EES1_PKS1_PKT2_SA_S7_PKT4_PKT5_S5_PT6_21rocsparse_index_base_b,"axG",@progbits,_ZN9rocsparseL18bsrxmvn_4x4_kernelILj128ELj8EfllaafEEvT3_20rocsparse_direction_NS_24const_host_device_scalarIT1_EES1_PKS1_PKT2_SA_S7_PKT4_PKT5_S5_PT6_21rocsparse_index_base_b,comdat
	.globl	_ZN9rocsparseL18bsrxmvn_4x4_kernelILj128ELj8EfllaafEEvT3_20rocsparse_direction_NS_24const_host_device_scalarIT1_EES1_PKS1_PKT2_SA_S7_PKT4_PKT5_S5_PT6_21rocsparse_index_base_b ; -- Begin function _ZN9rocsparseL18bsrxmvn_4x4_kernelILj128ELj8EfllaafEEvT3_20rocsparse_direction_NS_24const_host_device_scalarIT1_EES1_PKS1_PKT2_SA_S7_PKT4_PKT5_S5_PT6_21rocsparse_index_base_b
	.p2align	8
	.type	_ZN9rocsparseL18bsrxmvn_4x4_kernelILj128ELj8EfllaafEEvT3_20rocsparse_direction_NS_24const_host_device_scalarIT1_EES1_PKS1_PKT2_SA_S7_PKT4_PKT5_S5_PT6_21rocsparse_index_base_b,@function
_ZN9rocsparseL18bsrxmvn_4x4_kernelILj128ELj8EfllaafEEvT3_20rocsparse_direction_NS_24const_host_device_scalarIT1_EES1_PKS1_PKT2_SA_S7_PKT4_PKT5_S5_PT6_21rocsparse_index_base_b: ; @_ZN9rocsparseL18bsrxmvn_4x4_kernelILj128ELj8EfllaafEEvT3_20rocsparse_direction_NS_24const_host_device_scalarIT1_EES1_PKS1_PKT2_SA_S7_PKT4_PKT5_S5_PT6_21rocsparse_index_base_b
; %bb.0:
	s_load_dwordx2 s[4:5], s[0:1], 0x60
	s_load_dwordx4 s[12:15], s[0:1], 0x10
	s_load_dwordx2 s[16:17], s[0:1], 0x50
	s_waitcnt lgkmcnt(0)
	s_bitcmp1_b32 s5, 0
	s_cselect_b64 s[8:9], -1, 0
	s_xor_b64 s[6:7], s[8:9], -1
	s_and_b64 vcc, exec, s[8:9]
	s_cbranch_vccnz .LBB86_2
; %bb.1:
	s_load_dword s12, s[12:13], 0x0
.LBB86_2:
	s_andn2_b64 vcc, exec, s[6:7]
	s_cbranch_vccnz .LBB86_4
; %bb.3:
	s_load_dword s16, s[16:17], 0x0
.LBB86_4:
	s_waitcnt lgkmcnt(0)
	v_cmp_neq_f32_e64 s[6:7], s12, 0
	v_cmp_neq_f32_e64 s[8:9], s16, 1.0
	s_or_b64 s[6:7], s[6:7], s[8:9]
	s_andn2_b64 vcc, exec, s[6:7]
	s_cbranch_vccnz .LBB86_10
; %bb.5:
	s_load_dwordx2 s[6:7], s[0:1], 0x20
	v_lshrrev_b32_e32 v1, 3, v0
	v_lshl_or_b32 v2, s2, 4, v1
	v_mov_b32_e32 v3, 0
	s_mov_b64 s[2:3], 0
	s_waitcnt lgkmcnt(0)
	s_cmp_lg_u64 s[6:7], 0
	s_cbranch_scc0 .LBB86_11
; %bb.6:
	v_cmp_gt_i64_e32 vcc, s[14:15], v[2:3]
                                        ; implicit-def: $vgpr12_vgpr13
                                        ; implicit-def: $vgpr14_vgpr15
	s_and_saveexec_b64 s[8:9], vcc
	s_xor_b64 s[8:9], exec, s[8:9]
	s_cbranch_execz .LBB86_8
; %bb.7:
	v_lshl_add_u64 v[4:5], v[2:3], 3, s[6:7]
	global_load_dwordx2 v[4:5], v[4:5], off
	s_mov_b32 s5, 0
	s_mov_b64 s[2:3], exec
	v_mov_b64_e32 v[14:15], s[4:5]
	s_waitcnt vmcnt(0)
	v_subrev_co_u32_e32 v12, vcc, s4, v4
	s_nop 1
	v_subbrev_co_u32_e32 v13, vcc, 0, v5, vcc
.LBB86_8:
	s_or_b64 exec, exec, s[8:9]
.LBB86_9:
	s_and_saveexec_b64 s[4:5], s[2:3]
	s_cbranch_execnz .LBB86_15
.LBB86_10:
	s_endpgm
.LBB86_11:
                                        ; implicit-def: $vgpr12_vgpr13
                                        ; implicit-def: $vgpr14_vgpr15
	s_cbranch_execz .LBB86_9
; %bb.12:
	s_load_dwordx2 s[6:7], s[0:1], 0x0
	s_waitcnt lgkmcnt(0)
	v_cmp_gt_i64_e32 vcc, s[6:7], v[2:3]
	s_and_saveexec_b64 s[6:7], vcc
; %bb.13:
	s_mov_b32 s5, 0
	s_or_b64 s[2:3], s[2:3], exec
; %bb.14:
	s_or_b64 exec, exec, s[6:7]
	v_mov_b64_e32 v[14:15], s[4:5]
	v_mov_b64_e32 v[12:13], v[2:3]
	s_and_saveexec_b64 s[4:5], s[2:3]
	s_cbranch_execz .LBB86_10
.LBB86_15:
	s_load_dwordx8 s[4:11], s[0:1], 0x28
	v_lshlrev_b64 v[2:3], 3, v[12:13]
	s_load_dword s2, s[0:1], 0x8
	v_and_b32_e32 v16, 7, v0
	v_mov_b32_e32 v17, 0
	s_waitcnt lgkmcnt(0)
	v_lshl_add_u64 v[4:5], s[4:5], 0, v[2:3]
	s_cmp_eq_u64 s[6:7], 0
	v_lshl_add_u64 v[2:3], s[6:7], 0, v[2:3]
	global_load_dwordx2 v[28:29], v[4:5], off
	v_lshl_add_u64 v[4:5], v[4:5], 0, 8
	s_cselect_b64 vcc, -1, 0
	v_cndmask_b32_e32 v3, v3, v5, vcc
	v_cndmask_b32_e32 v2, v2, v4, vcc
	global_load_dwordx2 v[2:3], v[2:3], off
	s_load_dwordx2 s[4:5], s[0:1], 0x48
	s_cmp_eq_u32 s2, 1
	s_waitcnt vmcnt(1)
	v_sub_co_u32_e32 v0, vcc, v28, v14
	s_nop 1
	v_subb_co_u32_e32 v1, vcc, v29, v15, vcc
	v_lshl_add_u64 v[18:19], v[0:1], 0, v[16:17]
	s_waitcnt vmcnt(0)
	v_sub_co_u32_e32 v20, vcc, v2, v14
	v_lshl_add_u64 v[22:23], v[18:19], 4, s[10:11]
	s_nop 0
	v_subb_co_u32_e32 v21, vcc, v3, v15, vcc
	v_cmp_lt_i64_e64 s[2:3], v[18:19], v[20:21]
	s_cbranch_scc1 .LBB86_27
; %bb.16:
	v_mov_b32_e32 v24, v17
	v_mov_b32_e32 v27, v17
	;; [unrolled: 1-line block ×3, first 2 shown]
	s_and_saveexec_b64 s[6:7], s[2:3]
	s_cbranch_execz .LBB86_26
; %bb.17:
	v_or_b32_e32 v0, 8, v16
	v_sub_co_u32_e32 v0, vcc, v0, v14
	v_not_b32_e32 v3, v29
	s_nop 0
	v_subb_co_u32_e32 v1, vcc, 0, v15, vcc
	v_lshl_add_u64 v[0:1], v[0:1], 0, v[28:29]
	v_cmp_gt_i64_e32 vcc, v[0:1], v[20:21]
	v_not_b32_e32 v2, v28
	v_mov_b32_e32 v27, 0
	v_cndmask_b32_e32 v1, v21, v1, vcc
	v_cndmask_b32_e32 v0, v20, v0, vcc
	v_sub_co_u32_e32 v4, vcc, v14, v16
	v_mov_b32_e32 v24, v27
	s_nop 0
	v_subbrev_co_u32_e32 v5, vcc, 0, v15, vcc
	v_lshl_add_u64 v[2:3], v[4:5], 0, v[2:3]
	v_lshl_add_u64 v[0:1], v[2:3], 0, v[0:1]
	v_and_b32_e32 v26, 24, v0
	v_cmp_ne_u64_e32 vcc, 24, v[26:27]
	v_mov_b32_e32 v26, v27
	v_mov_b32_e32 v25, v27
	v_mov_b64_e32 v[30:31], v[18:19]
	v_mov_b64_e32 v[32:33], v[22:23]
	s_and_saveexec_b64 s[10:11], vcc
	s_cbranch_execz .LBB86_21
; %bb.18:
	v_lshrrev_b32_e32 v2, 3, v0
	v_add_u32_e32 v2, 1, v2
	v_and_b32_e32 v4, 3, v2
	v_sub_co_u32_e32 v4, vcc, 0, v4
	v_mov_b32_e32 v25, 0
	s_nop 0
	v_subb_co_u32_e64 v5, s[18:19], 0, 0, vcc
	v_lshl_add_u64 v[2:3], v[18:19], 3, s[8:9]
	s_mov_b64 s[14:15], 0
	s_mov_b64 s[18:19], 0x80
	v_mov_b64_e32 v[32:33], v[22:23]
	v_mov_b64_e32 v[30:31], v[18:19]
	v_mov_b32_e32 v24, v25
	v_mov_b32_e32 v27, v25
	;; [unrolled: 1-line block ×3, first 2 shown]
.LBB86_19:                              ; =>This Inner Loop Header: Depth=1
	global_load_dwordx2 v[10:11], v[2:3], off
	global_load_dwordx4 v[6:9], v[32:33], off
	v_lshl_add_u64 v[4:5], v[4:5], 0, 1
	v_lshl_add_u64 v[32:33], v[32:33], 0, s[18:19]
	;; [unrolled: 1-line block ×4, first 2 shown]
	s_waitcnt vmcnt(1)
	v_sub_co_u32_e32 v10, vcc, v10, v14
	s_nop 1
	v_subb_co_u32_e32 v11, vcc, v11, v15, vcc
	s_waitcnt lgkmcnt(0)
	v_lshl_add_u64 v[10:11], v[10:11], 2, s[4:5]
	global_load_dword v17, v[10:11], off
	s_waitcnt vmcnt(1)
	v_cvt_f32_i32_sdwa v10, sext(v6) dst_sel:DWORD dst_unused:UNUSED_PAD src0_sel:BYTE_0
	v_cvt_f32_i32_sdwa v11, sext(v7) dst_sel:DWORD dst_unused:UNUSED_PAD src0_sel:BYTE_0
	;; [unrolled: 1-line block ×4, first 2 shown]
	v_cvt_f32_i32_sdwa v35, sext(v7) dst_sel:DWORD dst_unused:UNUSED_PAD src0_sel:BYTE_1
	v_cvt_f32_i32_sdwa v34, sext(v6) dst_sel:DWORD dst_unused:UNUSED_PAD src0_sel:BYTE_1
	;; [unrolled: 1-line block ×4, first 2 shown]
	v_cvt_f32_i32_sdwa v37, sext(v7) dst_sel:DWORD dst_unused:UNUSED_PAD src0_sel:BYTE_2
	v_cvt_f32_i32_sdwa v36, sext(v6) dst_sel:DWORD dst_unused:UNUSED_PAD src0_sel:BYTE_2
	;; [unrolled: 1-line block ×4, first 2 shown]
	v_cvt_f32_i32_sdwa v7, sext(v7) dst_sel:DWORD dst_unused:UNUSED_PAD src0_sel:BYTE_3
	v_cvt_f32_i32_sdwa v6, sext(v6) dst_sel:DWORD dst_unused:UNUSED_PAD src0_sel:BYTE_3
	;; [unrolled: 1-line block ×4, first 2 shown]
	v_cmp_eq_u64_e32 vcc, 0, v[4:5]
	s_or_b64 s[14:15], vcc, s[14:15]
	s_waitcnt vmcnt(0)
	v_cvt_f32_i32_sdwa v44, sext(v17) dst_sel:DWORD dst_unused:UNUSED_PAD src0_sel:BYTE_0
	v_cvt_f32_i32_sdwa v46, sext(v17) dst_sel:DWORD dst_unused:UNUSED_PAD src0_sel:BYTE_1
	v_cvt_f32_i32_sdwa v48, sext(v17) dst_sel:DWORD dst_unused:UNUSED_PAD src0_sel:BYTE_2
	v_cvt_f32_i32_sdwa v50, sext(v17) dst_sel:DWORD dst_unused:UNUSED_PAD src0_sel:BYTE_3
	v_pk_fma_f32 v[10:11], v[10:11], v[44:45], v[26:27] op_sel_hi:[1,0,1]
	v_pk_fma_f32 v[24:25], v[38:39], v[44:45], v[24:25] op_sel_hi:[1,0,1]
	;; [unrolled: 1-line block ×8, first 2 shown]
	s_andn2_b64 exec, exec, s[14:15]
	s_cbranch_execnz .LBB86_19
; %bb.20:
	s_or_b64 exec, exec, s[14:15]
.LBB86_21:
	s_or_b64 exec, exec, s[10:11]
	v_cmp_lt_u64_e32 vcc, 23, v[0:1]
	s_and_saveexec_b64 s[10:11], vcc
	s_cbranch_execz .LBB86_25
; %bb.22:
	v_lshl_add_u64 v[0:1], v[30:31], 3, s[8:9]
	s_mov_b64 s[14:15], 0x80
	v_lshl_add_u64 v[34:35], v[0:1], 0, s[14:15]
	s_mov_b64 s[14:15], 0
	s_mov_b64 s[18:19], 0x100
	;; [unrolled: 1-line block ×3, first 2 shown]
.LBB86_23:                              ; =>This Inner Loop Header: Depth=1
	global_load_dwordx2 v[40:41], v[34:35], off offset:-128
	global_load_dwordx4 v[0:3], v[32:33], off
	global_load_dwordx2 v[42:43], v[34:35], off offset:-64
	global_load_dwordx2 v[44:45], v[34:35], off
	global_load_dwordx4 v[4:7], v[32:33], off offset:256
	global_load_dwordx4 v[8:11], v[32:33], off offset:128
	global_load_dwordx2 v[46:47], v[34:35], off offset:64
	global_load_dwordx4 v[36:39], v[32:33], off offset:384
	v_lshl_add_u64 v[30:31], v[30:31], 0, 32
	v_cmp_ge_i64_e32 vcc, v[30:31], v[20:21]
	s_or_b64 s[14:15], vcc, s[14:15]
	v_lshl_add_u64 v[34:35], v[34:35], 0, s[18:19]
	v_lshl_add_u64 v[32:33], v[32:33], 0, s[20:21]
	s_waitcnt vmcnt(7)
	v_sub_co_u32_e32 v40, vcc, v40, v14
	s_nop 1
	v_subb_co_u32_e32 v41, vcc, v41, v15, vcc
	s_waitcnt vmcnt(5)
	v_sub_co_u32_e32 v42, vcc, v42, v14
	s_waitcnt lgkmcnt(0)
	v_lshl_add_u64 v[40:41], v[40:41], 2, s[4:5]
	v_subb_co_u32_e32 v43, vcc, v43, v15, vcc
	s_waitcnt vmcnt(4)
	v_sub_co_u32_e32 v44, vcc, v44, v14
	v_lshl_add_u64 v[42:43], v[42:43], 2, s[4:5]
	s_nop 0
	v_subb_co_u32_e32 v45, vcc, v45, v15, vcc
	s_waitcnt vmcnt(1)
	v_sub_co_u32_e32 v46, vcc, v46, v14
	v_lshl_add_u64 v[44:45], v[44:45], 2, s[4:5]
	s_nop 0
	v_subb_co_u32_e32 v47, vcc, v47, v15, vcc
	v_lshl_add_u64 v[46:47], v[46:47], 2, s[4:5]
	global_load_dword v17, v[40:41], off
	global_load_dword v89, v[42:43], off
	;; [unrolled: 1-line block ×4, first 2 shown]
	v_cvt_f32_i32_sdwa v48, sext(v0) dst_sel:DWORD dst_unused:UNUSED_PAD src0_sel:BYTE_0
	v_cvt_f32_i32_sdwa v49, sext(v1) dst_sel:DWORD dst_unused:UNUSED_PAD src0_sel:BYTE_0
	v_cvt_f32_i32_sdwa v50, sext(v2) dst_sel:DWORD dst_unused:UNUSED_PAD src0_sel:BYTE_0
	v_cvt_f32_i32_sdwa v51, sext(v3) dst_sel:DWORD dst_unused:UNUSED_PAD src0_sel:BYTE_0
	v_cvt_f32_i32_sdwa v55, sext(v1) dst_sel:DWORD dst_unused:UNUSED_PAD src0_sel:BYTE_1
	v_cvt_f32_i32_sdwa v54, sext(v0) dst_sel:DWORD dst_unused:UNUSED_PAD src0_sel:BYTE_1
	v_cvt_f32_i32_sdwa v41, sext(v3) dst_sel:DWORD dst_unused:UNUSED_PAD src0_sel:BYTE_1
	v_cvt_f32_i32_sdwa v40, sext(v2) dst_sel:DWORD dst_unused:UNUSED_PAD src0_sel:BYTE_1
	v_cvt_f32_i32_sdwa v57, sext(v1) dst_sel:DWORD dst_unused:UNUSED_PAD src0_sel:BYTE_2
	v_cvt_f32_i32_sdwa v56, sext(v0) dst_sel:DWORD dst_unused:UNUSED_PAD src0_sel:BYTE_2
	v_cvt_f32_i32_sdwa v43, sext(v3) dst_sel:DWORD dst_unused:UNUSED_PAD src0_sel:BYTE_2
	v_cvt_f32_i32_sdwa v42, sext(v2) dst_sel:DWORD dst_unused:UNUSED_PAD src0_sel:BYTE_2
	v_cvt_f32_i32_sdwa v1, sext(v1) dst_sel:DWORD dst_unused:UNUSED_PAD src0_sel:BYTE_3
	v_cvt_f32_i32_sdwa v0, sext(v0) dst_sel:DWORD dst_unused:UNUSED_PAD src0_sel:BYTE_3
	v_cvt_f32_i32_sdwa v3, sext(v3) dst_sel:DWORD dst_unused:UNUSED_PAD src0_sel:BYTE_3
	v_cvt_f32_i32_sdwa v2, sext(v2) dst_sel:DWORD dst_unused:UNUSED_PAD src0_sel:BYTE_3
	v_cvt_f32_i32_sdwa v59, sext(v9) dst_sel:DWORD dst_unused:UNUSED_PAD src0_sel:BYTE_0
	v_cvt_f32_i32_sdwa v58, sext(v8) dst_sel:DWORD dst_unused:UNUSED_PAD src0_sel:BYTE_0
	v_cvt_f32_i32_sdwa v45, sext(v11) dst_sel:DWORD dst_unused:UNUSED_PAD src0_sel:BYTE_0
	v_cvt_f32_i32_sdwa v44, sext(v10) dst_sel:DWORD dst_unused:UNUSED_PAD src0_sel:BYTE_0
	v_cvt_f32_i32_sdwa v61, sext(v9) dst_sel:DWORD dst_unused:UNUSED_PAD src0_sel:BYTE_1
	v_cvt_f32_i32_sdwa v60, sext(v8) dst_sel:DWORD dst_unused:UNUSED_PAD src0_sel:BYTE_1
	v_cvt_f32_i32_sdwa v47, sext(v11) dst_sel:DWORD dst_unused:UNUSED_PAD src0_sel:BYTE_1
	v_cvt_f32_i32_sdwa v46, sext(v10) dst_sel:DWORD dst_unused:UNUSED_PAD src0_sel:BYTE_1
	v_cvt_f32_i32_sdwa v63, sext(v9) dst_sel:DWORD dst_unused:UNUSED_PAD src0_sel:BYTE_2
	v_cvt_f32_i32_sdwa v62, sext(v8) dst_sel:DWORD dst_unused:UNUSED_PAD src0_sel:BYTE_2
	v_cvt_f32_i32_sdwa v71, sext(v11) dst_sel:DWORD dst_unused:UNUSED_PAD src0_sel:BYTE_2
	v_cvt_f32_i32_sdwa v70, sext(v10) dst_sel:DWORD dst_unused:UNUSED_PAD src0_sel:BYTE_2
	v_cvt_f32_i32_sdwa v9, sext(v9) dst_sel:DWORD dst_unused:UNUSED_PAD src0_sel:BYTE_3
	v_cvt_f32_i32_sdwa v8, sext(v8) dst_sel:DWORD dst_unused:UNUSED_PAD src0_sel:BYTE_3
	v_cvt_f32_i32_sdwa v11, sext(v11) dst_sel:DWORD dst_unused:UNUSED_PAD src0_sel:BYTE_3
	v_cvt_f32_i32_sdwa v10, sext(v10) dst_sel:DWORD dst_unused:UNUSED_PAD src0_sel:BYTE_3
	;; [unrolled: 16-line block ×3, first 2 shown]
	s_waitcnt vmcnt(4)
	v_cvt_f32_i32_sdwa v7, sext(v37) dst_sel:DWORD dst_unused:UNUSED_PAD src0_sel:BYTE_0
	v_cvt_f32_i32_sdwa v6, sext(v36) dst_sel:DWORD dst_unused:UNUSED_PAD src0_sel:BYTE_0
	;; [unrolled: 1-line block ×4, first 2 shown]
	v_cvt_f32_i32_sdwa v79, sext(v37) dst_sel:DWORD dst_unused:UNUSED_PAD src0_sel:BYTE_1
	v_cvt_f32_i32_sdwa v78, sext(v36) dst_sel:DWORD dst_unused:UNUSED_PAD src0_sel:BYTE_1
	;; [unrolled: 1-line block ×4, first 2 shown]
	v_cvt_f32_i32_sdwa v81, sext(v37) dst_sel:DWORD dst_unused:UNUSED_PAD src0_sel:BYTE_2
	v_cvt_f32_i32_sdwa v80, sext(v36) dst_sel:DWORD dst_unused:UNUSED_PAD src0_sel:BYTE_2
	v_cvt_f32_i32_sdwa v87, sext(v39) dst_sel:DWORD dst_unused:UNUSED_PAD src0_sel:BYTE_2
	v_cvt_f32_i32_sdwa v86, sext(v38) dst_sel:DWORD dst_unused:UNUSED_PAD src0_sel:BYTE_2
	v_cvt_f32_i32_sdwa v37, sext(v37) dst_sel:DWORD dst_unused:UNUSED_PAD src0_sel:BYTE_3
	v_cvt_f32_i32_sdwa v36, sext(v36) dst_sel:DWORD dst_unused:UNUSED_PAD src0_sel:BYTE_3
	;; [unrolled: 1-line block ×4, first 2 shown]
	s_waitcnt vmcnt(3)
	v_cvt_f32_i32_sdwa v88, sext(v17) dst_sel:DWORD dst_unused:UNUSED_PAD src0_sel:BYTE_0
	v_cvt_f32_i32_sdwa v90, sext(v17) dst_sel:DWORD dst_unused:UNUSED_PAD src0_sel:BYTE_1
	v_cvt_f32_i32_sdwa v92, sext(v17) dst_sel:DWORD dst_unused:UNUSED_PAD src0_sel:BYTE_2
	v_cvt_f32_i32_sdwa v94, sext(v17) dst_sel:DWORD dst_unused:UNUSED_PAD src0_sel:BYTE_3
	s_waitcnt vmcnt(2)
	v_cvt_f32_i32_sdwa v96, sext(v89) dst_sel:DWORD dst_unused:UNUSED_PAD src0_sel:BYTE_0
	v_pk_fma_f32 v[26:27], v[48:49], v[88:89], v[26:27] op_sel_hi:[1,0,1]
	v_pk_fma_f32 v[24:25], v[50:51], v[88:89], v[24:25] op_sel_hi:[1,0,1]
	v_cvt_f32_i32_sdwa v98, sext(v89) dst_sel:DWORD dst_unused:UNUSED_PAD src0_sel:BYTE_1
	s_waitcnt vmcnt(1)
	v_pk_fma_f32 v[26:27], v[54:55], v[90:91], v[26:27] op_sel_hi:[1,0,1]
	v_pk_fma_f32 v[24:25], v[40:41], v[90:91], v[24:25] op_sel_hi:[1,0,1]
	v_cvt_f32_i32_sdwa v100, sext(v89) dst_sel:DWORD dst_unused:UNUSED_PAD src0_sel:BYTE_2
	s_waitcnt vmcnt(0)
	v_pk_fma_f32 v[26:27], v[56:57], v[92:93], v[26:27] op_sel_hi:[1,0,1]
	v_pk_fma_f32 v[24:25], v[42:43], v[92:93], v[24:25] op_sel_hi:[1,0,1]
	v_cvt_f32_i32_sdwa v102, sext(v89) dst_sel:DWORD dst_unused:UNUSED_PAD src0_sel:BYTE_3
	v_pk_fma_f32 v[0:1], v[0:1], v[94:95], v[26:27] op_sel_hi:[1,0,1]
	v_pk_fma_f32 v[2:3], v[2:3], v[94:95], v[24:25] op_sel_hi:[1,0,1]
	v_cvt_f32_i32_sdwa v104, sext(v91) dst_sel:DWORD dst_unused:UNUSED_PAD src0_sel:BYTE_0
	v_pk_fma_f32 v[0:1], v[58:59], v[96:97], v[0:1] op_sel_hi:[1,0,1]
	v_pk_fma_f32 v[2:3], v[44:45], v[96:97], v[2:3] op_sel_hi:[1,0,1]
	v_cvt_f32_i32_sdwa v106, sext(v91) dst_sel:DWORD dst_unused:UNUSED_PAD src0_sel:BYTE_1
	v_pk_fma_f32 v[0:1], v[60:61], v[98:99], v[0:1] op_sel_hi:[1,0,1]
	v_pk_fma_f32 v[2:3], v[46:47], v[98:99], v[2:3] op_sel_hi:[1,0,1]
	v_cvt_f32_i32_sdwa v108, sext(v91) dst_sel:DWORD dst_unused:UNUSED_PAD src0_sel:BYTE_2
	v_pk_fma_f32 v[0:1], v[62:63], v[100:101], v[0:1] op_sel_hi:[1,0,1]
	v_pk_fma_f32 v[2:3], v[70:71], v[100:101], v[2:3] op_sel_hi:[1,0,1]
	v_cvt_f32_i32_sdwa v110, sext(v91) dst_sel:DWORD dst_unused:UNUSED_PAD src0_sel:BYTE_3
	v_pk_fma_f32 v[0:1], v[8:9], v[102:103], v[0:1] op_sel_hi:[1,0,1]
	v_pk_fma_f32 v[2:3], v[10:11], v[102:103], v[2:3] op_sel_hi:[1,0,1]
	v_cvt_f32_i32_sdwa v112, sext(v93) dst_sel:DWORD dst_unused:UNUSED_PAD src0_sel:BYTE_0
	v_pk_fma_f32 v[0:1], v[64:65], v[104:105], v[0:1] op_sel_hi:[1,0,1]
	v_pk_fma_f32 v[2:3], v[72:73], v[104:105], v[2:3] op_sel_hi:[1,0,1]
	v_cvt_f32_i32_sdwa v114, sext(v93) dst_sel:DWORD dst_unused:UNUSED_PAD src0_sel:BYTE_1
	v_pk_fma_f32 v[0:1], v[66:67], v[106:107], v[0:1] op_sel_hi:[1,0,1]
	v_pk_fma_f32 v[2:3], v[74:75], v[106:107], v[2:3] op_sel_hi:[1,0,1]
	v_cvt_f32_i32_sdwa v116, sext(v93) dst_sel:DWORD dst_unused:UNUSED_PAD src0_sel:BYTE_2
	v_pk_fma_f32 v[0:1], v[68:69], v[108:109], v[0:1] op_sel_hi:[1,0,1]
	v_pk_fma_f32 v[2:3], v[76:77], v[108:109], v[2:3] op_sel_hi:[1,0,1]
	v_cvt_f32_i32_sdwa v118, sext(v93) dst_sel:DWORD dst_unused:UNUSED_PAD src0_sel:BYTE_3
	v_pk_fma_f32 v[0:1], v[52:53], v[110:111], v[0:1] op_sel_hi:[1,0,1]
	v_pk_fma_f32 v[2:3], v[4:5], v[110:111], v[2:3] op_sel_hi:[1,0,1]
	v_pk_fma_f32 v[0:1], v[6:7], v[112:113], v[0:1] op_sel_hi:[1,0,1]
	v_pk_fma_f32 v[2:3], v[82:83], v[112:113], v[2:3] op_sel_hi:[1,0,1]
	v_pk_fma_f32 v[0:1], v[78:79], v[114:115], v[0:1] op_sel_hi:[1,0,1]
	v_pk_fma_f32 v[2:3], v[84:85], v[114:115], v[2:3] op_sel_hi:[1,0,1]
	v_pk_fma_f32 v[0:1], v[80:81], v[116:117], v[0:1] op_sel_hi:[1,0,1]
	v_pk_fma_f32 v[2:3], v[86:87], v[116:117], v[2:3] op_sel_hi:[1,0,1]
	v_pk_fma_f32 v[26:27], v[36:37], v[118:119], v[0:1] op_sel_hi:[1,0,1]
	v_pk_fma_f32 v[24:25], v[38:39], v[118:119], v[2:3] op_sel_hi:[1,0,1]
	s_andn2_b64 exec, exec, s[14:15]
	s_cbranch_execnz .LBB86_23
; %bb.24:
	s_or_b64 exec, exec, s[14:15]
.LBB86_25:
	s_or_b64 exec, exec, s[10:11]
	v_mov_b32_e32 v17, v25
.LBB86_26:
	s_or_b64 exec, exec, s[6:7]
	v_mov_b32_e32 v25, v17
	s_cbranch_execz .LBB86_28
	s_branch .LBB86_39
.LBB86_27:
                                        ; implicit-def: $vgpr25
                                        ; implicit-def: $vgpr27
.LBB86_28:
	v_mov_b32_e32 v25, 0
	v_mov_b32_e32 v24, 0
	;; [unrolled: 1-line block ×4, first 2 shown]
	s_and_saveexec_b64 s[6:7], s[2:3]
	s_cbranch_execz .LBB86_38
; %bb.29:
	v_or_b32_e32 v0, 8, v16
	v_sub_co_u32_e32 v0, vcc, v0, v14
	v_not_b32_e32 v3, v29
	s_nop 0
	v_subb_co_u32_e32 v1, vcc, 0, v15, vcc
	v_lshl_add_u64 v[0:1], v[0:1], 0, v[28:29]
	v_cmp_gt_i64_e32 vcc, v[0:1], v[20:21]
	v_not_b32_e32 v2, v28
	v_mov_b32_e32 v27, 0
	v_cndmask_b32_e32 v1, v21, v1, vcc
	v_cndmask_b32_e32 v0, v20, v0, vcc
	v_sub_co_u32_e32 v4, vcc, v14, v16
	v_mov_b32_e32 v24, v27
	s_nop 0
	v_subbrev_co_u32_e32 v5, vcc, 0, v15, vcc
	v_lshl_add_u64 v[2:3], v[4:5], 0, v[2:3]
	v_lshl_add_u64 v[0:1], v[2:3], 0, v[0:1]
	v_and_b32_e32 v26, 24, v0
	v_cmp_ne_u64_e32 vcc, 24, v[26:27]
	v_mov_b32_e32 v26, v27
	v_mov_b32_e32 v25, v27
	s_and_saveexec_b64 s[2:3], vcc
	s_cbranch_execz .LBB86_33
; %bb.30:
	v_lshrrev_b32_e32 v2, 3, v0
	v_add_u32_e32 v2, 1, v2
	v_and_b32_e32 v4, 3, v2
	v_sub_co_u32_e32 v4, vcc, 0, v4
	v_mov_b32_e32 v25, 0
	s_nop 0
	v_subb_co_u32_e64 v5, s[14:15], 0, 0, vcc
	v_lshl_add_u64 v[2:3], v[18:19], 3, s[8:9]
	s_mov_b64 s[10:11], 0
	s_mov_b64 s[14:15], 0x80
	v_mov_b32_e32 v24, v25
	v_mov_b32_e32 v27, v25
	;; [unrolled: 1-line block ×3, first 2 shown]
.LBB86_31:                              ; =>This Inner Loop Header: Depth=1
	global_load_dwordx2 v[10:11], v[2:3], off
	global_load_dwordx4 v[6:9], v[22:23], off
	v_lshl_add_u64 v[4:5], v[4:5], 0, 1
	v_lshl_add_u64 v[22:23], v[22:23], 0, s[14:15]
	;; [unrolled: 1-line block ×4, first 2 shown]
	s_waitcnt vmcnt(1)
	v_sub_co_u32_e32 v10, vcc, v10, v14
	s_nop 1
	v_subb_co_u32_e32 v11, vcc, v11, v15, vcc
	s_waitcnt lgkmcnt(0)
	v_lshl_add_u64 v[10:11], v[10:11], 2, s[4:5]
	global_load_dword v17, v[10:11], off
	s_waitcnt vmcnt(1)
	v_cvt_f32_i32_sdwa v11, sext(v6) dst_sel:DWORD dst_unused:UNUSED_PAD src0_sel:BYTE_1
	v_cvt_f32_i32_sdwa v10, sext(v6) dst_sel:DWORD dst_unused:UNUSED_PAD src0_sel:BYTE_0
	v_cvt_f32_i32_sdwa v29, sext(v6) dst_sel:DWORD dst_unused:UNUSED_PAD src0_sel:BYTE_3
	v_cvt_f32_i32_sdwa v28, sext(v6) dst_sel:DWORD dst_unused:UNUSED_PAD src0_sel:BYTE_2
	v_cvt_f32_i32_sdwa v31, sext(v7) dst_sel:DWORD dst_unused:UNUSED_PAD src0_sel:BYTE_1
	v_cvt_f32_i32_sdwa v30, sext(v7) dst_sel:DWORD dst_unused:UNUSED_PAD src0_sel:BYTE_0
	v_cvt_f32_i32_sdwa v33, sext(v8) dst_sel:DWORD dst_unused:UNUSED_PAD src0_sel:BYTE_1
	v_cvt_f32_i32_sdwa v32, sext(v8) dst_sel:DWORD dst_unused:UNUSED_PAD src0_sel:BYTE_0
	v_cvt_f32_i32_sdwa v37, sext(v7) dst_sel:DWORD dst_unused:UNUSED_PAD src0_sel:BYTE_3
	v_cvt_f32_i32_sdwa v36, sext(v7) dst_sel:DWORD dst_unused:UNUSED_PAD src0_sel:BYTE_2
	v_cvt_f32_i32_sdwa v7, sext(v8) dst_sel:DWORD dst_unused:UNUSED_PAD src0_sel:BYTE_3
	v_cvt_f32_i32_sdwa v6, sext(v8) dst_sel:DWORD dst_unused:UNUSED_PAD src0_sel:BYTE_2
	v_cvt_f32_i32_sdwa v35, sext(v9) dst_sel:DWORD dst_unused:UNUSED_PAD src0_sel:BYTE_1
	v_cvt_f32_i32_sdwa v34, sext(v9) dst_sel:DWORD dst_unused:UNUSED_PAD src0_sel:BYTE_0
	v_cvt_f32_i32_sdwa v39, sext(v9) dst_sel:DWORD dst_unused:UNUSED_PAD src0_sel:BYTE_3
	v_cvt_f32_i32_sdwa v38, sext(v9) dst_sel:DWORD dst_unused:UNUSED_PAD src0_sel:BYTE_2
	v_cmp_eq_u64_e32 vcc, 0, v[4:5]
	s_or_b64 s[10:11], vcc, s[10:11]
	s_waitcnt vmcnt(0)
	v_cvt_f32_i32_sdwa v8, sext(v17) dst_sel:DWORD dst_unused:UNUSED_PAD src0_sel:BYTE_0
	v_cvt_f32_i32_sdwa v40, sext(v17) dst_sel:DWORD dst_unused:UNUSED_PAD src0_sel:BYTE_1
	v_cvt_f32_i32_sdwa v42, sext(v17) dst_sel:DWORD dst_unused:UNUSED_PAD src0_sel:BYTE_2
	v_cvt_f32_i32_sdwa v44, sext(v17) dst_sel:DWORD dst_unused:UNUSED_PAD src0_sel:BYTE_3
	v_pk_fma_f32 v[10:11], v[10:11], v[8:9], v[26:27] op_sel_hi:[1,0,1]
	v_pk_fma_f32 v[8:9], v[28:29], v[8:9], v[24:25] op_sel_hi:[1,0,1]
	;; [unrolled: 1-line block ×8, first 2 shown]
	s_andn2_b64 exec, exec, s[10:11]
	s_cbranch_execnz .LBB86_31
; %bb.32:
	s_or_b64 exec, exec, s[10:11]
.LBB86_33:
	s_or_b64 exec, exec, s[2:3]
	v_cmp_lt_u64_e32 vcc, 23, v[0:1]
	s_and_saveexec_b64 s[2:3], vcc
	s_cbranch_execz .LBB86_37
; %bb.34:
	v_lshl_add_u64 v[0:1], v[18:19], 3, s[8:9]
	s_mov_b64 s[8:9], 0x80
	v_lshl_add_u64 v[28:29], v[0:1], 0, s[8:9]
	s_mov_b64 s[8:9], 0
	s_mov_b64 s[10:11], 0x100
	s_mov_b64 s[14:15], 0x200
.LBB86_35:                              ; =>This Inner Loop Header: Depth=1
	global_load_dwordx4 v[0:3], v[22:23], off
	global_load_dwordx4 v[4:7], v[22:23], off offset:128
	global_load_dwordx4 v[8:11], v[22:23], off offset:256
	global_load_dwordx2 v[34:35], v[28:29], off offset:-128
	global_load_dwordx2 v[36:37], v[28:29], off offset:-64
	global_load_dwordx2 v[38:39], v[28:29], off
	global_load_dwordx2 v[40:41], v[28:29], off offset:64
	global_load_dwordx4 v[30:33], v[22:23], off offset:384
	v_lshl_add_u64 v[18:19], v[18:19], 0, 32
	v_cmp_ge_i64_e32 vcc, v[18:19], v[20:21]
	s_or_b64 s[8:9], vcc, s[8:9]
	v_lshl_add_u64 v[28:29], v[28:29], 0, s[10:11]
	v_lshl_add_u64 v[22:23], v[22:23], 0, s[14:15]
	s_waitcnt vmcnt(7)
	v_cvt_f32_i32_sdwa v43, sext(v0) dst_sel:DWORD dst_unused:UNUSED_PAD src0_sel:BYTE_1
	v_cvt_f32_i32_sdwa v42, sext(v0) dst_sel:DWORD dst_unused:UNUSED_PAD src0_sel:BYTE_0
	v_cvt_f32_i32_sdwa v45, sext(v0) dst_sel:DWORD dst_unused:UNUSED_PAD src0_sel:BYTE_3
	s_waitcnt vmcnt(4)
	v_sub_co_u32_e32 v34, vcc, v34, v14
	v_cvt_f32_i32_sdwa v44, sext(v0) dst_sel:DWORD dst_unused:UNUSED_PAD src0_sel:BYTE_2
	s_nop 0
	v_subb_co_u32_e32 v35, vcc, v35, v15, vcc
	s_waitcnt vmcnt(3)
	v_sub_co_u32_e32 v36, vcc, v36, v14
	s_waitcnt lgkmcnt(0)
	v_lshl_add_u64 v[34:35], v[34:35], 2, s[4:5]
	v_subb_co_u32_e32 v37, vcc, v37, v15, vcc
	s_waitcnt vmcnt(2)
	v_sub_co_u32_e32 v38, vcc, v38, v14
	v_lshl_add_u64 v[36:37], v[36:37], 2, s[4:5]
	s_nop 0
	v_subb_co_u32_e32 v39, vcc, v39, v15, vcc
	s_waitcnt vmcnt(1)
	v_sub_co_u32_e32 v40, vcc, v40, v14
	v_lshl_add_u64 v[38:39], v[38:39], 2, s[4:5]
	s_nop 0
	v_subb_co_u32_e32 v41, vcc, v41, v15, vcc
	v_lshl_add_u64 v[40:41], v[40:41], 2, s[4:5]
	global_load_dword v17, v[34:35], off
	global_load_dword v85, v[36:37], off
	;; [unrolled: 1-line block ×4, first 2 shown]
	v_cvt_f32_i32_sdwa v47, sext(v1) dst_sel:DWORD dst_unused:UNUSED_PAD src0_sel:BYTE_1
	v_cvt_f32_i32_sdwa v46, sext(v1) dst_sel:DWORD dst_unused:UNUSED_PAD src0_sel:BYTE_0
	v_cvt_f32_i32_sdwa v49, sext(v2) dst_sel:DWORD dst_unused:UNUSED_PAD src0_sel:BYTE_1
	v_cvt_f32_i32_sdwa v48, sext(v2) dst_sel:DWORD dst_unused:UNUSED_PAD src0_sel:BYTE_0
	;; [unrolled: 2-line block ×8, first 2 shown]
	v_cvt_f32_i32_sdwa v63, sext(v1) dst_sel:DWORD dst_unused:UNUSED_PAD src0_sel:BYTE_3
	v_cvt_f32_i32_sdwa v62, sext(v1) dst_sel:DWORD dst_unused:UNUSED_PAD src0_sel:BYTE_2
	v_cvt_f32_i32_sdwa v1, sext(v2) dst_sel:DWORD dst_unused:UNUSED_PAD src0_sel:BYTE_3
	v_cvt_f32_i32_sdwa v0, sext(v2) dst_sel:DWORD dst_unused:UNUSED_PAD src0_sel:BYTE_2
	;; [unrolled: 2-line block ×7, first 2 shown]
	v_cvt_f32_i32_sdwa v7, sext(v9) dst_sel:DWORD dst_unused:UNUSED_PAD src0_sel:BYTE_1
	v_cvt_f32_i32_sdwa v6, sext(v9) dst_sel:DWORD dst_unused:UNUSED_PAD src0_sel:BYTE_0
	v_cvt_f32_i32_sdwa v39, sext(v10) dst_sel:DWORD dst_unused:UNUSED_PAD src0_sel:BYTE_1
	v_cvt_f32_i32_sdwa v38, sext(v10) dst_sel:DWORD dst_unused:UNUSED_PAD src0_sel:BYTE_0
	v_cvt_f32_i32_sdwa v41, sext(v8) dst_sel:DWORD dst_unused:UNUSED_PAD src0_sel:BYTE_3
	v_cvt_f32_i32_sdwa v40, sext(v8) dst_sel:DWORD dst_unused:UNUSED_PAD src0_sel:BYTE_2
	v_cvt_f32_i32_sdwa v67, sext(v9) dst_sel:DWORD dst_unused:UNUSED_PAD src0_sel:BYTE_3
	v_cvt_f32_i32_sdwa v66, sext(v9) dst_sel:DWORD dst_unused:UNUSED_PAD src0_sel:BYTE_2
	;; [unrolled: 2-line block ×3, first 2 shown]
	v_cvt_f32_i32_sdwa v69, sext(v11) dst_sel:DWORD dst_unused:UNUSED_PAD src0_sel:BYTE_1
	v_cvt_f32_i32_sdwa v68, sext(v11) dst_sel:DWORD dst_unused:UNUSED_PAD src0_sel:BYTE_0
	v_cvt_f32_i32_sdwa v71, sext(v11) dst_sel:DWORD dst_unused:UNUSED_PAD src0_sel:BYTE_3
	v_cvt_f32_i32_sdwa v70, sext(v11) dst_sel:DWORD dst_unused:UNUSED_PAD src0_sel:BYTE_2
	s_waitcnt vmcnt(4)
	v_cvt_f32_i32_sdwa v11, sext(v30) dst_sel:DWORD dst_unused:UNUSED_PAD src0_sel:BYTE_1
	v_cvt_f32_i32_sdwa v10, sext(v30) dst_sel:DWORD dst_unused:UNUSED_PAD src0_sel:BYTE_0
	v_cvt_f32_i32_sdwa v73, sext(v31) dst_sel:DWORD dst_unused:UNUSED_PAD src0_sel:BYTE_1
	v_cvt_f32_i32_sdwa v72, sext(v31) dst_sel:DWORD dst_unused:UNUSED_PAD src0_sel:BYTE_0
	;; [unrolled: 2-line block ×3, first 2 shown]
	v_cvt_f32_i32_sdwa v79, sext(v30) dst_sel:DWORD dst_unused:UNUSED_PAD src0_sel:BYTE_3
	v_cvt_f32_i32_sdwa v78, sext(v30) dst_sel:DWORD dst_unused:UNUSED_PAD src0_sel:BYTE_2
	v_cvt_f32_i32_sdwa v81, sext(v31) dst_sel:DWORD dst_unused:UNUSED_PAD src0_sel:BYTE_3
	v_cvt_f32_i32_sdwa v80, sext(v31) dst_sel:DWORD dst_unused:UNUSED_PAD src0_sel:BYTE_2
	;; [unrolled: 2-line block ×3, first 2 shown]
	v_cvt_f32_i32_sdwa v77, sext(v33) dst_sel:DWORD dst_unused:UNUSED_PAD src0_sel:BYTE_1
	v_cvt_f32_i32_sdwa v76, sext(v33) dst_sel:DWORD dst_unused:UNUSED_PAD src0_sel:BYTE_0
	v_cvt_f32_i32_sdwa v83, sext(v33) dst_sel:DWORD dst_unused:UNUSED_PAD src0_sel:BYTE_3
	v_cvt_f32_i32_sdwa v82, sext(v33) dst_sel:DWORD dst_unused:UNUSED_PAD src0_sel:BYTE_2
	s_waitcnt vmcnt(3)
	v_cvt_f32_i32_sdwa v32, sext(v17) dst_sel:DWORD dst_unused:UNUSED_PAD src0_sel:BYTE_0
	v_cvt_f32_i32_sdwa v84, sext(v17) dst_sel:DWORD dst_unused:UNUSED_PAD src0_sel:BYTE_1
	v_cvt_f32_i32_sdwa v86, sext(v17) dst_sel:DWORD dst_unused:UNUSED_PAD src0_sel:BYTE_2
	v_cvt_f32_i32_sdwa v88, sext(v17) dst_sel:DWORD dst_unused:UNUSED_PAD src0_sel:BYTE_3
	s_waitcnt vmcnt(2)
	v_cvt_f32_i32_sdwa v90, sext(v85) dst_sel:DWORD dst_unused:UNUSED_PAD src0_sel:BYTE_0
	v_pk_fma_f32 v[26:27], v[42:43], v[32:33], v[26:27] op_sel_hi:[1,0,1]
	v_pk_fma_f32 v[24:25], v[44:45], v[32:33], v[24:25] op_sel_hi:[1,0,1]
	v_cvt_f32_i32_sdwa v92, sext(v85) dst_sel:DWORD dst_unused:UNUSED_PAD src0_sel:BYTE_1
	v_pk_fma_f32 v[26:27], v[46:47], v[84:85], v[26:27] op_sel_hi:[1,0,1]
	v_pk_fma_f32 v[24:25], v[62:63], v[84:85], v[24:25] op_sel_hi:[1,0,1]
	v_cvt_f32_i32_sdwa v94, sext(v85) dst_sel:DWORD dst_unused:UNUSED_PAD src0_sel:BYTE_2
	s_waitcnt vmcnt(1)
	v_pk_fma_f32 v[26:27], v[48:49], v[86:87], v[26:27] op_sel_hi:[1,0,1]
	v_pk_fma_f32 v[0:1], v[0:1], v[86:87], v[24:25] op_sel_hi:[1,0,1]
	v_cvt_f32_i32_sdwa v96, sext(v85) dst_sel:DWORD dst_unused:UNUSED_PAD src0_sel:BYTE_3
	s_waitcnt vmcnt(0)
	v_pk_fma_f32 v[24:25], v[50:51], v[88:89], v[26:27] op_sel_hi:[1,0,1]
	v_pk_fma_f32 v[0:1], v[64:65], v[88:89], v[0:1] op_sel_hi:[1,0,1]
	v_cvt_f32_i32_sdwa v98, sext(v87) dst_sel:DWORD dst_unused:UNUSED_PAD src0_sel:BYTE_0
	v_pk_fma_f32 v[24:25], v[52:53], v[90:91], v[24:25] op_sel_hi:[1,0,1]
	v_pk_fma_f32 v[0:1], v[2:3], v[90:91], v[0:1] op_sel_hi:[1,0,1]
	v_cvt_f32_i32_sdwa v100, sext(v87) dst_sel:DWORD dst_unused:UNUSED_PAD src0_sel:BYTE_1
	v_pk_fma_f32 v[2:3], v[54:55], v[92:93], v[24:25] op_sel_hi:[1,0,1]
	v_pk_fma_f32 v[0:1], v[34:35], v[92:93], v[0:1] op_sel_hi:[1,0,1]
	v_cvt_f32_i32_sdwa v102, sext(v87) dst_sel:DWORD dst_unused:UNUSED_PAD src0_sel:BYTE_2
	v_pk_fma_f32 v[2:3], v[56:57], v[94:95], v[2:3] op_sel_hi:[1,0,1]
	v_pk_fma_f32 v[0:1], v[4:5], v[94:95], v[0:1] op_sel_hi:[1,0,1]
	v_cvt_f32_i32_sdwa v104, sext(v87) dst_sel:DWORD dst_unused:UNUSED_PAD src0_sel:BYTE_3
	v_pk_fma_f32 v[2:3], v[58:59], v[96:97], v[2:3] op_sel_hi:[1,0,1]
	v_pk_fma_f32 v[0:1], v[36:37], v[96:97], v[0:1] op_sel_hi:[1,0,1]
	v_cvt_f32_i32_sdwa v106, sext(v89) dst_sel:DWORD dst_unused:UNUSED_PAD src0_sel:BYTE_0
	v_pk_fma_f32 v[2:3], v[60:61], v[98:99], v[2:3] op_sel_hi:[1,0,1]
	v_pk_fma_f32 v[0:1], v[40:41], v[98:99], v[0:1] op_sel_hi:[1,0,1]
	v_cvt_f32_i32_sdwa v108, sext(v89) dst_sel:DWORD dst_unused:UNUSED_PAD src0_sel:BYTE_1
	v_pk_fma_f32 v[2:3], v[6:7], v[100:101], v[2:3] op_sel_hi:[1,0,1]
	v_pk_fma_f32 v[0:1], v[66:67], v[100:101], v[0:1] op_sel_hi:[1,0,1]
	v_cvt_f32_i32_sdwa v110, sext(v89) dst_sel:DWORD dst_unused:UNUSED_PAD src0_sel:BYTE_2
	v_pk_fma_f32 v[2:3], v[38:39], v[102:103], v[2:3] op_sel_hi:[1,0,1]
	v_pk_fma_f32 v[0:1], v[8:9], v[102:103], v[0:1] op_sel_hi:[1,0,1]
	v_cvt_f32_i32_sdwa v112, sext(v89) dst_sel:DWORD dst_unused:UNUSED_PAD src0_sel:BYTE_3
	v_pk_fma_f32 v[2:3], v[68:69], v[104:105], v[2:3] op_sel_hi:[1,0,1]
	v_pk_fma_f32 v[0:1], v[70:71], v[104:105], v[0:1] op_sel_hi:[1,0,1]
	;; [unrolled: 1-line block ×10, first 2 shown]
	s_andn2_b64 exec, exec, s[8:9]
	s_cbranch_execnz .LBB86_35
; %bb.36:
	s_or_b64 exec, exec, s[8:9]
.LBB86_37:
	s_or_b64 exec, exec, s[2:3]
.LBB86_38:
	s_or_b64 exec, exec, s[6:7]
.LBB86_39:
	v_mov_b32_dpp v0, v26 row_shr:1 row_mask:0xf bank_mask:0xf
	v_mov_b32_dpp v1, v27 row_shr:1 row_mask:0xf bank_mask:0xf
	;; [unrolled: 1-line block ×4, first 2 shown]
	v_pk_add_f32 v[0:1], v[26:27], v[0:1]
	v_pk_add_f32 v[4:5], v[24:25], v[4:5]
	v_cmp_eq_u32_e32 vcc, 7, v16
	v_mov_b32_dpp v2, v0 row_shr:2 row_mask:0xf bank_mask:0xf
	v_mov_b32_dpp v3, v1 row_shr:2 row_mask:0xf bank_mask:0xf
	;; [unrolled: 1-line block ×4, first 2 shown]
	v_pk_add_f32 v[0:1], v[0:1], v[2:3]
	v_pk_add_f32 v[6:7], v[4:5], v[6:7]
	s_nop 0
	v_mov_b32_dpp v2, v0 row_shr:4 row_mask:0xf bank_mask:0xe
	v_mov_b32_dpp v3, v1 row_shr:4 row_mask:0xf bank_mask:0xe
	;; [unrolled: 1-line block ×4, first 2 shown]
	s_and_b64 exec, exec, vcc
	s_cbranch_execz .LBB86_10
; %bb.40:
	s_load_dwordx2 s[0:1], s[0:1], 0x58
	v_cmp_eq_f32_e64 s[2:3], s16, 0
	v_pk_add_f32 v[4:5], v[0:1], v[2:3]
	v_pk_add_f32 v[2:3], v[6:7], v[8:9]
	s_and_b64 vcc, exec, s[2:3]
	s_waitcnt lgkmcnt(0)
	v_lshl_add_u64 v[0:1], v[12:13], 4, s[0:1]
	s_cbranch_vccz .LBB86_42
; %bb.41:
	v_pk_mul_f32 v[6:7], s[12:13], v[4:5] op_sel_hi:[0,1]
	v_pk_mul_f32 v[8:9], s[12:13], v[2:3] op_sel_hi:[0,1]
	global_store_dwordx4 v[0:1], v[6:9], off
	s_cbranch_execnz .LBB86_10
	s_branch .LBB86_43
.LBB86_42:
.LBB86_43:
	global_load_dwordx4 v[6:9], v[0:1], off
	v_pk_mul_f32 v[4:5], s[12:13], v[4:5] op_sel_hi:[0,1]
	v_pk_mul_f32 v[10:11], s[12:13], v[2:3] op_sel_hi:[0,1]
	s_waitcnt vmcnt(0)
	v_pk_fma_f32 v[2:3], s[16:17], v[6:7], v[4:5] op_sel_hi:[0,1,1]
	v_pk_fma_f32 v[4:5], s[16:17], v[8:9], v[10:11] op_sel_hi:[0,1,1]
	global_store_dwordx4 v[0:1], v[2:5], off
	s_endpgm
	.section	.rodata,"a",@progbits
	.p2align	6, 0x0
	.amdhsa_kernel _ZN9rocsparseL18bsrxmvn_4x4_kernelILj128ELj8EfllaafEEvT3_20rocsparse_direction_NS_24const_host_device_scalarIT1_EES1_PKS1_PKT2_SA_S7_PKT4_PKT5_S5_PT6_21rocsparse_index_base_b
		.amdhsa_group_segment_fixed_size 0
		.amdhsa_private_segment_fixed_size 0
		.amdhsa_kernarg_size 104
		.amdhsa_user_sgpr_count 2
		.amdhsa_user_sgpr_dispatch_ptr 0
		.amdhsa_user_sgpr_queue_ptr 0
		.amdhsa_user_sgpr_kernarg_segment_ptr 1
		.amdhsa_user_sgpr_dispatch_id 0
		.amdhsa_user_sgpr_kernarg_preload_length 0
		.amdhsa_user_sgpr_kernarg_preload_offset 0
		.amdhsa_user_sgpr_private_segment_size 0
		.amdhsa_uses_dynamic_stack 0
		.amdhsa_enable_private_segment 0
		.amdhsa_system_sgpr_workgroup_id_x 1
		.amdhsa_system_sgpr_workgroup_id_y 0
		.amdhsa_system_sgpr_workgroup_id_z 0
		.amdhsa_system_sgpr_workgroup_info 0
		.amdhsa_system_vgpr_workitem_id 0
		.amdhsa_next_free_vgpr 120
		.amdhsa_next_free_sgpr 22
		.amdhsa_accum_offset 120
		.amdhsa_reserve_vcc 1
		.amdhsa_float_round_mode_32 0
		.amdhsa_float_round_mode_16_64 0
		.amdhsa_float_denorm_mode_32 3
		.amdhsa_float_denorm_mode_16_64 3
		.amdhsa_dx10_clamp 1
		.amdhsa_ieee_mode 1
		.amdhsa_fp16_overflow 0
		.amdhsa_tg_split 0
		.amdhsa_exception_fp_ieee_invalid_op 0
		.amdhsa_exception_fp_denorm_src 0
		.amdhsa_exception_fp_ieee_div_zero 0
		.amdhsa_exception_fp_ieee_overflow 0
		.amdhsa_exception_fp_ieee_underflow 0
		.amdhsa_exception_fp_ieee_inexact 0
		.amdhsa_exception_int_div_zero 0
	.end_amdhsa_kernel
	.section	.text._ZN9rocsparseL18bsrxmvn_4x4_kernelILj128ELj8EfllaafEEvT3_20rocsparse_direction_NS_24const_host_device_scalarIT1_EES1_PKS1_PKT2_SA_S7_PKT4_PKT5_S5_PT6_21rocsparse_index_base_b,"axG",@progbits,_ZN9rocsparseL18bsrxmvn_4x4_kernelILj128ELj8EfllaafEEvT3_20rocsparse_direction_NS_24const_host_device_scalarIT1_EES1_PKS1_PKT2_SA_S7_PKT4_PKT5_S5_PT6_21rocsparse_index_base_b,comdat
.Lfunc_end86:
	.size	_ZN9rocsparseL18bsrxmvn_4x4_kernelILj128ELj8EfllaafEEvT3_20rocsparse_direction_NS_24const_host_device_scalarIT1_EES1_PKS1_PKT2_SA_S7_PKT4_PKT5_S5_PT6_21rocsparse_index_base_b, .Lfunc_end86-_ZN9rocsparseL18bsrxmvn_4x4_kernelILj128ELj8EfllaafEEvT3_20rocsparse_direction_NS_24const_host_device_scalarIT1_EES1_PKS1_PKT2_SA_S7_PKT4_PKT5_S5_PT6_21rocsparse_index_base_b
                                        ; -- End function
	.set _ZN9rocsparseL18bsrxmvn_4x4_kernelILj128ELj8EfllaafEEvT3_20rocsparse_direction_NS_24const_host_device_scalarIT1_EES1_PKS1_PKT2_SA_S7_PKT4_PKT5_S5_PT6_21rocsparse_index_base_b.num_vgpr, 120
	.set _ZN9rocsparseL18bsrxmvn_4x4_kernelILj128ELj8EfllaafEEvT3_20rocsparse_direction_NS_24const_host_device_scalarIT1_EES1_PKS1_PKT2_SA_S7_PKT4_PKT5_S5_PT6_21rocsparse_index_base_b.num_agpr, 0
	.set _ZN9rocsparseL18bsrxmvn_4x4_kernelILj128ELj8EfllaafEEvT3_20rocsparse_direction_NS_24const_host_device_scalarIT1_EES1_PKS1_PKT2_SA_S7_PKT4_PKT5_S5_PT6_21rocsparse_index_base_b.numbered_sgpr, 22
	.set _ZN9rocsparseL18bsrxmvn_4x4_kernelILj128ELj8EfllaafEEvT3_20rocsparse_direction_NS_24const_host_device_scalarIT1_EES1_PKS1_PKT2_SA_S7_PKT4_PKT5_S5_PT6_21rocsparse_index_base_b.num_named_barrier, 0
	.set _ZN9rocsparseL18bsrxmvn_4x4_kernelILj128ELj8EfllaafEEvT3_20rocsparse_direction_NS_24const_host_device_scalarIT1_EES1_PKS1_PKT2_SA_S7_PKT4_PKT5_S5_PT6_21rocsparse_index_base_b.private_seg_size, 0
	.set _ZN9rocsparseL18bsrxmvn_4x4_kernelILj128ELj8EfllaafEEvT3_20rocsparse_direction_NS_24const_host_device_scalarIT1_EES1_PKS1_PKT2_SA_S7_PKT4_PKT5_S5_PT6_21rocsparse_index_base_b.uses_vcc, 1
	.set _ZN9rocsparseL18bsrxmvn_4x4_kernelILj128ELj8EfllaafEEvT3_20rocsparse_direction_NS_24const_host_device_scalarIT1_EES1_PKS1_PKT2_SA_S7_PKT4_PKT5_S5_PT6_21rocsparse_index_base_b.uses_flat_scratch, 0
	.set _ZN9rocsparseL18bsrxmvn_4x4_kernelILj128ELj8EfllaafEEvT3_20rocsparse_direction_NS_24const_host_device_scalarIT1_EES1_PKS1_PKT2_SA_S7_PKT4_PKT5_S5_PT6_21rocsparse_index_base_b.has_dyn_sized_stack, 0
	.set _ZN9rocsparseL18bsrxmvn_4x4_kernelILj128ELj8EfllaafEEvT3_20rocsparse_direction_NS_24const_host_device_scalarIT1_EES1_PKS1_PKT2_SA_S7_PKT4_PKT5_S5_PT6_21rocsparse_index_base_b.has_recursion, 0
	.set _ZN9rocsparseL18bsrxmvn_4x4_kernelILj128ELj8EfllaafEEvT3_20rocsparse_direction_NS_24const_host_device_scalarIT1_EES1_PKS1_PKT2_SA_S7_PKT4_PKT5_S5_PT6_21rocsparse_index_base_b.has_indirect_call, 0
	.section	.AMDGPU.csdata,"",@progbits
; Kernel info:
; codeLenInByte = 4248
; TotalNumSgprs: 28
; NumVgprs: 120
; NumAgprs: 0
; TotalNumVgprs: 120
; ScratchSize: 0
; MemoryBound: 0
; FloatMode: 240
; IeeeMode: 1
; LDSByteSize: 0 bytes/workgroup (compile time only)
; SGPRBlocks: 3
; VGPRBlocks: 14
; NumSGPRsForWavesPerEU: 28
; NumVGPRsForWavesPerEU: 120
; AccumOffset: 120
; Occupancy: 4
; WaveLimiterHint : 1
; COMPUTE_PGM_RSRC2:SCRATCH_EN: 0
; COMPUTE_PGM_RSRC2:USER_SGPR: 2
; COMPUTE_PGM_RSRC2:TRAP_HANDLER: 0
; COMPUTE_PGM_RSRC2:TGID_X_EN: 1
; COMPUTE_PGM_RSRC2:TGID_Y_EN: 0
; COMPUTE_PGM_RSRC2:TGID_Z_EN: 0
; COMPUTE_PGM_RSRC2:TIDIG_COMP_CNT: 0
; COMPUTE_PGM_RSRC3_GFX90A:ACCUM_OFFSET: 29
; COMPUTE_PGM_RSRC3_GFX90A:TG_SPLIT: 0
	.section	.text._ZN9rocsparseL18bsrxmvn_4x4_kernelILj128ELj16EfllaafEEvT3_20rocsparse_direction_NS_24const_host_device_scalarIT1_EES1_PKS1_PKT2_SA_S7_PKT4_PKT5_S5_PT6_21rocsparse_index_base_b,"axG",@progbits,_ZN9rocsparseL18bsrxmvn_4x4_kernelILj128ELj16EfllaafEEvT3_20rocsparse_direction_NS_24const_host_device_scalarIT1_EES1_PKS1_PKT2_SA_S7_PKT4_PKT5_S5_PT6_21rocsparse_index_base_b,comdat
	.globl	_ZN9rocsparseL18bsrxmvn_4x4_kernelILj128ELj16EfllaafEEvT3_20rocsparse_direction_NS_24const_host_device_scalarIT1_EES1_PKS1_PKT2_SA_S7_PKT4_PKT5_S5_PT6_21rocsparse_index_base_b ; -- Begin function _ZN9rocsparseL18bsrxmvn_4x4_kernelILj128ELj16EfllaafEEvT3_20rocsparse_direction_NS_24const_host_device_scalarIT1_EES1_PKS1_PKT2_SA_S7_PKT4_PKT5_S5_PT6_21rocsparse_index_base_b
	.p2align	8
	.type	_ZN9rocsparseL18bsrxmvn_4x4_kernelILj128ELj16EfllaafEEvT3_20rocsparse_direction_NS_24const_host_device_scalarIT1_EES1_PKS1_PKT2_SA_S7_PKT4_PKT5_S5_PT6_21rocsparse_index_base_b,@function
_ZN9rocsparseL18bsrxmvn_4x4_kernelILj128ELj16EfllaafEEvT3_20rocsparse_direction_NS_24const_host_device_scalarIT1_EES1_PKS1_PKT2_SA_S7_PKT4_PKT5_S5_PT6_21rocsparse_index_base_b: ; @_ZN9rocsparseL18bsrxmvn_4x4_kernelILj128ELj16EfllaafEEvT3_20rocsparse_direction_NS_24const_host_device_scalarIT1_EES1_PKS1_PKT2_SA_S7_PKT4_PKT5_S5_PT6_21rocsparse_index_base_b
; %bb.0:
	s_load_dwordx2 s[4:5], s[0:1], 0x60
	s_load_dwordx4 s[12:15], s[0:1], 0x10
	s_load_dwordx2 s[16:17], s[0:1], 0x50
	s_waitcnt lgkmcnt(0)
	s_bitcmp1_b32 s5, 0
	s_cselect_b64 s[8:9], -1, 0
	s_xor_b64 s[6:7], s[8:9], -1
	s_and_b64 vcc, exec, s[8:9]
	s_cbranch_vccnz .LBB87_2
; %bb.1:
	s_load_dword s12, s[12:13], 0x0
.LBB87_2:
	s_andn2_b64 vcc, exec, s[6:7]
	s_cbranch_vccnz .LBB87_4
; %bb.3:
	s_load_dword s16, s[16:17], 0x0
.LBB87_4:
	s_waitcnt lgkmcnt(0)
	v_cmp_neq_f32_e64 s[6:7], s12, 0
	v_cmp_neq_f32_e64 s[8:9], s16, 1.0
	s_or_b64 s[6:7], s[6:7], s[8:9]
	s_andn2_b64 vcc, exec, s[6:7]
	s_cbranch_vccnz .LBB87_10
; %bb.5:
	s_load_dwordx2 s[6:7], s[0:1], 0x20
	v_lshrrev_b32_e32 v1, 4, v0
	v_lshl_or_b32 v2, s2, 3, v1
	v_mov_b32_e32 v3, 0
	s_mov_b64 s[2:3], 0
	s_waitcnt lgkmcnt(0)
	s_cmp_lg_u64 s[6:7], 0
	s_cbranch_scc0 .LBB87_11
; %bb.6:
	v_cmp_gt_i64_e32 vcc, s[14:15], v[2:3]
                                        ; implicit-def: $vgpr12_vgpr13
                                        ; implicit-def: $vgpr14_vgpr15
	s_and_saveexec_b64 s[8:9], vcc
	s_xor_b64 s[8:9], exec, s[8:9]
	s_cbranch_execz .LBB87_8
; %bb.7:
	v_lshl_add_u64 v[4:5], v[2:3], 3, s[6:7]
	global_load_dwordx2 v[4:5], v[4:5], off
	s_mov_b32 s5, 0
	s_mov_b64 s[2:3], exec
	v_mov_b64_e32 v[14:15], s[4:5]
	s_waitcnt vmcnt(0)
	v_subrev_co_u32_e32 v12, vcc, s4, v4
	s_nop 1
	v_subbrev_co_u32_e32 v13, vcc, 0, v5, vcc
.LBB87_8:
	s_or_b64 exec, exec, s[8:9]
.LBB87_9:
	s_and_saveexec_b64 s[4:5], s[2:3]
	s_cbranch_execnz .LBB87_15
.LBB87_10:
	s_endpgm
.LBB87_11:
                                        ; implicit-def: $vgpr12_vgpr13
                                        ; implicit-def: $vgpr14_vgpr15
	s_cbranch_execz .LBB87_9
; %bb.12:
	s_load_dwordx2 s[6:7], s[0:1], 0x0
	s_waitcnt lgkmcnt(0)
	v_cmp_gt_i64_e32 vcc, s[6:7], v[2:3]
	s_and_saveexec_b64 s[6:7], vcc
; %bb.13:
	s_mov_b32 s5, 0
	s_or_b64 s[2:3], s[2:3], exec
; %bb.14:
	s_or_b64 exec, exec, s[6:7]
	v_mov_b64_e32 v[14:15], s[4:5]
	v_mov_b64_e32 v[12:13], v[2:3]
	s_and_saveexec_b64 s[4:5], s[2:3]
	s_cbranch_execz .LBB87_10
.LBB87_15:
	s_load_dwordx8 s[4:11], s[0:1], 0x28
	v_lshlrev_b64 v[2:3], 3, v[12:13]
	s_load_dword s2, s[0:1], 0x8
	v_and_b32_e32 v16, 15, v0
	v_mov_b32_e32 v17, 0
	s_waitcnt lgkmcnt(0)
	v_lshl_add_u64 v[6:7], s[4:5], 0, v[2:3]
	s_cmp_eq_u64 s[6:7], 0
	v_lshl_add_u64 v[2:3], s[6:7], 0, v[2:3]
	global_load_dwordx2 v[4:5], v[6:7], off
	v_lshl_add_u64 v[6:7], v[6:7], 0, 8
	s_cselect_b64 vcc, -1, 0
	v_cndmask_b32_e32 v3, v3, v7, vcc
	v_cndmask_b32_e32 v2, v2, v6, vcc
	global_load_dwordx2 v[2:3], v[2:3], off
	s_load_dwordx2 s[4:5], s[0:1], 0x48
	s_cmp_eq_u32 s2, 1
	s_waitcnt vmcnt(1)
	v_sub_co_u32_e32 v0, vcc, v4, v14
	s_nop 1
	v_subb_co_u32_e32 v1, vcc, v5, v15, vcc
	v_lshl_add_u64 v[18:19], v[0:1], 0, v[16:17]
	s_waitcnt vmcnt(0)
	v_sub_co_u32_e32 v20, vcc, v2, v14
	v_lshl_add_u64 v[22:23], v[18:19], 4, s[10:11]
	s_nop 0
	v_subb_co_u32_e32 v21, vcc, v3, v15, vcc
	v_cmp_lt_i64_e64 s[2:3], v[18:19], v[20:21]
	s_cbranch_scc1 .LBB87_27
; %bb.16:
	v_mov_b32_e32 v24, v17
	v_mov_b32_e32 v27, v17
	;; [unrolled: 1-line block ×3, first 2 shown]
	s_and_saveexec_b64 s[6:7], s[2:3]
	s_cbranch_execz .LBB87_26
; %bb.17:
	v_or_b32_e32 v0, 16, v16
	v_sub_co_u32_e32 v0, vcc, v0, v14
	v_not_b32_e32 v3, v5
	s_nop 0
	v_subb_co_u32_e32 v1, vcc, 0, v15, vcc
	v_lshl_add_u64 v[0:1], v[0:1], 0, v[4:5]
	v_cmp_gt_i64_e32 vcc, v[0:1], v[20:21]
	v_not_b32_e32 v2, v4
	v_mov_b32_e32 v27, 0
	v_cndmask_b32_e32 v1, v21, v1, vcc
	v_cndmask_b32_e32 v0, v20, v0, vcc
	v_sub_co_u32_e32 v6, vcc, v14, v16
	v_mov_b32_e32 v24, v27
	s_nop 0
	v_subbrev_co_u32_e32 v7, vcc, 0, v15, vcc
	v_lshl_add_u64 v[2:3], v[6:7], 0, v[2:3]
	v_lshl_add_u64 v[0:1], v[2:3], 0, v[0:1]
	v_and_b32_e32 v26, 48, v0
	v_cmp_ne_u64_e32 vcc, 48, v[26:27]
	v_mov_b32_e32 v26, v27
	v_mov_b32_e32 v25, v27
	v_mov_b64_e32 v[6:7], v[18:19]
	v_mov_b64_e32 v[8:9], v[22:23]
	s_and_saveexec_b64 s[10:11], vcc
	s_cbranch_execz .LBB87_21
; %bb.18:
	v_lshrrev_b32_e32 v2, 4, v0
	v_add_u32_e32 v2, 1, v2
	v_and_b32_e32 v6, 3, v2
	v_sub_co_u32_e32 v10, vcc, 0, v6
	v_mov_b32_e32 v25, 0
	s_nop 0
	v_subb_co_u32_e64 v11, s[18:19], 0, 0, vcc
	v_lshl_add_u64 v[2:3], v[18:19], 3, s[8:9]
	s_mov_b64 s[14:15], 0
	s_mov_b64 s[18:19], 0x100
	s_mov_b64 s[20:21], 0x80
	v_mov_b64_e32 v[8:9], v[22:23]
	v_mov_b64_e32 v[6:7], v[18:19]
	v_mov_b32_e32 v24, v25
	v_mov_b32_e32 v27, v25
	;; [unrolled: 1-line block ×3, first 2 shown]
.LBB87_19:                              ; =>This Inner Loop Header: Depth=1
	global_load_dwordx2 v[32:33], v[2:3], off
	global_load_dwordx4 v[28:31], v[8:9], off
	v_lshl_add_u64 v[10:11], v[10:11], 0, 1
	v_lshl_add_u64 v[8:9], v[8:9], 0, s[18:19]
	;; [unrolled: 1-line block ×4, first 2 shown]
	s_waitcnt vmcnt(1)
	v_sub_co_u32_e32 v32, vcc, v32, v14
	s_nop 1
	v_subb_co_u32_e32 v33, vcc, v33, v15, vcc
	s_waitcnt lgkmcnt(0)
	v_lshl_add_u64 v[32:33], v[32:33], 2, s[4:5]
	global_load_dword v17, v[32:33], off
	s_waitcnt vmcnt(1)
	v_cvt_f32_i32_sdwa v41, sext(v28) dst_sel:DWORD dst_unused:UNUSED_PAD src0_sel:BYTE_0
	v_cvt_f32_i32_sdwa v43, sext(v29) dst_sel:DWORD dst_unused:UNUSED_PAD src0_sel:BYTE_0
	;; [unrolled: 1-line block ×4, first 2 shown]
	v_cvt_f32_i32_sdwa v32, sext(v28) dst_sel:DWORD dst_unused:UNUSED_PAD src0_sel:BYTE_1
	v_cvt_f32_i32_sdwa v33, sext(v29) dst_sel:DWORD dst_unused:UNUSED_PAD src0_sel:BYTE_1
	;; [unrolled: 1-line block ×4, first 2 shown]
	v_cvt_f32_i32_sdwa v35, sext(v29) dst_sel:DWORD dst_unused:UNUSED_PAD src0_sel:BYTE_2
	v_cvt_f32_i32_sdwa v34, sext(v28) dst_sel:DWORD dst_unused:UNUSED_PAD src0_sel:BYTE_2
	v_cvt_f32_i32_sdwa v39, sext(v31) dst_sel:DWORD dst_unused:UNUSED_PAD src0_sel:BYTE_2
	v_cvt_f32_i32_sdwa v38, sext(v30) dst_sel:DWORD dst_unused:UNUSED_PAD src0_sel:BYTE_2
	v_cvt_f32_i32_sdwa v29, sext(v29) dst_sel:DWORD dst_unused:UNUSED_PAD src0_sel:BYTE_3
	v_cvt_f32_i32_sdwa v28, sext(v28) dst_sel:DWORD dst_unused:UNUSED_PAD src0_sel:BYTE_3
	v_cvt_f32_i32_sdwa v31, sext(v31) dst_sel:DWORD dst_unused:UNUSED_PAD src0_sel:BYTE_3
	v_cvt_f32_i32_sdwa v30, sext(v30) dst_sel:DWORD dst_unused:UNUSED_PAD src0_sel:BYTE_3
	v_cmp_eq_u64_e32 vcc, 0, v[10:11]
	s_or_b64 s[14:15], vcc, s[14:15]
	s_waitcnt vmcnt(0)
	v_cvt_f32_i32_sdwa v47, sext(v17) dst_sel:DWORD dst_unused:UNUSED_PAD src0_sel:BYTE_0
	v_cvt_f32_i32_sdwa v40, sext(v17) dst_sel:DWORD dst_unused:UNUSED_PAD src0_sel:BYTE_1
	v_cvt_f32_i32_sdwa v42, sext(v17) dst_sel:DWORD dst_unused:UNUSED_PAD src0_sel:BYTE_2
	v_cvt_f32_i32_sdwa v44, sext(v17) dst_sel:DWORD dst_unused:UNUSED_PAD src0_sel:BYTE_3
	v_fmac_f32_e32 v26, v41, v47
	v_fmac_f32_e32 v27, v43, v47
	v_fmac_f32_e32 v24, v45, v47
	v_fmac_f32_e32 v25, v46, v47
	v_pk_fma_f32 v[26:27], v[32:33], v[40:41], v[26:27] op_sel_hi:[1,0,1]
	v_pk_fma_f32 v[24:25], v[36:37], v[40:41], v[24:25] op_sel_hi:[1,0,1]
	;; [unrolled: 1-line block ×6, first 2 shown]
	s_andn2_b64 exec, exec, s[14:15]
	s_cbranch_execnz .LBB87_19
; %bb.20:
	s_or_b64 exec, exec, s[14:15]
.LBB87_21:
	s_or_b64 exec, exec, s[10:11]
	v_cmp_lt_u64_e32 vcc, 47, v[0:1]
	s_and_saveexec_b64 s[10:11], vcc
	s_cbranch_execz .LBB87_25
; %bb.22:
	v_lshl_add_u64 v[0:1], v[6:7], 3, s[8:9]
	s_mov_b64 s[14:15], 0x100
	v_lshl_add_u64 v[10:11], v[0:1], 0, s[14:15]
	s_mov_b64 s[14:15], 0
	s_mov_b64 s[18:19], 0x200
	;; [unrolled: 1-line block ×3, first 2 shown]
.LBB87_23:                              ; =>This Inner Loop Header: Depth=1
	global_load_dwordx2 v[40:41], v[10:11], off offset:-256
	global_load_dwordx4 v[0:3], v[8:9], off
	global_load_dwordx2 v[42:43], v[10:11], off offset:-128
	global_load_dwordx2 v[44:45], v[10:11], off
	global_load_dwordx4 v[28:31], v[8:9], off offset:256
	global_load_dwordx4 v[32:35], v[8:9], off offset:512
	global_load_dwordx2 v[46:47], v[10:11], off offset:128
	global_load_dwordx4 v[36:39], v[8:9], off offset:768
	v_lshl_add_u64 v[6:7], v[6:7], 0, 64
	v_cmp_ge_i64_e32 vcc, v[6:7], v[20:21]
	s_or_b64 s[14:15], vcc, s[14:15]
	v_lshl_add_u64 v[10:11], v[10:11], 0, s[18:19]
	v_lshl_add_u64 v[8:9], v[8:9], 0, s[20:21]
	s_waitcnt vmcnt(7)
	v_sub_co_u32_e32 v40, vcc, v40, v14
	s_nop 1
	v_subb_co_u32_e32 v41, vcc, v41, v15, vcc
	s_waitcnt vmcnt(5)
	v_sub_co_u32_e32 v42, vcc, v42, v14
	s_waitcnt lgkmcnt(0)
	v_lshl_add_u64 v[40:41], v[40:41], 2, s[4:5]
	v_subb_co_u32_e32 v43, vcc, v43, v15, vcc
	s_waitcnt vmcnt(4)
	v_sub_co_u32_e32 v44, vcc, v44, v14
	v_lshl_add_u64 v[42:43], v[42:43], 2, s[4:5]
	s_nop 0
	v_subb_co_u32_e32 v45, vcc, v45, v15, vcc
	s_waitcnt vmcnt(1)
	v_sub_co_u32_e32 v46, vcc, v46, v14
	v_lshl_add_u64 v[44:45], v[44:45], 2, s[4:5]
	s_nop 0
	v_subb_co_u32_e32 v47, vcc, v47, v15, vcc
	v_lshl_add_u64 v[46:47], v[46:47], 2, s[4:5]
	global_load_dword v88, v[40:41], off
	global_load_dword v91, v[42:43], off
	;; [unrolled: 1-line block ×4, first 2 shown]
	v_cvt_f32_i32_sdwa v17, sext(v0) dst_sel:DWORD dst_unused:UNUSED_PAD src0_sel:BYTE_0
	v_cvt_f32_i32_sdwa v85, sext(v1) dst_sel:DWORD dst_unused:UNUSED_PAD src0_sel:BYTE_0
	v_cvt_f32_i32_sdwa v87, sext(v2) dst_sel:DWORD dst_unused:UNUSED_PAD src0_sel:BYTE_0
	v_cvt_f32_i32_sdwa v89, sext(v3) dst_sel:DWORD dst_unused:UNUSED_PAD src0_sel:BYTE_0
	v_cvt_f32_i32_sdwa v48, sext(v0) dst_sel:DWORD dst_unused:UNUSED_PAD src0_sel:BYTE_1
	v_cvt_f32_i32_sdwa v49, sext(v1) dst_sel:DWORD dst_unused:UNUSED_PAD src0_sel:BYTE_1
	v_cvt_f32_i32_sdwa v50, sext(v2) dst_sel:DWORD dst_unused:UNUSED_PAD src0_sel:BYTE_1
	v_cvt_f32_i32_sdwa v51, sext(v3) dst_sel:DWORD dst_unused:UNUSED_PAD src0_sel:BYTE_1
	v_cvt_f32_i32_sdwa v53, sext(v1) dst_sel:DWORD dst_unused:UNUSED_PAD src0_sel:BYTE_2
	v_cvt_f32_i32_sdwa v52, sext(v0) dst_sel:DWORD dst_unused:UNUSED_PAD src0_sel:BYTE_2
	v_cvt_f32_i32_sdwa v41, sext(v3) dst_sel:DWORD dst_unused:UNUSED_PAD src0_sel:BYTE_2
	v_cvt_f32_i32_sdwa v40, sext(v2) dst_sel:DWORD dst_unused:UNUSED_PAD src0_sel:BYTE_2
	v_cvt_f32_i32_sdwa v1, sext(v1) dst_sel:DWORD dst_unused:UNUSED_PAD src0_sel:BYTE_3
	v_cvt_f32_i32_sdwa v0, sext(v0) dst_sel:DWORD dst_unused:UNUSED_PAD src0_sel:BYTE_3
	v_cvt_f32_i32_sdwa v3, sext(v3) dst_sel:DWORD dst_unused:UNUSED_PAD src0_sel:BYTE_3
	v_cvt_f32_i32_sdwa v2, sext(v2) dst_sel:DWORD dst_unused:UNUSED_PAD src0_sel:BYTE_3
	v_cvt_f32_i32_sdwa v55, sext(v29) dst_sel:DWORD dst_unused:UNUSED_PAD src0_sel:BYTE_0
	v_cvt_f32_i32_sdwa v54, sext(v28) dst_sel:DWORD dst_unused:UNUSED_PAD src0_sel:BYTE_0
	v_cvt_f32_i32_sdwa v43, sext(v31) dst_sel:DWORD dst_unused:UNUSED_PAD src0_sel:BYTE_0
	v_cvt_f32_i32_sdwa v42, sext(v30) dst_sel:DWORD dst_unused:UNUSED_PAD src0_sel:BYTE_0
	v_cvt_f32_i32_sdwa v57, sext(v29) dst_sel:DWORD dst_unused:UNUSED_PAD src0_sel:BYTE_1
	v_cvt_f32_i32_sdwa v56, sext(v28) dst_sel:DWORD dst_unused:UNUSED_PAD src0_sel:BYTE_1
	v_cvt_f32_i32_sdwa v45, sext(v31) dst_sel:DWORD dst_unused:UNUSED_PAD src0_sel:BYTE_1
	v_cvt_f32_i32_sdwa v44, sext(v30) dst_sel:DWORD dst_unused:UNUSED_PAD src0_sel:BYTE_1
	v_cvt_f32_i32_sdwa v59, sext(v29) dst_sel:DWORD dst_unused:UNUSED_PAD src0_sel:BYTE_2
	v_cvt_f32_i32_sdwa v58, sext(v28) dst_sel:DWORD dst_unused:UNUSED_PAD src0_sel:BYTE_2
	v_cvt_f32_i32_sdwa v47, sext(v31) dst_sel:DWORD dst_unused:UNUSED_PAD src0_sel:BYTE_2
	v_cvt_f32_i32_sdwa v46, sext(v30) dst_sel:DWORD dst_unused:UNUSED_PAD src0_sel:BYTE_2
	v_cvt_f32_i32_sdwa v29, sext(v29) dst_sel:DWORD dst_unused:UNUSED_PAD src0_sel:BYTE_3
	v_cvt_f32_i32_sdwa v28, sext(v28) dst_sel:DWORD dst_unused:UNUSED_PAD src0_sel:BYTE_3
	v_cvt_f32_i32_sdwa v31, sext(v31) dst_sel:DWORD dst_unused:UNUSED_PAD src0_sel:BYTE_3
	v_cvt_f32_i32_sdwa v30, sext(v30) dst_sel:DWORD dst_unused:UNUSED_PAD src0_sel:BYTE_3
	;; [unrolled: 16-line block ×3, first 2 shown]
	s_waitcnt vmcnt(4)
	v_cvt_f32_i32_sdwa v72, sext(v36) dst_sel:DWORD dst_unused:UNUSED_PAD src0_sel:BYTE_0
	v_cvt_f32_i32_sdwa v73, sext(v37) dst_sel:DWORD dst_unused:UNUSED_PAD src0_sel:BYTE_0
	;; [unrolled: 1-line block ×4, first 2 shown]
	v_cvt_f32_i32_sdwa v75, sext(v37) dst_sel:DWORD dst_unused:UNUSED_PAD src0_sel:BYTE_1
	v_cvt_f32_i32_sdwa v74, sext(v36) dst_sel:DWORD dst_unused:UNUSED_PAD src0_sel:BYTE_1
	;; [unrolled: 1-line block ×4, first 2 shown]
	v_cvt_f32_i32_sdwa v77, sext(v37) dst_sel:DWORD dst_unused:UNUSED_PAD src0_sel:BYTE_2
	v_cvt_f32_i32_sdwa v76, sext(v36) dst_sel:DWORD dst_unused:UNUSED_PAD src0_sel:BYTE_2
	v_cvt_f32_i32_sdwa v83, sext(v39) dst_sel:DWORD dst_unused:UNUSED_PAD src0_sel:BYTE_2
	v_cvt_f32_i32_sdwa v82, sext(v38) dst_sel:DWORD dst_unused:UNUSED_PAD src0_sel:BYTE_2
	v_cvt_f32_i32_sdwa v37, sext(v37) dst_sel:DWORD dst_unused:UNUSED_PAD src0_sel:BYTE_3
	v_cvt_f32_i32_sdwa v36, sext(v36) dst_sel:DWORD dst_unused:UNUSED_PAD src0_sel:BYTE_3
	;; [unrolled: 1-line block ×4, first 2 shown]
	s_waitcnt vmcnt(3)
	v_cvt_f32_i32_sdwa v97, sext(v88) dst_sel:DWORD dst_unused:UNUSED_PAD src0_sel:BYTE_0
	v_cvt_f32_i32_sdwa v84, sext(v88) dst_sel:DWORD dst_unused:UNUSED_PAD src0_sel:BYTE_1
	v_cvt_f32_i32_sdwa v86, sext(v88) dst_sel:DWORD dst_unused:UNUSED_PAD src0_sel:BYTE_2
	v_cvt_f32_i32_sdwa v88, sext(v88) dst_sel:DWORD dst_unused:UNUSED_PAD src0_sel:BYTE_3
	s_waitcnt vmcnt(2)
	v_cvt_f32_i32_sdwa v90, sext(v91) dst_sel:DWORD dst_unused:UNUSED_PAD src0_sel:BYTE_0
	v_fmac_f32_e32 v26, v17, v97
	v_fmac_f32_e32 v27, v85, v97
	;; [unrolled: 1-line block ×4, first 2 shown]
	v_cvt_f32_i32_sdwa v92, sext(v91) dst_sel:DWORD dst_unused:UNUSED_PAD src0_sel:BYTE_1
	v_pk_fma_f32 v[26:27], v[48:49], v[84:85], v[26:27] op_sel_hi:[1,0,1]
	v_pk_fma_f32 v[24:25], v[50:51], v[84:85], v[24:25] op_sel_hi:[1,0,1]
	v_cvt_f32_i32_sdwa v94, sext(v91) dst_sel:DWORD dst_unused:UNUSED_PAD src0_sel:BYTE_2
	v_pk_fma_f32 v[26:27], v[52:53], v[86:87], v[26:27] op_sel_hi:[1,0,1]
	v_pk_fma_f32 v[24:25], v[40:41], v[86:87], v[24:25] op_sel_hi:[1,0,1]
	v_cvt_f32_i32_sdwa v96, sext(v91) dst_sel:DWORD dst_unused:UNUSED_PAD src0_sel:BYTE_3
	v_pk_fma_f32 v[0:1], v[0:1], v[88:89], v[26:27] op_sel_hi:[1,0,1]
	v_pk_fma_f32 v[2:3], v[2:3], v[88:89], v[24:25] op_sel_hi:[1,0,1]
	s_waitcnt vmcnt(1)
	v_cvt_f32_i32_sdwa v98, sext(v93) dst_sel:DWORD dst_unused:UNUSED_PAD src0_sel:BYTE_0
	v_pk_fma_f32 v[0:1], v[54:55], v[90:91], v[0:1] op_sel_hi:[1,0,1]
	v_pk_fma_f32 v[2:3], v[42:43], v[90:91], v[2:3] op_sel_hi:[1,0,1]
	v_cvt_f32_i32_sdwa v48, sext(v93) dst_sel:DWORD dst_unused:UNUSED_PAD src0_sel:BYTE_1
	v_pk_fma_f32 v[0:1], v[56:57], v[92:93], v[0:1] op_sel_hi:[1,0,1]
	v_pk_fma_f32 v[2:3], v[44:45], v[92:93], v[2:3] op_sel_hi:[1,0,1]
	v_cvt_f32_i32_sdwa v50, sext(v93) dst_sel:DWORD dst_unused:UNUSED_PAD src0_sel:BYTE_2
	s_waitcnt vmcnt(0)
	v_pk_fma_f32 v[0:1], v[58:59], v[94:95], v[0:1] op_sel_hi:[1,0,1]
	v_pk_fma_f32 v[2:3], v[46:47], v[94:95], v[2:3] op_sel_hi:[1,0,1]
	v_cvt_f32_i32_sdwa v84, sext(v93) dst_sel:DWORD dst_unused:UNUSED_PAD src0_sel:BYTE_3
	v_pk_fma_f32 v[0:1], v[28:29], v[96:97], v[0:1] op_sel_hi:[1,0,1]
	v_pk_fma_f32 v[2:3], v[30:31], v[96:97], v[2:3] op_sel_hi:[1,0,1]
	v_cvt_f32_i32_sdwa v52, sext(v95) dst_sel:DWORD dst_unused:UNUSED_PAD src0_sel:BYTE_0
	v_pk_fma_f32 v[0:1], v[60:61], v[98:99], v[0:1] op_sel_hi:[1,0,1]
	v_pk_fma_f32 v[2:3], v[66:67], v[98:99], v[2:3] op_sel_hi:[1,0,1]
	v_cvt_f32_i32_sdwa v40, sext(v95) dst_sel:DWORD dst_unused:UNUSED_PAD src0_sel:BYTE_1
	v_pk_fma_f32 v[0:1], v[62:63], v[48:49], v[0:1] op_sel_hi:[1,0,1]
	v_pk_fma_f32 v[2:3], v[68:69], v[48:49], v[2:3] op_sel_hi:[1,0,1]
	v_cvt_f32_i32_sdwa v86, sext(v95) dst_sel:DWORD dst_unused:UNUSED_PAD src0_sel:BYTE_2
	v_pk_fma_f32 v[0:1], v[64:65], v[50:51], v[0:1] op_sel_hi:[1,0,1]
	v_pk_fma_f32 v[2:3], v[70:71], v[50:51], v[2:3] op_sel_hi:[1,0,1]
	v_cvt_f32_i32_sdwa v100, sext(v95) dst_sel:DWORD dst_unused:UNUSED_PAD src0_sel:BYTE_3
	v_pk_fma_f32 v[0:1], v[32:33], v[84:85], v[0:1] op_sel_hi:[1,0,1]
	v_pk_fma_f32 v[2:3], v[34:35], v[84:85], v[2:3] op_sel_hi:[1,0,1]
	;; [unrolled: 1-line block ×10, first 2 shown]
	s_andn2_b64 exec, exec, s[14:15]
	s_cbranch_execnz .LBB87_23
; %bb.24:
	s_or_b64 exec, exec, s[14:15]
.LBB87_25:
	s_or_b64 exec, exec, s[10:11]
	v_mov_b32_e32 v17, v25
.LBB87_26:
	s_or_b64 exec, exec, s[6:7]
	v_mov_b32_e32 v25, v17
	s_cbranch_execz .LBB87_28
	s_branch .LBB87_39
.LBB87_27:
                                        ; implicit-def: $vgpr25
                                        ; implicit-def: $vgpr27
.LBB87_28:
	v_mov_b32_e32 v25, 0
	v_mov_b32_e32 v24, 0
	;; [unrolled: 1-line block ×4, first 2 shown]
	s_and_saveexec_b64 s[6:7], s[2:3]
	s_cbranch_execz .LBB87_38
; %bb.29:
	v_or_b32_e32 v0, 16, v16
	v_sub_co_u32_e32 v0, vcc, v0, v14
	v_not_b32_e32 v2, v4
	s_nop 0
	v_subb_co_u32_e32 v1, vcc, 0, v15, vcc
	v_lshl_add_u64 v[0:1], v[0:1], 0, v[4:5]
	v_cmp_gt_i64_e32 vcc, v[0:1], v[20:21]
	v_not_b32_e32 v3, v5
	v_mov_b32_e32 v24, 0
	v_cndmask_b32_e32 v1, v21, v1, vcc
	v_cndmask_b32_e32 v0, v20, v0, vcc
	v_sub_co_u32_e32 v4, vcc, v14, v16
	v_mov_b32_e32 v25, v24
	s_nop 0
	v_subbrev_co_u32_e32 v5, vcc, 0, v15, vcc
	v_lshl_add_u64 v[2:3], v[4:5], 0, v[2:3]
	v_lshl_add_u64 v[0:1], v[2:3], 0, v[0:1]
	v_and_b32_e32 v2, 48, v0
	v_mov_b32_e32 v3, v24
	v_cmp_ne_u64_e32 vcc, 48, v[2:3]
	v_mov_b64_e32 v[26:27], v[24:25]
	s_and_saveexec_b64 s[2:3], vcc
	s_cbranch_execz .LBB87_33
; %bb.30:
	v_lshrrev_b32_e32 v2, 4, v0
	v_add_u32_e32 v2, 1, v2
	v_and_b32_e32 v4, 3, v2
	v_sub_co_u32_e32 v4, vcc, 0, v4
	v_lshl_add_u64 v[2:3], v[18:19], 3, s[8:9]
	s_nop 0
	v_subb_co_u32_e64 v5, s[14:15], 0, 0, vcc
	s_mov_b64 s[10:11], 0
	s_mov_b64 s[14:15], 0x100
	;; [unrolled: 1-line block ×3, first 2 shown]
	v_mov_b32_e32 v25, v24
	v_mov_b32_e32 v26, v24
	;; [unrolled: 1-line block ×3, first 2 shown]
.LBB87_31:                              ; =>This Inner Loop Header: Depth=1
	global_load_dwordx2 v[10:11], v[2:3], off
	global_load_dwordx4 v[6:9], v[22:23], off
	v_lshl_add_u64 v[4:5], v[4:5], 0, 1
	v_lshl_add_u64 v[22:23], v[22:23], 0, s[14:15]
	;; [unrolled: 1-line block ×4, first 2 shown]
	s_waitcnt vmcnt(1)
	v_sub_co_u32_e32 v10, vcc, v10, v14
	s_nop 1
	v_subb_co_u32_e32 v11, vcc, v11, v15, vcc
	s_waitcnt lgkmcnt(0)
	v_lshl_add_u64 v[10:11], v[10:11], 2, s[4:5]
	global_load_dword v17, v[10:11], off
	s_waitcnt vmcnt(1)
	v_cvt_f32_i32_sdwa v11, sext(v6) dst_sel:DWORD dst_unused:UNUSED_PAD src0_sel:BYTE_1
	v_cvt_f32_i32_sdwa v10, sext(v6) dst_sel:DWORD dst_unused:UNUSED_PAD src0_sel:BYTE_0
	v_cvt_f32_i32_sdwa v29, sext(v6) dst_sel:DWORD dst_unused:UNUSED_PAD src0_sel:BYTE_3
	v_cvt_f32_i32_sdwa v28, sext(v6) dst_sel:DWORD dst_unused:UNUSED_PAD src0_sel:BYTE_2
	v_cvt_f32_i32_sdwa v31, sext(v7) dst_sel:DWORD dst_unused:UNUSED_PAD src0_sel:BYTE_1
	v_cvt_f32_i32_sdwa v30, sext(v7) dst_sel:DWORD dst_unused:UNUSED_PAD src0_sel:BYTE_0
	v_cvt_f32_i32_sdwa v33, sext(v7) dst_sel:DWORD dst_unused:UNUSED_PAD src0_sel:BYTE_3
	v_cvt_f32_i32_sdwa v32, sext(v7) dst_sel:DWORD dst_unused:UNUSED_PAD src0_sel:BYTE_2
	v_cvt_f32_i32_sdwa v7, sext(v8) dst_sel:DWORD dst_unused:UNUSED_PAD src0_sel:BYTE_1
	v_cvt_f32_i32_sdwa v6, sext(v8) dst_sel:DWORD dst_unused:UNUSED_PAD src0_sel:BYTE_0
	v_cvt_f32_i32_sdwa v37, sext(v8) dst_sel:DWORD dst_unused:UNUSED_PAD src0_sel:BYTE_3
	v_cvt_f32_i32_sdwa v36, sext(v8) dst_sel:DWORD dst_unused:UNUSED_PAD src0_sel:BYTE_2
	v_cvt_f32_i32_sdwa v35, sext(v9) dst_sel:DWORD dst_unused:UNUSED_PAD src0_sel:BYTE_1
	v_cvt_f32_i32_sdwa v34, sext(v9) dst_sel:DWORD dst_unused:UNUSED_PAD src0_sel:BYTE_0
	v_cvt_f32_i32_sdwa v39, sext(v9) dst_sel:DWORD dst_unused:UNUSED_PAD src0_sel:BYTE_3
	v_cvt_f32_i32_sdwa v38, sext(v9) dst_sel:DWORD dst_unused:UNUSED_PAD src0_sel:BYTE_2
	v_cmp_eq_u64_e32 vcc, 0, v[4:5]
	s_or_b64 s[10:11], vcc, s[10:11]
	s_waitcnt vmcnt(0)
	v_cvt_f32_i32_sdwa v8, sext(v17) dst_sel:DWORD dst_unused:UNUSED_PAD src0_sel:BYTE_0
	v_cvt_f32_i32_sdwa v40, sext(v17) dst_sel:DWORD dst_unused:UNUSED_PAD src0_sel:BYTE_1
	v_cvt_f32_i32_sdwa v42, sext(v17) dst_sel:DWORD dst_unused:UNUSED_PAD src0_sel:BYTE_2
	v_cvt_f32_i32_sdwa v44, sext(v17) dst_sel:DWORD dst_unused:UNUSED_PAD src0_sel:BYTE_3
	v_pk_fma_f32 v[10:11], v[10:11], v[8:9], v[26:27] op_sel_hi:[1,0,1]
	v_pk_fma_f32 v[8:9], v[28:29], v[8:9], v[24:25] op_sel_hi:[1,0,1]
	;; [unrolled: 1-line block ×8, first 2 shown]
	s_andn2_b64 exec, exec, s[10:11]
	s_cbranch_execnz .LBB87_31
; %bb.32:
	s_or_b64 exec, exec, s[10:11]
.LBB87_33:
	s_or_b64 exec, exec, s[2:3]
	v_cmp_lt_u64_e32 vcc, 47, v[0:1]
	s_and_saveexec_b64 s[2:3], vcc
	s_cbranch_execz .LBB87_37
; %bb.34:
	v_lshl_add_u64 v[0:1], v[18:19], 3, s[8:9]
	s_mov_b64 s[8:9], 0x100
	v_lshl_add_u64 v[28:29], v[0:1], 0, s[8:9]
	s_mov_b64 s[8:9], 0
	s_mov_b64 s[10:11], 0x400
	;; [unrolled: 1-line block ×3, first 2 shown]
.LBB87_35:                              ; =>This Inner Loop Header: Depth=1
	global_load_dwordx4 v[0:3], v[22:23], off
	global_load_dwordx4 v[4:7], v[22:23], off offset:256
	global_load_dwordx4 v[8:11], v[22:23], off offset:512
	global_load_dwordx2 v[34:35], v[28:29], off offset:-256
	global_load_dwordx2 v[36:37], v[28:29], off offset:-128
	global_load_dwordx2 v[38:39], v[28:29], off
	global_load_dwordx2 v[40:41], v[28:29], off offset:128
	global_load_dwordx4 v[30:33], v[22:23], off offset:768
	v_lshl_add_u64 v[18:19], v[18:19], 0, 64
	v_cmp_ge_i64_e32 vcc, v[18:19], v[20:21]
	s_or_b64 s[8:9], vcc, s[8:9]
	v_lshl_add_u64 v[22:23], v[22:23], 0, s[10:11]
	v_lshl_add_u64 v[28:29], v[28:29], 0, s[14:15]
	s_waitcnt vmcnt(7)
	v_cvt_f32_i32_sdwa v43, sext(v0) dst_sel:DWORD dst_unused:UNUSED_PAD src0_sel:BYTE_1
	v_cvt_f32_i32_sdwa v42, sext(v0) dst_sel:DWORD dst_unused:UNUSED_PAD src0_sel:BYTE_0
	v_cvt_f32_i32_sdwa v45, sext(v0) dst_sel:DWORD dst_unused:UNUSED_PAD src0_sel:BYTE_3
	s_waitcnt vmcnt(4)
	v_sub_co_u32_e32 v34, vcc, v34, v14
	v_cvt_f32_i32_sdwa v44, sext(v0) dst_sel:DWORD dst_unused:UNUSED_PAD src0_sel:BYTE_2
	s_nop 0
	v_subb_co_u32_e32 v35, vcc, v35, v15, vcc
	s_waitcnt vmcnt(3)
	v_sub_co_u32_e32 v36, vcc, v36, v14
	s_waitcnt lgkmcnt(0)
	v_lshl_add_u64 v[34:35], v[34:35], 2, s[4:5]
	v_subb_co_u32_e32 v37, vcc, v37, v15, vcc
	s_waitcnt vmcnt(2)
	v_sub_co_u32_e32 v38, vcc, v38, v14
	v_lshl_add_u64 v[36:37], v[36:37], 2, s[4:5]
	s_nop 0
	v_subb_co_u32_e32 v39, vcc, v39, v15, vcc
	s_waitcnt vmcnt(1)
	v_sub_co_u32_e32 v40, vcc, v40, v14
	v_lshl_add_u64 v[38:39], v[38:39], 2, s[4:5]
	s_nop 0
	v_subb_co_u32_e32 v41, vcc, v41, v15, vcc
	v_lshl_add_u64 v[40:41], v[40:41], 2, s[4:5]
	global_load_dword v17, v[34:35], off
	global_load_dword v85, v[36:37], off
	;; [unrolled: 1-line block ×4, first 2 shown]
	v_cvt_f32_i32_sdwa v47, sext(v1) dst_sel:DWORD dst_unused:UNUSED_PAD src0_sel:BYTE_1
	v_cvt_f32_i32_sdwa v46, sext(v1) dst_sel:DWORD dst_unused:UNUSED_PAD src0_sel:BYTE_0
	v_cvt_f32_i32_sdwa v49, sext(v1) dst_sel:DWORD dst_unused:UNUSED_PAD src0_sel:BYTE_3
	v_cvt_f32_i32_sdwa v48, sext(v1) dst_sel:DWORD dst_unused:UNUSED_PAD src0_sel:BYTE_2
	v_cvt_f32_i32_sdwa v1, sext(v2) dst_sel:DWORD dst_unused:UNUSED_PAD src0_sel:BYTE_1
	v_cvt_f32_i32_sdwa v0, sext(v2) dst_sel:DWORD dst_unused:UNUSED_PAD src0_sel:BYTE_0
	v_cvt_f32_i32_sdwa v51, sext(v3) dst_sel:DWORD dst_unused:UNUSED_PAD src0_sel:BYTE_1
	v_cvt_f32_i32_sdwa v50, sext(v3) dst_sel:DWORD dst_unused:UNUSED_PAD src0_sel:BYTE_0
	;; [unrolled: 2-line block ×7, first 2 shown]
	v_cvt_f32_i32_sdwa v63, sext(v2) dst_sel:DWORD dst_unused:UNUSED_PAD src0_sel:BYTE_3
	v_cvt_f32_i32_sdwa v62, sext(v2) dst_sel:DWORD dst_unused:UNUSED_PAD src0_sel:BYTE_2
	v_cvt_f32_i32_sdwa v65, sext(v3) dst_sel:DWORD dst_unused:UNUSED_PAD src0_sel:BYTE_3
	v_cvt_f32_i32_sdwa v64, sext(v3) dst_sel:DWORD dst_unused:UNUSED_PAD src0_sel:BYTE_2
	;; [unrolled: 2-line block ×6, first 2 shown]
	v_cvt_f32_i32_sdwa v7, sext(v9) dst_sel:DWORD dst_unused:UNUSED_PAD src0_sel:BYTE_1
	v_cvt_f32_i32_sdwa v6, sext(v9) dst_sel:DWORD dst_unused:UNUSED_PAD src0_sel:BYTE_0
	v_cvt_f32_i32_sdwa v39, sext(v10) dst_sel:DWORD dst_unused:UNUSED_PAD src0_sel:BYTE_1
	v_cvt_f32_i32_sdwa v38, sext(v10) dst_sel:DWORD dst_unused:UNUSED_PAD src0_sel:BYTE_0
	;; [unrolled: 2-line block ×3, first 2 shown]
	v_cvt_f32_i32_sdwa v67, sext(v8) dst_sel:DWORD dst_unused:UNUSED_PAD src0_sel:BYTE_3
	v_cvt_f32_i32_sdwa v66, sext(v8) dst_sel:DWORD dst_unused:UNUSED_PAD src0_sel:BYTE_2
	v_cvt_f32_i32_sdwa v69, sext(v9) dst_sel:DWORD dst_unused:UNUSED_PAD src0_sel:BYTE_3
	v_cvt_f32_i32_sdwa v68, sext(v9) dst_sel:DWORD dst_unused:UNUSED_PAD src0_sel:BYTE_2
	;; [unrolled: 2-line block ×4, first 2 shown]
	s_waitcnt vmcnt(4)
	v_cvt_f32_i32_sdwa v11, sext(v30) dst_sel:DWORD dst_unused:UNUSED_PAD src0_sel:BYTE_1
	v_cvt_f32_i32_sdwa v10, sext(v30) dst_sel:DWORD dst_unused:UNUSED_PAD src0_sel:BYTE_0
	v_cvt_f32_i32_sdwa v73, sext(v30) dst_sel:DWORD dst_unused:UNUSED_PAD src0_sel:BYTE_3
	v_cvt_f32_i32_sdwa v72, sext(v30) dst_sel:DWORD dst_unused:UNUSED_PAD src0_sel:BYTE_2
	v_cvt_f32_i32_sdwa v75, sext(v31) dst_sel:DWORD dst_unused:UNUSED_PAD src0_sel:BYTE_1
	v_cvt_f32_i32_sdwa v74, sext(v31) dst_sel:DWORD dst_unused:UNUSED_PAD src0_sel:BYTE_0
	v_cvt_f32_i32_sdwa v77, sext(v32) dst_sel:DWORD dst_unused:UNUSED_PAD src0_sel:BYTE_1
	v_cvt_f32_i32_sdwa v76, sext(v32) dst_sel:DWORD dst_unused:UNUSED_PAD src0_sel:BYTE_0
	v_cvt_f32_i32_sdwa v81, sext(v31) dst_sel:DWORD dst_unused:UNUSED_PAD src0_sel:BYTE_3
	v_cvt_f32_i32_sdwa v80, sext(v31) dst_sel:DWORD dst_unused:UNUSED_PAD src0_sel:BYTE_2
	v_cvt_f32_i32_sdwa v31, sext(v32) dst_sel:DWORD dst_unused:UNUSED_PAD src0_sel:BYTE_3
	v_cvt_f32_i32_sdwa v30, sext(v32) dst_sel:DWORD dst_unused:UNUSED_PAD src0_sel:BYTE_2
	v_cvt_f32_i32_sdwa v79, sext(v33) dst_sel:DWORD dst_unused:UNUSED_PAD src0_sel:BYTE_1
	v_cvt_f32_i32_sdwa v78, sext(v33) dst_sel:DWORD dst_unused:UNUSED_PAD src0_sel:BYTE_0
	v_cvt_f32_i32_sdwa v83, sext(v33) dst_sel:DWORD dst_unused:UNUSED_PAD src0_sel:BYTE_3
	v_cvt_f32_i32_sdwa v82, sext(v33) dst_sel:DWORD dst_unused:UNUSED_PAD src0_sel:BYTE_2
	s_waitcnt vmcnt(3)
	v_cvt_f32_i32_sdwa v32, sext(v17) dst_sel:DWORD dst_unused:UNUSED_PAD src0_sel:BYTE_0
	v_cvt_f32_i32_sdwa v84, sext(v17) dst_sel:DWORD dst_unused:UNUSED_PAD src0_sel:BYTE_1
	v_cvt_f32_i32_sdwa v86, sext(v17) dst_sel:DWORD dst_unused:UNUSED_PAD src0_sel:BYTE_2
	v_cvt_f32_i32_sdwa v88, sext(v17) dst_sel:DWORD dst_unused:UNUSED_PAD src0_sel:BYTE_3
	s_waitcnt vmcnt(2)
	v_cvt_f32_i32_sdwa v90, sext(v85) dst_sel:DWORD dst_unused:UNUSED_PAD src0_sel:BYTE_0
	v_pk_fma_f32 v[26:27], v[42:43], v[32:33], v[26:27] op_sel_hi:[1,0,1]
	v_pk_fma_f32 v[24:25], v[44:45], v[32:33], v[24:25] op_sel_hi:[1,0,1]
	v_cvt_f32_i32_sdwa v42, sext(v85) dst_sel:DWORD dst_unused:UNUSED_PAD src0_sel:BYTE_1
	v_pk_fma_f32 v[26:27], v[46:47], v[84:85], v[26:27] op_sel_hi:[1,0,1]
	v_pk_fma_f32 v[24:25], v[48:49], v[84:85], v[24:25] op_sel_hi:[1,0,1]
	v_cvt_f32_i32_sdwa v32, sext(v85) dst_sel:DWORD dst_unused:UNUSED_PAD src0_sel:BYTE_2
	s_waitcnt vmcnt(1)
	v_pk_fma_f32 v[0:1], v[0:1], v[86:87], v[26:27] op_sel_hi:[1,0,1]
	v_pk_fma_f32 v[24:25], v[62:63], v[86:87], v[24:25] op_sel_hi:[1,0,1]
	v_cvt_f32_i32_sdwa v44, sext(v85) dst_sel:DWORD dst_unused:UNUSED_PAD src0_sel:BYTE_3
	s_waitcnt vmcnt(0)
	v_pk_fma_f32 v[0:1], v[50:51], v[88:89], v[0:1] op_sel_hi:[1,0,1]
	v_pk_fma_f32 v[24:25], v[64:65], v[88:89], v[24:25] op_sel_hi:[1,0,1]
	v_cvt_f32_i32_sdwa v92, sext(v87) dst_sel:DWORD dst_unused:UNUSED_PAD src0_sel:BYTE_0
	v_pk_fma_f32 v[0:1], v[52:53], v[90:91], v[0:1] op_sel_hi:[1,0,1]
	v_pk_fma_f32 v[2:3], v[2:3], v[90:91], v[24:25] op_sel_hi:[1,0,1]
	v_cvt_f32_i32_sdwa v46, sext(v87) dst_sel:DWORD dst_unused:UNUSED_PAD src0_sel:BYTE_1
	v_pk_fma_f32 v[0:1], v[54:55], v[42:43], v[0:1] op_sel_hi:[1,0,1]
	v_pk_fma_f32 v[2:3], v[34:35], v[42:43], v[2:3] op_sel_hi:[1,0,1]
	v_cvt_f32_i32_sdwa v48, sext(v87) dst_sel:DWORD dst_unused:UNUSED_PAD src0_sel:BYTE_2
	v_pk_fma_f32 v[0:1], v[56:57], v[32:33], v[0:1] op_sel_hi:[1,0,1]
	v_pk_fma_f32 v[2:3], v[4:5], v[32:33], v[2:3] op_sel_hi:[1,0,1]
	v_cvt_f32_i32_sdwa v84, sext(v87) dst_sel:DWORD dst_unused:UNUSED_PAD src0_sel:BYTE_3
	v_pk_fma_f32 v[0:1], v[58:59], v[44:45], v[0:1] op_sel_hi:[1,0,1]
	v_pk_fma_f32 v[2:3], v[36:37], v[44:45], v[2:3] op_sel_hi:[1,0,1]
	v_cvt_f32_i32_sdwa v26, sext(v89) dst_sel:DWORD dst_unused:UNUSED_PAD src0_sel:BYTE_0
	v_pk_fma_f32 v[0:1], v[60:61], v[92:93], v[0:1] op_sel_hi:[1,0,1]
	v_pk_fma_f32 v[2:3], v[66:67], v[92:93], v[2:3] op_sel_hi:[1,0,1]
	v_cvt_f32_i32_sdwa v62, sext(v89) dst_sel:DWORD dst_unused:UNUSED_PAD src0_sel:BYTE_1
	v_pk_fma_f32 v[0:1], v[6:7], v[46:47], v[0:1] op_sel_hi:[1,0,1]
	v_pk_fma_f32 v[2:3], v[68:69], v[46:47], v[2:3] op_sel_hi:[1,0,1]
	v_cvt_f32_i32_sdwa v86, sext(v89) dst_sel:DWORD dst_unused:UNUSED_PAD src0_sel:BYTE_2
	v_pk_fma_f32 v[0:1], v[38:39], v[48:49], v[0:1] op_sel_hi:[1,0,1]
	v_pk_fma_f32 v[2:3], v[8:9], v[48:49], v[2:3] op_sel_hi:[1,0,1]
	v_cvt_f32_i32_sdwa v94, sext(v89) dst_sel:DWORD dst_unused:UNUSED_PAD src0_sel:BYTE_3
	v_pk_fma_f32 v[0:1], v[40:41], v[84:85], v[0:1] op_sel_hi:[1,0,1]
	v_pk_fma_f32 v[2:3], v[70:71], v[84:85], v[2:3] op_sel_hi:[1,0,1]
	;; [unrolled: 1-line block ×10, first 2 shown]
	s_andn2_b64 exec, exec, s[8:9]
	s_cbranch_execnz .LBB87_35
; %bb.36:
	s_or_b64 exec, exec, s[8:9]
.LBB87_37:
	s_or_b64 exec, exec, s[2:3]
.LBB87_38:
	s_or_b64 exec, exec, s[6:7]
.LBB87_39:
	v_mov_b32_dpp v0, v26 row_shr:1 row_mask:0xf bank_mask:0xf
	v_mov_b32_dpp v1, v27 row_shr:1 row_mask:0xf bank_mask:0xf
	;; [unrolled: 1-line block ×4, first 2 shown]
	v_pk_add_f32 v[0:1], v[26:27], v[0:1]
	v_pk_add_f32 v[4:5], v[24:25], v[4:5]
	v_cmp_eq_u32_e32 vcc, 15, v16
	v_mov_b32_dpp v2, v0 row_shr:2 row_mask:0xf bank_mask:0xf
	v_mov_b32_dpp v3, v1 row_shr:2 row_mask:0xf bank_mask:0xf
	;; [unrolled: 1-line block ×4, first 2 shown]
	v_pk_add_f32 v[0:1], v[0:1], v[2:3]
	v_pk_add_f32 v[4:5], v[4:5], v[6:7]
	s_nop 0
	v_mov_b32_dpp v2, v0 row_shr:4 row_mask:0xf bank_mask:0xe
	v_mov_b32_dpp v3, v1 row_shr:4 row_mask:0xf bank_mask:0xe
	v_mov_b32_dpp v6, v4 row_shr:4 row_mask:0xf bank_mask:0xe
	v_mov_b32_dpp v7, v5 row_shr:4 row_mask:0xf bank_mask:0xe
	v_pk_add_f32 v[0:1], v[0:1], v[2:3]
	v_pk_add_f32 v[6:7], v[4:5], v[6:7]
	s_nop 0
	v_mov_b32_dpp v2, v0 row_shr:8 row_mask:0xf bank_mask:0xc
	v_mov_b32_dpp v3, v1 row_shr:8 row_mask:0xf bank_mask:0xc
	;; [unrolled: 1-line block ×4, first 2 shown]
	s_and_b64 exec, exec, vcc
	s_cbranch_execz .LBB87_10
; %bb.40:
	s_load_dwordx2 s[0:1], s[0:1], 0x58
	v_cmp_eq_f32_e64 s[2:3], s16, 0
	v_pk_add_f32 v[4:5], v[0:1], v[2:3]
	v_pk_add_f32 v[2:3], v[6:7], v[8:9]
	s_and_b64 vcc, exec, s[2:3]
	s_waitcnt lgkmcnt(0)
	v_lshl_add_u64 v[0:1], v[12:13], 4, s[0:1]
	s_cbranch_vccz .LBB87_42
; %bb.41:
	v_pk_mul_f32 v[6:7], s[12:13], v[4:5] op_sel_hi:[0,1]
	v_pk_mul_f32 v[8:9], s[12:13], v[2:3] op_sel_hi:[0,1]
	global_store_dwordx4 v[0:1], v[6:9], off
	s_cbranch_execnz .LBB87_10
	s_branch .LBB87_43
.LBB87_42:
.LBB87_43:
	global_load_dwordx4 v[6:9], v[0:1], off
	v_pk_mul_f32 v[4:5], s[12:13], v[4:5] op_sel_hi:[0,1]
	v_pk_mul_f32 v[10:11], s[12:13], v[2:3] op_sel_hi:[0,1]
	s_waitcnt vmcnt(0)
	v_pk_fma_f32 v[2:3], s[16:17], v[6:7], v[4:5] op_sel_hi:[0,1,1]
	v_pk_fma_f32 v[4:5], s[16:17], v[8:9], v[10:11] op_sel_hi:[0,1,1]
	global_store_dwordx4 v[0:1], v[2:5], off
	s_endpgm
	.section	.rodata,"a",@progbits
	.p2align	6, 0x0
	.amdhsa_kernel _ZN9rocsparseL18bsrxmvn_4x4_kernelILj128ELj16EfllaafEEvT3_20rocsparse_direction_NS_24const_host_device_scalarIT1_EES1_PKS1_PKT2_SA_S7_PKT4_PKT5_S5_PT6_21rocsparse_index_base_b
		.amdhsa_group_segment_fixed_size 0
		.amdhsa_private_segment_fixed_size 0
		.amdhsa_kernarg_size 104
		.amdhsa_user_sgpr_count 2
		.amdhsa_user_sgpr_dispatch_ptr 0
		.amdhsa_user_sgpr_queue_ptr 0
		.amdhsa_user_sgpr_kernarg_segment_ptr 1
		.amdhsa_user_sgpr_dispatch_id 0
		.amdhsa_user_sgpr_kernarg_preload_length 0
		.amdhsa_user_sgpr_kernarg_preload_offset 0
		.amdhsa_user_sgpr_private_segment_size 0
		.amdhsa_uses_dynamic_stack 0
		.amdhsa_enable_private_segment 0
		.amdhsa_system_sgpr_workgroup_id_x 1
		.amdhsa_system_sgpr_workgroup_id_y 0
		.amdhsa_system_sgpr_workgroup_id_z 0
		.amdhsa_system_sgpr_workgroup_info 0
		.amdhsa_system_vgpr_workitem_id 0
		.amdhsa_next_free_vgpr 102
		.amdhsa_next_free_sgpr 22
		.amdhsa_accum_offset 104
		.amdhsa_reserve_vcc 1
		.amdhsa_float_round_mode_32 0
		.amdhsa_float_round_mode_16_64 0
		.amdhsa_float_denorm_mode_32 3
		.amdhsa_float_denorm_mode_16_64 3
		.amdhsa_dx10_clamp 1
		.amdhsa_ieee_mode 1
		.amdhsa_fp16_overflow 0
		.amdhsa_tg_split 0
		.amdhsa_exception_fp_ieee_invalid_op 0
		.amdhsa_exception_fp_denorm_src 0
		.amdhsa_exception_fp_ieee_div_zero 0
		.amdhsa_exception_fp_ieee_overflow 0
		.amdhsa_exception_fp_ieee_underflow 0
		.amdhsa_exception_fp_ieee_inexact 0
		.amdhsa_exception_int_div_zero 0
	.end_amdhsa_kernel
	.section	.text._ZN9rocsparseL18bsrxmvn_4x4_kernelILj128ELj16EfllaafEEvT3_20rocsparse_direction_NS_24const_host_device_scalarIT1_EES1_PKS1_PKT2_SA_S7_PKT4_PKT5_S5_PT6_21rocsparse_index_base_b,"axG",@progbits,_ZN9rocsparseL18bsrxmvn_4x4_kernelILj128ELj16EfllaafEEvT3_20rocsparse_direction_NS_24const_host_device_scalarIT1_EES1_PKS1_PKT2_SA_S7_PKT4_PKT5_S5_PT6_21rocsparse_index_base_b,comdat
.Lfunc_end87:
	.size	_ZN9rocsparseL18bsrxmvn_4x4_kernelILj128ELj16EfllaafEEvT3_20rocsparse_direction_NS_24const_host_device_scalarIT1_EES1_PKS1_PKT2_SA_S7_PKT4_PKT5_S5_PT6_21rocsparse_index_base_b, .Lfunc_end87-_ZN9rocsparseL18bsrxmvn_4x4_kernelILj128ELj16EfllaafEEvT3_20rocsparse_direction_NS_24const_host_device_scalarIT1_EES1_PKS1_PKT2_SA_S7_PKT4_PKT5_S5_PT6_21rocsparse_index_base_b
                                        ; -- End function
	.set _ZN9rocsparseL18bsrxmvn_4x4_kernelILj128ELj16EfllaafEEvT3_20rocsparse_direction_NS_24const_host_device_scalarIT1_EES1_PKS1_PKT2_SA_S7_PKT4_PKT5_S5_PT6_21rocsparse_index_base_b.num_vgpr, 102
	.set _ZN9rocsparseL18bsrxmvn_4x4_kernelILj128ELj16EfllaafEEvT3_20rocsparse_direction_NS_24const_host_device_scalarIT1_EES1_PKS1_PKT2_SA_S7_PKT4_PKT5_S5_PT6_21rocsparse_index_base_b.num_agpr, 0
	.set _ZN9rocsparseL18bsrxmvn_4x4_kernelILj128ELj16EfllaafEEvT3_20rocsparse_direction_NS_24const_host_device_scalarIT1_EES1_PKS1_PKT2_SA_S7_PKT4_PKT5_S5_PT6_21rocsparse_index_base_b.numbered_sgpr, 22
	.set _ZN9rocsparseL18bsrxmvn_4x4_kernelILj128ELj16EfllaafEEvT3_20rocsparse_direction_NS_24const_host_device_scalarIT1_EES1_PKS1_PKT2_SA_S7_PKT4_PKT5_S5_PT6_21rocsparse_index_base_b.num_named_barrier, 0
	.set _ZN9rocsparseL18bsrxmvn_4x4_kernelILj128ELj16EfllaafEEvT3_20rocsparse_direction_NS_24const_host_device_scalarIT1_EES1_PKS1_PKT2_SA_S7_PKT4_PKT5_S5_PT6_21rocsparse_index_base_b.private_seg_size, 0
	.set _ZN9rocsparseL18bsrxmvn_4x4_kernelILj128ELj16EfllaafEEvT3_20rocsparse_direction_NS_24const_host_device_scalarIT1_EES1_PKS1_PKT2_SA_S7_PKT4_PKT5_S5_PT6_21rocsparse_index_base_b.uses_vcc, 1
	.set _ZN9rocsparseL18bsrxmvn_4x4_kernelILj128ELj16EfllaafEEvT3_20rocsparse_direction_NS_24const_host_device_scalarIT1_EES1_PKS1_PKT2_SA_S7_PKT4_PKT5_S5_PT6_21rocsparse_index_base_b.uses_flat_scratch, 0
	.set _ZN9rocsparseL18bsrxmvn_4x4_kernelILj128ELj16EfllaafEEvT3_20rocsparse_direction_NS_24const_host_device_scalarIT1_EES1_PKS1_PKT2_SA_S7_PKT4_PKT5_S5_PT6_21rocsparse_index_base_b.has_dyn_sized_stack, 0
	.set _ZN9rocsparseL18bsrxmvn_4x4_kernelILj128ELj16EfllaafEEvT3_20rocsparse_direction_NS_24const_host_device_scalarIT1_EES1_PKS1_PKT2_SA_S7_PKT4_PKT5_S5_PT6_21rocsparse_index_base_b.has_recursion, 0
	.set _ZN9rocsparseL18bsrxmvn_4x4_kernelILj128ELj16EfllaafEEvT3_20rocsparse_direction_NS_24const_host_device_scalarIT1_EES1_PKS1_PKT2_SA_S7_PKT4_PKT5_S5_PT6_21rocsparse_index_base_b.has_indirect_call, 0
	.section	.AMDGPU.csdata,"",@progbits
; Kernel info:
; codeLenInByte = 4312
; TotalNumSgprs: 28
; NumVgprs: 102
; NumAgprs: 0
; TotalNumVgprs: 102
; ScratchSize: 0
; MemoryBound: 0
; FloatMode: 240
; IeeeMode: 1
; LDSByteSize: 0 bytes/workgroup (compile time only)
; SGPRBlocks: 3
; VGPRBlocks: 12
; NumSGPRsForWavesPerEU: 28
; NumVGPRsForWavesPerEU: 102
; AccumOffset: 104
; Occupancy: 4
; WaveLimiterHint : 1
; COMPUTE_PGM_RSRC2:SCRATCH_EN: 0
; COMPUTE_PGM_RSRC2:USER_SGPR: 2
; COMPUTE_PGM_RSRC2:TRAP_HANDLER: 0
; COMPUTE_PGM_RSRC2:TGID_X_EN: 1
; COMPUTE_PGM_RSRC2:TGID_Y_EN: 0
; COMPUTE_PGM_RSRC2:TGID_Z_EN: 0
; COMPUTE_PGM_RSRC2:TIDIG_COMP_CNT: 0
; COMPUTE_PGM_RSRC3_GFX90A:ACCUM_OFFSET: 25
; COMPUTE_PGM_RSRC3_GFX90A:TG_SPLIT: 0
	.section	.text._ZN9rocsparseL18bsrxmvn_4x4_kernelILj128ELj32EfllaafEEvT3_20rocsparse_direction_NS_24const_host_device_scalarIT1_EES1_PKS1_PKT2_SA_S7_PKT4_PKT5_S5_PT6_21rocsparse_index_base_b,"axG",@progbits,_ZN9rocsparseL18bsrxmvn_4x4_kernelILj128ELj32EfllaafEEvT3_20rocsparse_direction_NS_24const_host_device_scalarIT1_EES1_PKS1_PKT2_SA_S7_PKT4_PKT5_S5_PT6_21rocsparse_index_base_b,comdat
	.globl	_ZN9rocsparseL18bsrxmvn_4x4_kernelILj128ELj32EfllaafEEvT3_20rocsparse_direction_NS_24const_host_device_scalarIT1_EES1_PKS1_PKT2_SA_S7_PKT4_PKT5_S5_PT6_21rocsparse_index_base_b ; -- Begin function _ZN9rocsparseL18bsrxmvn_4x4_kernelILj128ELj32EfllaafEEvT3_20rocsparse_direction_NS_24const_host_device_scalarIT1_EES1_PKS1_PKT2_SA_S7_PKT4_PKT5_S5_PT6_21rocsparse_index_base_b
	.p2align	8
	.type	_ZN9rocsparseL18bsrxmvn_4x4_kernelILj128ELj32EfllaafEEvT3_20rocsparse_direction_NS_24const_host_device_scalarIT1_EES1_PKS1_PKT2_SA_S7_PKT4_PKT5_S5_PT6_21rocsparse_index_base_b,@function
_ZN9rocsparseL18bsrxmvn_4x4_kernelILj128ELj32EfllaafEEvT3_20rocsparse_direction_NS_24const_host_device_scalarIT1_EES1_PKS1_PKT2_SA_S7_PKT4_PKT5_S5_PT6_21rocsparse_index_base_b: ; @_ZN9rocsparseL18bsrxmvn_4x4_kernelILj128ELj32EfllaafEEvT3_20rocsparse_direction_NS_24const_host_device_scalarIT1_EES1_PKS1_PKT2_SA_S7_PKT4_PKT5_S5_PT6_21rocsparse_index_base_b
; %bb.0:
	s_load_dwordx2 s[4:5], s[0:1], 0x60
	s_load_dwordx4 s[12:15], s[0:1], 0x10
	s_load_dwordx2 s[16:17], s[0:1], 0x50
	s_waitcnt lgkmcnt(0)
	s_bitcmp1_b32 s5, 0
	s_cselect_b64 s[8:9], -1, 0
	s_xor_b64 s[6:7], s[8:9], -1
	s_and_b64 vcc, exec, s[8:9]
	s_cbranch_vccnz .LBB88_2
; %bb.1:
	s_load_dword s12, s[12:13], 0x0
.LBB88_2:
	s_andn2_b64 vcc, exec, s[6:7]
	s_cbranch_vccnz .LBB88_4
; %bb.3:
	s_load_dword s16, s[16:17], 0x0
.LBB88_4:
	s_waitcnt lgkmcnt(0)
	v_cmp_neq_f32_e64 s[6:7], s12, 0
	v_cmp_neq_f32_e64 s[8:9], s16, 1.0
	s_or_b64 s[6:7], s[6:7], s[8:9]
	s_andn2_b64 vcc, exec, s[6:7]
	s_cbranch_vccnz .LBB88_10
; %bb.5:
	s_load_dwordx2 s[6:7], s[0:1], 0x20
	v_lshrrev_b32_e32 v1, 5, v0
	v_lshl_or_b32 v2, s2, 2, v1
	v_mov_b32_e32 v3, 0
	s_mov_b64 s[2:3], 0
	s_waitcnt lgkmcnt(0)
	s_cmp_lg_u64 s[6:7], 0
	s_cbranch_scc0 .LBB88_11
; %bb.6:
	v_cmp_gt_i64_e32 vcc, s[14:15], v[2:3]
                                        ; implicit-def: $vgpr12_vgpr13
                                        ; implicit-def: $vgpr16_vgpr17
	s_and_saveexec_b64 s[8:9], vcc
	s_xor_b64 s[8:9], exec, s[8:9]
	s_cbranch_execz .LBB88_8
; %bb.7:
	v_lshl_add_u64 v[4:5], v[2:3], 3, s[6:7]
	global_load_dwordx2 v[4:5], v[4:5], off
	s_mov_b32 s5, 0
	s_mov_b64 s[2:3], exec
	v_mov_b64_e32 v[16:17], s[4:5]
	s_waitcnt vmcnt(0)
	v_subrev_co_u32_e32 v12, vcc, s4, v4
	s_nop 1
	v_subbrev_co_u32_e32 v13, vcc, 0, v5, vcc
.LBB88_8:
	s_or_b64 exec, exec, s[8:9]
.LBB88_9:
	s_and_saveexec_b64 s[4:5], s[2:3]
	s_cbranch_execnz .LBB88_15
.LBB88_10:
	s_endpgm
.LBB88_11:
                                        ; implicit-def: $vgpr12_vgpr13
                                        ; implicit-def: $vgpr16_vgpr17
	s_cbranch_execz .LBB88_9
; %bb.12:
	s_load_dwordx2 s[6:7], s[0:1], 0x0
	s_waitcnt lgkmcnt(0)
	v_cmp_gt_i64_e32 vcc, s[6:7], v[2:3]
	s_and_saveexec_b64 s[6:7], vcc
; %bb.13:
	s_mov_b32 s5, 0
	s_or_b64 s[2:3], s[2:3], exec
; %bb.14:
	s_or_b64 exec, exec, s[6:7]
	v_mov_b64_e32 v[16:17], s[4:5]
	v_mov_b64_e32 v[12:13], v[2:3]
	s_and_saveexec_b64 s[4:5], s[2:3]
	s_cbranch_execz .LBB88_10
.LBB88_15:
	s_load_dwordx8 s[4:11], s[0:1], 0x28
	v_lshlrev_b64 v[2:3], 3, v[12:13]
	s_load_dword s2, s[0:1], 0x8
	v_and_b32_e32 v14, 31, v0
	v_mov_b32_e32 v15, 0
	s_waitcnt lgkmcnt(0)
	v_lshl_add_u64 v[4:5], s[4:5], 0, v[2:3]
	s_cmp_eq_u64 s[6:7], 0
	v_lshl_add_u64 v[2:3], s[6:7], 0, v[2:3]
	global_load_dwordx2 v[8:9], v[4:5], off
	v_lshl_add_u64 v[4:5], v[4:5], 0, 8
	s_cselect_b64 vcc, -1, 0
	v_cndmask_b32_e32 v3, v3, v5, vcc
	v_cndmask_b32_e32 v2, v2, v4, vcc
	global_load_dwordx2 v[2:3], v[2:3], off
	s_load_dwordx2 s[4:5], s[0:1], 0x48
	s_cmp_eq_u32 s2, 1
	s_waitcnt vmcnt(1)
	v_sub_co_u32_e32 v0, vcc, v8, v16
	s_nop 1
	v_subb_co_u32_e32 v1, vcc, v9, v17, vcc
	v_lshl_add_u64 v[18:19], v[0:1], 0, v[14:15]
	s_waitcnt vmcnt(0)
	v_sub_co_u32_e32 v20, vcc, v2, v16
	v_lshl_add_u64 v[22:23], v[18:19], 4, s[10:11]
	s_nop 0
	v_subb_co_u32_e32 v21, vcc, v3, v17, vcc
	v_cmp_lt_i64_e64 s[2:3], v[18:19], v[20:21]
	s_cbranch_scc1 .LBB88_27
; %bb.16:
	v_mov_b32_e32 v24, v15
	v_mov_b32_e32 v27, v15
	;; [unrolled: 1-line block ×3, first 2 shown]
	s_and_saveexec_b64 s[6:7], s[2:3]
	s_cbranch_execz .LBB88_26
; %bb.17:
	v_or_b32_e32 v0, 32, v14
	v_sub_co_u32_e32 v0, vcc, v0, v16
	v_not_b32_e32 v3, v9
	s_nop 0
	v_subb_co_u32_e32 v1, vcc, 0, v17, vcc
	v_lshl_add_u64 v[0:1], v[0:1], 0, v[8:9]
	v_cmp_gt_i64_e32 vcc, v[0:1], v[20:21]
	v_not_b32_e32 v2, v8
	v_mov_b32_e32 v27, 0
	v_cndmask_b32_e32 v1, v21, v1, vcc
	v_cndmask_b32_e32 v0, v20, v0, vcc
	v_sub_co_u32_e32 v4, vcc, v16, v14
	s_mov_b64 s[10:11], 0x60
	s_nop 0
	v_subbrev_co_u32_e32 v5, vcc, 0, v17, vcc
	v_lshl_add_u64 v[2:3], v[4:5], 0, v[2:3]
	v_lshl_add_u64 v[0:1], v[2:3], 0, v[0:1]
	v_and_b32_e32 v26, 0x60, v0
	v_cmp_ne_u64_e32 vcc, s[10:11], v[26:27]
	v_mov_b32_e32 v26, v27
	v_mov_b32_e32 v24, v27
	;; [unrolled: 1-line block ×3, first 2 shown]
	v_mov_b64_e32 v[10:11], v[18:19]
	v_mov_b64_e32 v[28:29], v[22:23]
	s_and_saveexec_b64 s[10:11], vcc
	s_cbranch_execz .LBB88_21
; %bb.18:
	v_lshrrev_b32_e32 v2, 5, v0
	v_add_u32_e32 v2, 1, v2
	v_and_b32_e32 v4, 3, v2
	v_sub_co_u32_e32 v4, vcc, 0, v4
	v_mov_b32_e32 v25, 0
	s_nop 0
	v_subb_co_u32_e64 v5, s[18:19], 0, 0, vcc
	v_lshl_add_u64 v[2:3], v[18:19], 3, s[8:9]
	s_mov_b64 s[14:15], 0
	s_mov_b64 s[18:19], 0x200
	;; [unrolled: 1-line block ×3, first 2 shown]
	v_mov_b64_e32 v[28:29], v[22:23]
	v_mov_b64_e32 v[10:11], v[18:19]
	v_mov_b32_e32 v24, v25
	v_mov_b32_e32 v27, v25
	;; [unrolled: 1-line block ×3, first 2 shown]
.LBB88_19:                              ; =>This Inner Loop Header: Depth=1
	global_load_dwordx2 v[6:7], v[2:3], off
	global_load_dwordx4 v[30:33], v[28:29], off
	v_lshl_add_u64 v[4:5], v[4:5], 0, 1
	v_lshl_add_u64 v[28:29], v[28:29], 0, s[18:19]
	;; [unrolled: 1-line block ×4, first 2 shown]
	s_waitcnt vmcnt(1)
	v_sub_co_u32_e32 v6, vcc, v6, v16
	s_nop 1
	v_subb_co_u32_e32 v7, vcc, v7, v17, vcc
	s_waitcnt lgkmcnt(0)
	v_lshl_add_u64 v[6:7], v[6:7], 2, s[4:5]
	global_load_dword v15, v[6:7], off
	s_waitcnt vmcnt(1)
	v_cvt_f32_i32_sdwa v37, sext(v30) dst_sel:DWORD dst_unused:UNUSED_PAD src0_sel:BYTE_0
	v_cvt_f32_i32_sdwa v40, sext(v31) dst_sel:DWORD dst_unused:UNUSED_PAD src0_sel:BYTE_0
	;; [unrolled: 1-line block ×4, first 2 shown]
	v_cvt_f32_i32_sdwa v39, sext(v30) dst_sel:DWORD dst_unused:UNUSED_PAD src0_sel:BYTE_1
	v_cvt_f32_i32_sdwa v41, sext(v31) dst_sel:DWORD dst_unused:UNUSED_PAD src0_sel:BYTE_1
	;; [unrolled: 1-line block ×4, first 2 shown]
	v_cvt_f32_i32_sdwa v6, sext(v30) dst_sel:DWORD dst_unused:UNUSED_PAD src0_sel:BYTE_2
	v_cvt_f32_i32_sdwa v7, sext(v31) dst_sel:DWORD dst_unused:UNUSED_PAD src0_sel:BYTE_2
	;; [unrolled: 1-line block ×4, first 2 shown]
	v_cvt_f32_i32_sdwa v31, sext(v31) dst_sel:DWORD dst_unused:UNUSED_PAD src0_sel:BYTE_3
	v_cvt_f32_i32_sdwa v30, sext(v30) dst_sel:DWORD dst_unused:UNUSED_PAD src0_sel:BYTE_3
	;; [unrolled: 1-line block ×4, first 2 shown]
	v_cmp_eq_u64_e32 vcc, 0, v[4:5]
	s_or_b64 s[14:15], vcc, s[14:15]
	s_waitcnt vmcnt(0)
	v_cvt_f32_i32_sdwa v46, sext(v15) dst_sel:DWORD dst_unused:UNUSED_PAD src0_sel:BYTE_0
	v_cvt_f32_i32_sdwa v47, sext(v15) dst_sel:DWORD dst_unused:UNUSED_PAD src0_sel:BYTE_1
	v_cvt_f32_i32_sdwa v36, sext(v15) dst_sel:DWORD dst_unused:UNUSED_PAD src0_sel:BYTE_2
	v_cvt_f32_i32_sdwa v38, sext(v15) dst_sel:DWORD dst_unused:UNUSED_PAD src0_sel:BYTE_3
	v_fmac_f32_e32 v26, v37, v46
	v_fmac_f32_e32 v27, v40, v46
	;; [unrolled: 1-line block ×8, first 2 shown]
	v_pk_fma_f32 v[6:7], v[6:7], v[36:37], v[26:27] op_sel_hi:[1,0,1]
	v_pk_fma_f32 v[24:25], v[34:35], v[36:37], v[24:25] op_sel_hi:[1,0,1]
	;; [unrolled: 1-line block ×4, first 2 shown]
	s_andn2_b64 exec, exec, s[14:15]
	s_cbranch_execnz .LBB88_19
; %bb.20:
	s_or_b64 exec, exec, s[14:15]
.LBB88_21:
	s_or_b64 exec, exec, s[10:11]
	s_mov_b64 s[10:11], 0x5f
	v_cmp_lt_u64_e32 vcc, s[10:11], v[0:1]
	s_and_saveexec_b64 s[10:11], vcc
	s_cbranch_execz .LBB88_25
; %bb.22:
	v_lshl_add_u64 v[0:1], v[10:11], 3, s[8:9]
	s_mov_b64 s[14:15], 0x200
	v_lshl_add_u64 v[30:31], v[0:1], 0, s[14:15]
	s_mov_b64 s[14:15], 0
	s_mov_b64 s[18:19], 0x80
	;; [unrolled: 1-line block ×4, first 2 shown]
.LBB88_23:                              ; =>This Inner Loop Header: Depth=1
	global_load_dwordx2 v[40:41], v[30:31], off offset:-512
	global_load_dwordx4 v[0:3], v[28:29], off
	global_load_dwordx2 v[42:43], v[30:31], off offset:-256
	global_load_dwordx2 v[44:45], v[30:31], off
	global_load_dwordx2 v[46:47], v[30:31], off offset:256
	global_load_dwordx4 v[4:7], v[28:29], off offset:1536
	global_load_dwordx4 v[32:35], v[28:29], off offset:512
	;; [unrolled: 1-line block ×3, first 2 shown]
	v_lshl_add_u64 v[10:11], v[10:11], 0, s[18:19]
	v_cmp_ge_i64_e32 vcc, v[10:11], v[20:21]
	s_or_b64 s[14:15], vcc, s[14:15]
	v_lshl_add_u64 v[30:31], v[30:31], 0, s[20:21]
	v_lshl_add_u64 v[28:29], v[28:29], 0, s[22:23]
	s_waitcnt vmcnt(7)
	v_sub_co_u32_e32 v40, vcc, v40, v16
	s_nop 1
	v_subb_co_u32_e32 v41, vcc, v41, v17, vcc
	s_waitcnt vmcnt(5)
	v_sub_co_u32_e32 v42, vcc, v42, v16
	s_waitcnt lgkmcnt(0)
	v_lshl_add_u64 v[40:41], v[40:41], 2, s[4:5]
	v_subb_co_u32_e32 v43, vcc, v43, v17, vcc
	s_waitcnt vmcnt(4)
	v_sub_co_u32_e32 v44, vcc, v44, v16
	v_lshl_add_u64 v[42:43], v[42:43], 2, s[4:5]
	s_nop 0
	v_subb_co_u32_e32 v45, vcc, v45, v17, vcc
	s_waitcnt vmcnt(3)
	v_sub_co_u32_e32 v46, vcc, v46, v16
	v_lshl_add_u64 v[44:45], v[44:45], 2, s[4:5]
	s_nop 0
	v_subb_co_u32_e32 v47, vcc, v47, v17, vcc
	v_lshl_add_u64 v[46:47], v[46:47], 2, s[4:5]
	global_load_dword v82, v[40:41], off
	global_load_dword v90, v[42:43], off
	;; [unrolled: 1-line block ×4, first 2 shown]
	v_cvt_f32_i32_sdwa v15, sext(v0) dst_sel:DWORD dst_unused:UNUSED_PAD src0_sel:BYTE_0
	v_cvt_f32_i32_sdwa v83, sext(v1) dst_sel:DWORD dst_unused:UNUSED_PAD src0_sel:BYTE_0
	;; [unrolled: 1-line block ×4, first 2 shown]
	v_cvt_f32_i32_sdwa v81, sext(v0) dst_sel:DWORD dst_unused:UNUSED_PAD src0_sel:BYTE_1
	v_cvt_f32_i32_sdwa v85, sext(v1) dst_sel:DWORD dst_unused:UNUSED_PAD src0_sel:BYTE_1
	;; [unrolled: 1-line block ×4, first 2 shown]
	v_cvt_f32_i32_sdwa v48, sext(v0) dst_sel:DWORD dst_unused:UNUSED_PAD src0_sel:BYTE_2
	v_cvt_f32_i32_sdwa v49, sext(v1) dst_sel:DWORD dst_unused:UNUSED_PAD src0_sel:BYTE_2
	;; [unrolled: 1-line block ×4, first 2 shown]
	v_cvt_f32_i32_sdwa v1, sext(v1) dst_sel:DWORD dst_unused:UNUSED_PAD src0_sel:BYTE_3
	v_cvt_f32_i32_sdwa v0, sext(v0) dst_sel:DWORD dst_unused:UNUSED_PAD src0_sel:BYTE_3
	;; [unrolled: 1-line block ×4, first 2 shown]
	s_waitcnt vmcnt(5)
	v_cvt_f32_i32_sdwa v55, sext(v33) dst_sel:DWORD dst_unused:UNUSED_PAD src0_sel:BYTE_0
	v_cvt_f32_i32_sdwa v54, sext(v32) dst_sel:DWORD dst_unused:UNUSED_PAD src0_sel:BYTE_0
	;; [unrolled: 1-line block ×4, first 2 shown]
	v_cvt_f32_i32_sdwa v57, sext(v33) dst_sel:DWORD dst_unused:UNUSED_PAD src0_sel:BYTE_1
	v_cvt_f32_i32_sdwa v56, sext(v32) dst_sel:DWORD dst_unused:UNUSED_PAD src0_sel:BYTE_1
	;; [unrolled: 1-line block ×4, first 2 shown]
	v_cvt_f32_i32_sdwa v59, sext(v33) dst_sel:DWORD dst_unused:UNUSED_PAD src0_sel:BYTE_2
	v_cvt_f32_i32_sdwa v58, sext(v32) dst_sel:DWORD dst_unused:UNUSED_PAD src0_sel:BYTE_2
	;; [unrolled: 1-line block ×4, first 2 shown]
	v_cvt_f32_i32_sdwa v33, sext(v33) dst_sel:DWORD dst_unused:UNUSED_PAD src0_sel:BYTE_3
	v_cvt_f32_i32_sdwa v32, sext(v32) dst_sel:DWORD dst_unused:UNUSED_PAD src0_sel:BYTE_3
	;; [unrolled: 1-line block ×4, first 2 shown]
	s_waitcnt vmcnt(4)
	v_cvt_f32_i32_sdwa v61, sext(v37) dst_sel:DWORD dst_unused:UNUSED_PAD src0_sel:BYTE_0
	v_cvt_f32_i32_sdwa v60, sext(v36) dst_sel:DWORD dst_unused:UNUSED_PAD src0_sel:BYTE_0
	v_cvt_f32_i32_sdwa v71, sext(v39) dst_sel:DWORD dst_unused:UNUSED_PAD src0_sel:BYTE_0
	v_cvt_f32_i32_sdwa v70, sext(v38) dst_sel:DWORD dst_unused:UNUSED_PAD src0_sel:BYTE_0
	v_cvt_f32_i32_sdwa v63, sext(v37) dst_sel:DWORD dst_unused:UNUSED_PAD src0_sel:BYTE_1
	v_cvt_f32_i32_sdwa v62, sext(v36) dst_sel:DWORD dst_unused:UNUSED_PAD src0_sel:BYTE_1
	;; [unrolled: 1-line block ×4, first 2 shown]
	v_cvt_f32_i32_sdwa v65, sext(v37) dst_sel:DWORD dst_unused:UNUSED_PAD src0_sel:BYTE_2
	v_cvt_f32_i32_sdwa v64, sext(v36) dst_sel:DWORD dst_unused:UNUSED_PAD src0_sel:BYTE_2
	;; [unrolled: 1-line block ×4, first 2 shown]
	v_cvt_f32_i32_sdwa v37, sext(v37) dst_sel:DWORD dst_unused:UNUSED_PAD src0_sel:BYTE_3
	v_cvt_f32_i32_sdwa v36, sext(v36) dst_sel:DWORD dst_unused:UNUSED_PAD src0_sel:BYTE_3
	;; [unrolled: 1-line block ×4, first 2 shown]
	v_cvt_f32_i32_sdwa v41, sext(v5) dst_sel:DWORD dst_unused:UNUSED_PAD src0_sel:BYTE_0
	v_cvt_f32_i32_sdwa v40, sext(v4) dst_sel:DWORD dst_unused:UNUSED_PAD src0_sel:BYTE_0
	;; [unrolled: 1-line block ×4, first 2 shown]
	v_cvt_f32_i32_sdwa v52, sext(v4) dst_sel:DWORD dst_unused:UNUSED_PAD src0_sel:BYTE_1
	v_cvt_f32_i32_sdwa v53, sext(v5) dst_sel:DWORD dst_unused:UNUSED_PAD src0_sel:BYTE_1
	;; [unrolled: 1-line block ×4, first 2 shown]
	v_cvt_f32_i32_sdwa v43, sext(v5) dst_sel:DWORD dst_unused:UNUSED_PAD src0_sel:BYTE_2
	v_cvt_f32_i32_sdwa v42, sext(v4) dst_sel:DWORD dst_unused:UNUSED_PAD src0_sel:BYTE_2
	;; [unrolled: 1-line block ×4, first 2 shown]
	v_cvt_f32_i32_sdwa v5, sext(v5) dst_sel:DWORD dst_unused:UNUSED_PAD src0_sel:BYTE_3
	v_cvt_f32_i32_sdwa v4, sext(v4) dst_sel:DWORD dst_unused:UNUSED_PAD src0_sel:BYTE_3
	v_cvt_f32_i32_sdwa v7, sext(v7) dst_sel:DWORD dst_unused:UNUSED_PAD src0_sel:BYTE_3
	v_cvt_f32_i32_sdwa v6, sext(v6) dst_sel:DWORD dst_unused:UNUSED_PAD src0_sel:BYTE_3
	s_waitcnt vmcnt(3)
	v_cvt_f32_i32_sdwa v92, sext(v82) dst_sel:DWORD dst_unused:UNUSED_PAD src0_sel:BYTE_0
	v_cvt_f32_i32_sdwa v98, sext(v82) dst_sel:DWORD dst_unused:UNUSED_PAD src0_sel:BYTE_1
	v_cvt_f32_i32_sdwa v80, sext(v82) dst_sel:DWORD dst_unused:UNUSED_PAD src0_sel:BYTE_2
	v_cvt_f32_i32_sdwa v82, sext(v82) dst_sel:DWORD dst_unused:UNUSED_PAD src0_sel:BYTE_3
	s_waitcnt vmcnt(2)
	v_cvt_f32_i32_sdwa v84, sext(v90) dst_sel:DWORD dst_unused:UNUSED_PAD src0_sel:BYTE_0
	v_fmac_f32_e32 v26, v15, v92
	v_fmac_f32_e32 v27, v83, v92
	;; [unrolled: 1-line block ×4, first 2 shown]
	v_cvt_f32_i32_sdwa v86, sext(v90) dst_sel:DWORD dst_unused:UNUSED_PAD src0_sel:BYTE_1
	v_fmac_f32_e32 v26, v81, v98
	v_fmac_f32_e32 v27, v85, v98
	;; [unrolled: 1-line block ×4, first 2 shown]
	v_cvt_f32_i32_sdwa v88, sext(v90) dst_sel:DWORD dst_unused:UNUSED_PAD src0_sel:BYTE_2
	v_pk_fma_f32 v[26:27], v[48:49], v[80:81], v[26:27] op_sel_hi:[1,0,1]
	v_pk_fma_f32 v[24:25], v[50:51], v[80:81], v[24:25] op_sel_hi:[1,0,1]
	v_cvt_f32_i32_sdwa v90, sext(v90) dst_sel:DWORD dst_unused:UNUSED_PAD src0_sel:BYTE_3
	v_pk_fma_f32 v[0:1], v[0:1], v[82:83], v[26:27] op_sel_hi:[1,0,1]
	v_pk_fma_f32 v[2:3], v[2:3], v[82:83], v[24:25] op_sel_hi:[1,0,1]
	s_waitcnt vmcnt(1)
	v_cvt_f32_i32_sdwa v92, sext(v95) dst_sel:DWORD dst_unused:UNUSED_PAD src0_sel:BYTE_0
	v_pk_fma_f32 v[0:1], v[54:55], v[84:85], v[0:1] op_sel_hi:[1,0,1]
	v_pk_fma_f32 v[2:3], v[46:47], v[84:85], v[2:3] op_sel_hi:[1,0,1]
	v_cvt_f32_i32_sdwa v94, sext(v95) dst_sel:DWORD dst_unused:UNUSED_PAD src0_sel:BYTE_1
	v_pk_fma_f32 v[0:1], v[56:57], v[86:87], v[0:1] op_sel_hi:[1,0,1]
	v_pk_fma_f32 v[2:3], v[66:67], v[86:87], v[2:3] op_sel_hi:[1,0,1]
	v_cvt_f32_i32_sdwa v96, sext(v95) dst_sel:DWORD dst_unused:UNUSED_PAD src0_sel:BYTE_2
	v_pk_fma_f32 v[0:1], v[58:59], v[88:89], v[0:1] op_sel_hi:[1,0,1]
	v_pk_fma_f32 v[2:3], v[68:69], v[88:89], v[2:3] op_sel_hi:[1,0,1]
	v_cvt_f32_i32_sdwa v98, sext(v95) dst_sel:DWORD dst_unused:UNUSED_PAD src0_sel:BYTE_3
	v_pk_fma_f32 v[0:1], v[32:33], v[90:91], v[0:1] op_sel_hi:[1,0,1]
	v_pk_fma_f32 v[2:3], v[34:35], v[90:91], v[2:3] op_sel_hi:[1,0,1]
	s_waitcnt vmcnt(0)
	v_cvt_f32_i32_sdwa v48, sext(v97) dst_sel:DWORD dst_unused:UNUSED_PAD src0_sel:BYTE_0
	v_pk_fma_f32 v[0:1], v[60:61], v[92:93], v[0:1] op_sel_hi:[1,0,1]
	v_pk_fma_f32 v[2:3], v[70:71], v[92:93], v[2:3] op_sel_hi:[1,0,1]
	v_cvt_f32_i32_sdwa v50, sext(v97) dst_sel:DWORD dst_unused:UNUSED_PAD src0_sel:BYTE_1
	v_pk_fma_f32 v[0:1], v[62:63], v[94:95], v[0:1] op_sel_hi:[1,0,1]
	v_pk_fma_f32 v[2:3], v[72:73], v[94:95], v[2:3] op_sel_hi:[1,0,1]
	v_cvt_f32_i32_sdwa v80, sext(v97) dst_sel:DWORD dst_unused:UNUSED_PAD src0_sel:BYTE_2
	v_pk_fma_f32 v[0:1], v[64:65], v[96:97], v[0:1] op_sel_hi:[1,0,1]
	v_pk_fma_f32 v[2:3], v[74:75], v[96:97], v[2:3] op_sel_hi:[1,0,1]
	v_cvt_f32_i32_sdwa v100, sext(v97) dst_sel:DWORD dst_unused:UNUSED_PAD src0_sel:BYTE_3
	v_pk_fma_f32 v[0:1], v[36:37], v[98:99], v[0:1] op_sel_hi:[1,0,1]
	v_pk_fma_f32 v[2:3], v[38:39], v[98:99], v[2:3] op_sel_hi:[1,0,1]
	;; [unrolled: 1-line block ×10, first 2 shown]
	s_andn2_b64 exec, exec, s[14:15]
	s_cbranch_execnz .LBB88_23
; %bb.24:
	s_or_b64 exec, exec, s[14:15]
.LBB88_25:
	s_or_b64 exec, exec, s[10:11]
	v_mov_b32_e32 v15, v25
.LBB88_26:
	s_or_b64 exec, exec, s[6:7]
	v_mov_b32_e32 v25, v15
	s_cbranch_execz .LBB88_28
	s_branch .LBB88_39
.LBB88_27:
                                        ; implicit-def: $vgpr25
                                        ; implicit-def: $vgpr27
.LBB88_28:
	v_mov_b32_e32 v25, 0
	v_mov_b32_e32 v24, 0
	;; [unrolled: 1-line block ×4, first 2 shown]
	s_and_saveexec_b64 s[6:7], s[2:3]
	s_cbranch_execz .LBB88_38
; %bb.29:
	v_or_b32_e32 v0, 32, v14
	v_sub_co_u32_e32 v0, vcc, v0, v16
	v_not_b32_e32 v3, v9
	s_nop 0
	v_subb_co_u32_e32 v1, vcc, 0, v17, vcc
	v_lshl_add_u64 v[0:1], v[0:1], 0, v[8:9]
	v_cmp_gt_i64_e32 vcc, v[0:1], v[20:21]
	v_not_b32_e32 v2, v8
	v_mov_b32_e32 v24, 0
	v_cndmask_b32_e32 v1, v21, v1, vcc
	v_cndmask_b32_e32 v0, v20, v0, vcc
	v_sub_co_u32_e32 v4, vcc, v16, v14
	s_mov_b64 s[2:3], 0x60
	s_nop 0
	v_subbrev_co_u32_e32 v5, vcc, 0, v17, vcc
	v_lshl_add_u64 v[2:3], v[4:5], 0, v[2:3]
	v_lshl_add_u64 v[0:1], v[2:3], 0, v[0:1]
	v_and_b32_e32 v2, 0x60, v0
	v_mov_b32_e32 v3, v24
	v_mov_b32_e32 v25, v24
	v_cmp_ne_u64_e32 vcc, s[2:3], v[2:3]
	v_mov_b64_e32 v[26:27], v[24:25]
	s_and_saveexec_b64 s[2:3], vcc
	s_cbranch_execz .LBB88_33
; %bb.30:
	v_lshrrev_b32_e32 v2, 5, v0
	v_add_u32_e32 v2, 1, v2
	v_and_b32_e32 v4, 3, v2
	v_sub_co_u32_e32 v4, vcc, 0, v4
	v_lshl_add_u64 v[2:3], v[18:19], 3, s[8:9]
	s_nop 0
	v_subb_co_u32_e64 v5, s[14:15], 0, 0, vcc
	s_mov_b64 s[10:11], 0
	s_mov_b64 s[14:15], 0x200
	;; [unrolled: 1-line block ×3, first 2 shown]
	v_mov_b32_e32 v25, v24
	v_mov_b32_e32 v26, v24
	v_mov_b32_e32 v27, v24
.LBB88_31:                              ; =>This Inner Loop Header: Depth=1
	global_load_dwordx2 v[10:11], v[2:3], off
	global_load_dwordx4 v[6:9], v[22:23], off
	v_lshl_add_u64 v[4:5], v[4:5], 0, 1
	v_lshl_add_u64 v[22:23], v[22:23], 0, s[14:15]
	;; [unrolled: 1-line block ×4, first 2 shown]
	s_waitcnt vmcnt(1)
	v_sub_co_u32_e32 v10, vcc, v10, v16
	s_nop 1
	v_subb_co_u32_e32 v11, vcc, v11, v17, vcc
	s_waitcnt lgkmcnt(0)
	v_lshl_add_u64 v[10:11], v[10:11], 2, s[4:5]
	global_load_dword v15, v[10:11], off
	s_waitcnt vmcnt(1)
	v_cvt_f32_i32_sdwa v11, sext(v6) dst_sel:DWORD dst_unused:UNUSED_PAD src0_sel:BYTE_1
	v_cvt_f32_i32_sdwa v10, sext(v6) dst_sel:DWORD dst_unused:UNUSED_PAD src0_sel:BYTE_0
	v_cvt_f32_i32_sdwa v29, sext(v7) dst_sel:DWORD dst_unused:UNUSED_PAD src0_sel:BYTE_1
	v_cvt_f32_i32_sdwa v28, sext(v7) dst_sel:DWORD dst_unused:UNUSED_PAD src0_sel:BYTE_0
	v_cvt_f32_i32_sdwa v31, sext(v6) dst_sel:DWORD dst_unused:UNUSED_PAD src0_sel:BYTE_3
	v_cvt_f32_i32_sdwa v30, sext(v6) dst_sel:DWORD dst_unused:UNUSED_PAD src0_sel:BYTE_2
	v_cvt_f32_i32_sdwa v33, sext(v7) dst_sel:DWORD dst_unused:UNUSED_PAD src0_sel:BYTE_3
	v_cvt_f32_i32_sdwa v32, sext(v7) dst_sel:DWORD dst_unused:UNUSED_PAD src0_sel:BYTE_2
	v_cvt_f32_i32_sdwa v7, sext(v8) dst_sel:DWORD dst_unused:UNUSED_PAD src0_sel:BYTE_1
	v_cvt_f32_i32_sdwa v6, sext(v8) dst_sel:DWORD dst_unused:UNUSED_PAD src0_sel:BYTE_0
	v_cvt_f32_i32_sdwa v35, sext(v8) dst_sel:DWORD dst_unused:UNUSED_PAD src0_sel:BYTE_3
	v_cvt_f32_i32_sdwa v34, sext(v8) dst_sel:DWORD dst_unused:UNUSED_PAD src0_sel:BYTE_2
	v_cvt_f32_i32_sdwa v37, sext(v9) dst_sel:DWORD dst_unused:UNUSED_PAD src0_sel:BYTE_1
	v_cvt_f32_i32_sdwa v36, sext(v9) dst_sel:DWORD dst_unused:UNUSED_PAD src0_sel:BYTE_0
	v_cvt_f32_i32_sdwa v39, sext(v9) dst_sel:DWORD dst_unused:UNUSED_PAD src0_sel:BYTE_3
	v_cvt_f32_i32_sdwa v38, sext(v9) dst_sel:DWORD dst_unused:UNUSED_PAD src0_sel:BYTE_2
	v_cmp_eq_u64_e32 vcc, 0, v[4:5]
	s_or_b64 s[10:11], vcc, s[10:11]
	s_waitcnt vmcnt(0)
	v_cvt_f32_i32_sdwa v8, sext(v15) dst_sel:DWORD dst_unused:UNUSED_PAD src0_sel:BYTE_0
	v_cvt_f32_i32_sdwa v40, sext(v15) dst_sel:DWORD dst_unused:UNUSED_PAD src0_sel:BYTE_1
	v_cvt_f32_i32_sdwa v42, sext(v15) dst_sel:DWORD dst_unused:UNUSED_PAD src0_sel:BYTE_2
	v_cvt_f32_i32_sdwa v44, sext(v15) dst_sel:DWORD dst_unused:UNUSED_PAD src0_sel:BYTE_3
	v_pk_fma_f32 v[10:11], v[10:11], v[8:9], v[26:27] op_sel_hi:[1,0,1]
	v_pk_fma_f32 v[8:9], v[30:31], v[8:9], v[24:25] op_sel_hi:[1,0,1]
	;; [unrolled: 1-line block ×8, first 2 shown]
	s_andn2_b64 exec, exec, s[10:11]
	s_cbranch_execnz .LBB88_31
; %bb.32:
	s_or_b64 exec, exec, s[10:11]
.LBB88_33:
	s_or_b64 exec, exec, s[2:3]
	s_mov_b64 s[2:3], 0x5f
	v_cmp_lt_u64_e32 vcc, s[2:3], v[0:1]
	s_and_saveexec_b64 s[2:3], vcc
	s_cbranch_execz .LBB88_37
; %bb.34:
	v_lshl_add_u64 v[0:1], v[18:19], 3, s[8:9]
	s_mov_b64 s[8:9], 0x200
	v_lshl_add_u64 v[28:29], v[0:1], 0, s[8:9]
	s_mov_b64 s[8:9], 0
	s_mov_b64 s[10:11], 0x800
	;; [unrolled: 1-line block ×4, first 2 shown]
.LBB88_35:                              ; =>This Inner Loop Header: Depth=1
	global_load_dwordx4 v[0:3], v[22:23], off
	global_load_dwordx4 v[4:7], v[22:23], off offset:512
	global_load_dwordx4 v[8:11], v[22:23], off offset:1024
	global_load_dwordx2 v[34:35], v[28:29], off offset:-512
	global_load_dwordx2 v[36:37], v[28:29], off offset:-256
	global_load_dwordx2 v[38:39], v[28:29], off
	global_load_dwordx2 v[40:41], v[28:29], off offset:256
	global_load_dwordx4 v[30:33], v[22:23], off offset:1536
	v_lshl_add_u64 v[18:19], v[18:19], 0, s[14:15]
	v_cmp_ge_i64_e32 vcc, v[18:19], v[20:21]
	s_or_b64 s[8:9], vcc, s[8:9]
	v_lshl_add_u64 v[22:23], v[22:23], 0, s[10:11]
	v_lshl_add_u64 v[28:29], v[28:29], 0, s[18:19]
	s_waitcnt vmcnt(7)
	v_cvt_f32_i32_sdwa v43, sext(v0) dst_sel:DWORD dst_unused:UNUSED_PAD src0_sel:BYTE_1
	v_cvt_f32_i32_sdwa v42, sext(v0) dst_sel:DWORD dst_unused:UNUSED_PAD src0_sel:BYTE_0
	v_cvt_f32_i32_sdwa v45, sext(v1) dst_sel:DWORD dst_unused:UNUSED_PAD src0_sel:BYTE_1
	s_waitcnt vmcnt(4)
	v_sub_co_u32_e32 v34, vcc, v34, v16
	v_cvt_f32_i32_sdwa v44, sext(v1) dst_sel:DWORD dst_unused:UNUSED_PAD src0_sel:BYTE_0
	s_nop 0
	v_subb_co_u32_e32 v35, vcc, v35, v17, vcc
	s_waitcnt vmcnt(3)
	v_sub_co_u32_e32 v36, vcc, v36, v16
	s_waitcnt lgkmcnt(0)
	v_lshl_add_u64 v[34:35], v[34:35], 2, s[4:5]
	v_subb_co_u32_e32 v37, vcc, v37, v17, vcc
	s_waitcnt vmcnt(2)
	v_sub_co_u32_e32 v38, vcc, v38, v16
	v_lshl_add_u64 v[36:37], v[36:37], 2, s[4:5]
	s_nop 0
	v_subb_co_u32_e32 v39, vcc, v39, v17, vcc
	s_waitcnt vmcnt(1)
	v_sub_co_u32_e32 v40, vcc, v40, v16
	v_lshl_add_u64 v[38:39], v[38:39], 2, s[4:5]
	s_nop 0
	v_subb_co_u32_e32 v41, vcc, v41, v17, vcc
	v_lshl_add_u64 v[40:41], v[40:41], 2, s[4:5]
	global_load_dword v15, v[34:35], off
	global_load_dword v85, v[36:37], off
	;; [unrolled: 1-line block ×4, first 2 shown]
	v_cvt_f32_i32_sdwa v47, sext(v0) dst_sel:DWORD dst_unused:UNUSED_PAD src0_sel:BYTE_3
	v_cvt_f32_i32_sdwa v46, sext(v0) dst_sel:DWORD dst_unused:UNUSED_PAD src0_sel:BYTE_2
	v_cvt_f32_i32_sdwa v49, sext(v1) dst_sel:DWORD dst_unused:UNUSED_PAD src0_sel:BYTE_3
	v_cvt_f32_i32_sdwa v48, sext(v1) dst_sel:DWORD dst_unused:UNUSED_PAD src0_sel:BYTE_2
	v_cvt_f32_i32_sdwa v1, sext(v2) dst_sel:DWORD dst_unused:UNUSED_PAD src0_sel:BYTE_1
	v_cvt_f32_i32_sdwa v0, sext(v2) dst_sel:DWORD dst_unused:UNUSED_PAD src0_sel:BYTE_0
	v_cvt_f32_i32_sdwa v51, sext(v2) dst_sel:DWORD dst_unused:UNUSED_PAD src0_sel:BYTE_3
	v_cvt_f32_i32_sdwa v50, sext(v2) dst_sel:DWORD dst_unused:UNUSED_PAD src0_sel:BYTE_2
	v_cvt_f32_i32_sdwa v53, sext(v3) dst_sel:DWORD dst_unused:UNUSED_PAD src0_sel:BYTE_1
	v_cvt_f32_i32_sdwa v52, sext(v3) dst_sel:DWORD dst_unused:UNUSED_PAD src0_sel:BYTE_0
	v_cvt_f32_i32_sdwa v55, sext(v4) dst_sel:DWORD dst_unused:UNUSED_PAD src0_sel:BYTE_1
	v_cvt_f32_i32_sdwa v54, sext(v4) dst_sel:DWORD dst_unused:UNUSED_PAD src0_sel:BYTE_0
	;; [unrolled: 2-line block ×6, first 2 shown]
	v_cvt_f32_i32_sdwa v65, sext(v3) dst_sel:DWORD dst_unused:UNUSED_PAD src0_sel:BYTE_3
	v_cvt_f32_i32_sdwa v64, sext(v3) dst_sel:DWORD dst_unused:UNUSED_PAD src0_sel:BYTE_2
	v_cvt_f32_i32_sdwa v3, sext(v4) dst_sel:DWORD dst_unused:UNUSED_PAD src0_sel:BYTE_3
	v_cvt_f32_i32_sdwa v2, sext(v4) dst_sel:DWORD dst_unused:UNUSED_PAD src0_sel:BYTE_2
	;; [unrolled: 2-line block ×5, first 2 shown]
	v_cvt_f32_i32_sdwa v7, sext(v9) dst_sel:DWORD dst_unused:UNUSED_PAD src0_sel:BYTE_1
	v_cvt_f32_i32_sdwa v6, sext(v9) dst_sel:DWORD dst_unused:UNUSED_PAD src0_sel:BYTE_0
	v_cvt_f32_i32_sdwa v39, sext(v10) dst_sel:DWORD dst_unused:UNUSED_PAD src0_sel:BYTE_1
	v_cvt_f32_i32_sdwa v38, sext(v10) dst_sel:DWORD dst_unused:UNUSED_PAD src0_sel:BYTE_0
	;; [unrolled: 2-line block ×3, first 2 shown]
	v_cvt_f32_i32_sdwa v67, sext(v8) dst_sel:DWORD dst_unused:UNUSED_PAD src0_sel:BYTE_3
	v_cvt_f32_i32_sdwa v66, sext(v8) dst_sel:DWORD dst_unused:UNUSED_PAD src0_sel:BYTE_2
	v_cvt_f32_i32_sdwa v69, sext(v9) dst_sel:DWORD dst_unused:UNUSED_PAD src0_sel:BYTE_3
	v_cvt_f32_i32_sdwa v68, sext(v9) dst_sel:DWORD dst_unused:UNUSED_PAD src0_sel:BYTE_2
	;; [unrolled: 2-line block ×4, first 2 shown]
	s_waitcnt vmcnt(4)
	v_cvt_f32_i32_sdwa v11, sext(v30) dst_sel:DWORD dst_unused:UNUSED_PAD src0_sel:BYTE_1
	v_cvt_f32_i32_sdwa v10, sext(v30) dst_sel:DWORD dst_unused:UNUSED_PAD src0_sel:BYTE_0
	v_cvt_f32_i32_sdwa v73, sext(v30) dst_sel:DWORD dst_unused:UNUSED_PAD src0_sel:BYTE_3
	v_cvt_f32_i32_sdwa v72, sext(v30) dst_sel:DWORD dst_unused:UNUSED_PAD src0_sel:BYTE_2
	v_cvt_f32_i32_sdwa v75, sext(v31) dst_sel:DWORD dst_unused:UNUSED_PAD src0_sel:BYTE_1
	v_cvt_f32_i32_sdwa v74, sext(v31) dst_sel:DWORD dst_unused:UNUSED_PAD src0_sel:BYTE_0
	v_cvt_f32_i32_sdwa v77, sext(v31) dst_sel:DWORD dst_unused:UNUSED_PAD src0_sel:BYTE_3
	v_cvt_f32_i32_sdwa v76, sext(v31) dst_sel:DWORD dst_unused:UNUSED_PAD src0_sel:BYTE_2
	;; [unrolled: 4-line block ×4, first 2 shown]
	s_waitcnt vmcnt(3)
	v_cvt_f32_i32_sdwa v32, sext(v15) dst_sel:DWORD dst_unused:UNUSED_PAD src0_sel:BYTE_0
	v_cvt_f32_i32_sdwa v84, sext(v15) dst_sel:DWORD dst_unused:UNUSED_PAD src0_sel:BYTE_1
	v_cvt_f32_i32_sdwa v86, sext(v15) dst_sel:DWORD dst_unused:UNUSED_PAD src0_sel:BYTE_2
	v_cvt_f32_i32_sdwa v88, sext(v15) dst_sel:DWORD dst_unused:UNUSED_PAD src0_sel:BYTE_3
	s_waitcnt vmcnt(2)
	v_cvt_f32_i32_sdwa v90, sext(v85) dst_sel:DWORD dst_unused:UNUSED_PAD src0_sel:BYTE_0
	v_pk_fma_f32 v[26:27], v[42:43], v[32:33], v[26:27] op_sel_hi:[1,0,1]
	v_pk_fma_f32 v[24:25], v[46:47], v[32:33], v[24:25] op_sel_hi:[1,0,1]
	v_cvt_f32_i32_sdwa v42, sext(v85) dst_sel:DWORD dst_unused:UNUSED_PAD src0_sel:BYTE_1
	v_pk_fma_f32 v[26:27], v[44:45], v[84:85], v[26:27] op_sel_hi:[1,0,1]
	v_pk_fma_f32 v[24:25], v[48:49], v[84:85], v[24:25] op_sel_hi:[1,0,1]
	v_cvt_f32_i32_sdwa v32, sext(v85) dst_sel:DWORD dst_unused:UNUSED_PAD src0_sel:BYTE_2
	s_waitcnt vmcnt(1)
	v_pk_fma_f32 v[0:1], v[0:1], v[86:87], v[26:27] op_sel_hi:[1,0,1]
	v_pk_fma_f32 v[24:25], v[50:51], v[86:87], v[24:25] op_sel_hi:[1,0,1]
	v_cvt_f32_i32_sdwa v46, sext(v85) dst_sel:DWORD dst_unused:UNUSED_PAD src0_sel:BYTE_3
	s_waitcnt vmcnt(0)
	v_pk_fma_f32 v[0:1], v[52:53], v[88:89], v[0:1] op_sel_hi:[1,0,1]
	v_pk_fma_f32 v[24:25], v[64:65], v[88:89], v[24:25] op_sel_hi:[1,0,1]
	v_cvt_f32_i32_sdwa v92, sext(v87) dst_sel:DWORD dst_unused:UNUSED_PAD src0_sel:BYTE_0
	v_pk_fma_f32 v[0:1], v[54:55], v[90:91], v[0:1] op_sel_hi:[1,0,1]
	v_pk_fma_f32 v[2:3], v[2:3], v[90:91], v[24:25] op_sel_hi:[1,0,1]
	v_cvt_f32_i32_sdwa v44, sext(v87) dst_sel:DWORD dst_unused:UNUSED_PAD src0_sel:BYTE_1
	v_pk_fma_f32 v[0:1], v[56:57], v[42:43], v[0:1] op_sel_hi:[1,0,1]
	v_pk_fma_f32 v[2:3], v[34:35], v[42:43], v[2:3] op_sel_hi:[1,0,1]
	v_cvt_f32_i32_sdwa v48, sext(v87) dst_sel:DWORD dst_unused:UNUSED_PAD src0_sel:BYTE_2
	v_pk_fma_f32 v[0:1], v[58:59], v[32:33], v[0:1] op_sel_hi:[1,0,1]
	v_pk_fma_f32 v[2:3], v[4:5], v[32:33], v[2:3] op_sel_hi:[1,0,1]
	v_cvt_f32_i32_sdwa v84, sext(v87) dst_sel:DWORD dst_unused:UNUSED_PAD src0_sel:BYTE_3
	v_pk_fma_f32 v[0:1], v[60:61], v[46:47], v[0:1] op_sel_hi:[1,0,1]
	v_pk_fma_f32 v[2:3], v[36:37], v[46:47], v[2:3] op_sel_hi:[1,0,1]
	v_cvt_f32_i32_sdwa v26, sext(v89) dst_sel:DWORD dst_unused:UNUSED_PAD src0_sel:BYTE_0
	v_pk_fma_f32 v[0:1], v[62:63], v[92:93], v[0:1] op_sel_hi:[1,0,1]
	v_pk_fma_f32 v[2:3], v[66:67], v[92:93], v[2:3] op_sel_hi:[1,0,1]
	v_cvt_f32_i32_sdwa v50, sext(v89) dst_sel:DWORD dst_unused:UNUSED_PAD src0_sel:BYTE_1
	v_pk_fma_f32 v[0:1], v[6:7], v[44:45], v[0:1] op_sel_hi:[1,0,1]
	v_pk_fma_f32 v[2:3], v[68:69], v[44:45], v[2:3] op_sel_hi:[1,0,1]
	v_cvt_f32_i32_sdwa v86, sext(v89) dst_sel:DWORD dst_unused:UNUSED_PAD src0_sel:BYTE_2
	v_pk_fma_f32 v[0:1], v[38:39], v[48:49], v[0:1] op_sel_hi:[1,0,1]
	v_pk_fma_f32 v[2:3], v[8:9], v[48:49], v[2:3] op_sel_hi:[1,0,1]
	v_cvt_f32_i32_sdwa v94, sext(v89) dst_sel:DWORD dst_unused:UNUSED_PAD src0_sel:BYTE_3
	v_pk_fma_f32 v[0:1], v[40:41], v[84:85], v[0:1] op_sel_hi:[1,0,1]
	v_pk_fma_f32 v[2:3], v[70:71], v[84:85], v[2:3] op_sel_hi:[1,0,1]
	;; [unrolled: 1-line block ×10, first 2 shown]
	s_andn2_b64 exec, exec, s[8:9]
	s_cbranch_execnz .LBB88_35
; %bb.36:
	s_or_b64 exec, exec, s[8:9]
.LBB88_37:
	s_or_b64 exec, exec, s[2:3]
.LBB88_38:
	s_or_b64 exec, exec, s[6:7]
.LBB88_39:
	v_mov_b32_dpp v0, v26 row_shr:1 row_mask:0xf bank_mask:0xf
	v_mov_b32_dpp v1, v27 row_shr:1 row_mask:0xf bank_mask:0xf
	;; [unrolled: 1-line block ×4, first 2 shown]
	v_pk_add_f32 v[0:1], v[26:27], v[0:1]
	v_pk_add_f32 v[4:5], v[24:25], v[4:5]
	v_cmp_eq_u32_e32 vcc, 31, v14
	v_mov_b32_dpp v2, v0 row_shr:2 row_mask:0xf bank_mask:0xf
	v_mov_b32_dpp v3, v1 row_shr:2 row_mask:0xf bank_mask:0xf
	v_mov_b32_dpp v6, v4 row_shr:2 row_mask:0xf bank_mask:0xf
	v_mov_b32_dpp v7, v5 row_shr:2 row_mask:0xf bank_mask:0xf
	v_pk_add_f32 v[0:1], v[0:1], v[2:3]
	v_pk_add_f32 v[4:5], v[4:5], v[6:7]
	s_nop 0
	v_mov_b32_dpp v2, v0 row_shr:4 row_mask:0xf bank_mask:0xe
	v_mov_b32_dpp v3, v1 row_shr:4 row_mask:0xf bank_mask:0xe
	v_mov_b32_dpp v6, v4 row_shr:4 row_mask:0xf bank_mask:0xe
	v_mov_b32_dpp v7, v5 row_shr:4 row_mask:0xf bank_mask:0xe
	v_pk_add_f32 v[0:1], v[0:1], v[2:3]
	v_pk_add_f32 v[4:5], v[4:5], v[6:7]
	s_nop 0
	;; [unrolled: 7-line block ×3, first 2 shown]
	v_mov_b32_dpp v2, v0 row_bcast:15 row_mask:0xa bank_mask:0xf
	v_mov_b32_dpp v3, v1 row_bcast:15 row_mask:0xa bank_mask:0xf
	;; [unrolled: 1-line block ×4, first 2 shown]
	s_and_b64 exec, exec, vcc
	s_cbranch_execz .LBB88_10
; %bb.40:
	s_load_dwordx2 s[0:1], s[0:1], 0x58
	v_cmp_eq_f32_e64 s[2:3], s16, 0
	v_pk_add_f32 v[4:5], v[0:1], v[2:3]
	v_pk_add_f32 v[2:3], v[6:7], v[8:9]
	s_and_b64 vcc, exec, s[2:3]
	s_waitcnt lgkmcnt(0)
	v_lshl_add_u64 v[0:1], v[12:13], 4, s[0:1]
	s_cbranch_vccz .LBB88_42
; %bb.41:
	v_pk_mul_f32 v[6:7], s[12:13], v[4:5] op_sel_hi:[0,1]
	v_pk_mul_f32 v[8:9], s[12:13], v[2:3] op_sel_hi:[0,1]
	global_store_dwordx4 v[0:1], v[6:9], off
	s_cbranch_execnz .LBB88_10
	s_branch .LBB88_43
.LBB88_42:
.LBB88_43:
	global_load_dwordx4 v[6:9], v[0:1], off
	v_pk_mul_f32 v[4:5], s[12:13], v[4:5] op_sel_hi:[0,1]
	v_pk_mul_f32 v[10:11], s[12:13], v[2:3] op_sel_hi:[0,1]
	s_waitcnt vmcnt(0)
	v_pk_fma_f32 v[2:3], s[16:17], v[6:7], v[4:5] op_sel_hi:[0,1,1]
	v_pk_fma_f32 v[4:5], s[16:17], v[8:9], v[10:11] op_sel_hi:[0,1,1]
	global_store_dwordx4 v[0:1], v[2:5], off
	s_endpgm
	.section	.rodata,"a",@progbits
	.p2align	6, 0x0
	.amdhsa_kernel _ZN9rocsparseL18bsrxmvn_4x4_kernelILj128ELj32EfllaafEEvT3_20rocsparse_direction_NS_24const_host_device_scalarIT1_EES1_PKS1_PKT2_SA_S7_PKT4_PKT5_S5_PT6_21rocsparse_index_base_b
		.amdhsa_group_segment_fixed_size 0
		.amdhsa_private_segment_fixed_size 0
		.amdhsa_kernarg_size 104
		.amdhsa_user_sgpr_count 2
		.amdhsa_user_sgpr_dispatch_ptr 0
		.amdhsa_user_sgpr_queue_ptr 0
		.amdhsa_user_sgpr_kernarg_segment_ptr 1
		.amdhsa_user_sgpr_dispatch_id 0
		.amdhsa_user_sgpr_kernarg_preload_length 0
		.amdhsa_user_sgpr_kernarg_preload_offset 0
		.amdhsa_user_sgpr_private_segment_size 0
		.amdhsa_uses_dynamic_stack 0
		.amdhsa_enable_private_segment 0
		.amdhsa_system_sgpr_workgroup_id_x 1
		.amdhsa_system_sgpr_workgroup_id_y 0
		.amdhsa_system_sgpr_workgroup_id_z 0
		.amdhsa_system_sgpr_workgroup_info 0
		.amdhsa_system_vgpr_workitem_id 0
		.amdhsa_next_free_vgpr 102
		.amdhsa_next_free_sgpr 24
		.amdhsa_accum_offset 104
		.amdhsa_reserve_vcc 1
		.amdhsa_float_round_mode_32 0
		.amdhsa_float_round_mode_16_64 0
		.amdhsa_float_denorm_mode_32 3
		.amdhsa_float_denorm_mode_16_64 3
		.amdhsa_dx10_clamp 1
		.amdhsa_ieee_mode 1
		.amdhsa_fp16_overflow 0
		.amdhsa_tg_split 0
		.amdhsa_exception_fp_ieee_invalid_op 0
		.amdhsa_exception_fp_denorm_src 0
		.amdhsa_exception_fp_ieee_div_zero 0
		.amdhsa_exception_fp_ieee_overflow 0
		.amdhsa_exception_fp_ieee_underflow 0
		.amdhsa_exception_fp_ieee_inexact 0
		.amdhsa_exception_int_div_zero 0
	.end_amdhsa_kernel
	.section	.text._ZN9rocsparseL18bsrxmvn_4x4_kernelILj128ELj32EfllaafEEvT3_20rocsparse_direction_NS_24const_host_device_scalarIT1_EES1_PKS1_PKT2_SA_S7_PKT4_PKT5_S5_PT6_21rocsparse_index_base_b,"axG",@progbits,_ZN9rocsparseL18bsrxmvn_4x4_kernelILj128ELj32EfllaafEEvT3_20rocsparse_direction_NS_24const_host_device_scalarIT1_EES1_PKS1_PKT2_SA_S7_PKT4_PKT5_S5_PT6_21rocsparse_index_base_b,comdat
.Lfunc_end88:
	.size	_ZN9rocsparseL18bsrxmvn_4x4_kernelILj128ELj32EfllaafEEvT3_20rocsparse_direction_NS_24const_host_device_scalarIT1_EES1_PKS1_PKT2_SA_S7_PKT4_PKT5_S5_PT6_21rocsparse_index_base_b, .Lfunc_end88-_ZN9rocsparseL18bsrxmvn_4x4_kernelILj128ELj32EfllaafEEvT3_20rocsparse_direction_NS_24const_host_device_scalarIT1_EES1_PKS1_PKT2_SA_S7_PKT4_PKT5_S5_PT6_21rocsparse_index_base_b
                                        ; -- End function
	.set _ZN9rocsparseL18bsrxmvn_4x4_kernelILj128ELj32EfllaafEEvT3_20rocsparse_direction_NS_24const_host_device_scalarIT1_EES1_PKS1_PKT2_SA_S7_PKT4_PKT5_S5_PT6_21rocsparse_index_base_b.num_vgpr, 102
	.set _ZN9rocsparseL18bsrxmvn_4x4_kernelILj128ELj32EfllaafEEvT3_20rocsparse_direction_NS_24const_host_device_scalarIT1_EES1_PKS1_PKT2_SA_S7_PKT4_PKT5_S5_PT6_21rocsparse_index_base_b.num_agpr, 0
	.set _ZN9rocsparseL18bsrxmvn_4x4_kernelILj128ELj32EfllaafEEvT3_20rocsparse_direction_NS_24const_host_device_scalarIT1_EES1_PKS1_PKT2_SA_S7_PKT4_PKT5_S5_PT6_21rocsparse_index_base_b.numbered_sgpr, 24
	.set _ZN9rocsparseL18bsrxmvn_4x4_kernelILj128ELj32EfllaafEEvT3_20rocsparse_direction_NS_24const_host_device_scalarIT1_EES1_PKS1_PKT2_SA_S7_PKT4_PKT5_S5_PT6_21rocsparse_index_base_b.num_named_barrier, 0
	.set _ZN9rocsparseL18bsrxmvn_4x4_kernelILj128ELj32EfllaafEEvT3_20rocsparse_direction_NS_24const_host_device_scalarIT1_EES1_PKS1_PKT2_SA_S7_PKT4_PKT5_S5_PT6_21rocsparse_index_base_b.private_seg_size, 0
	.set _ZN9rocsparseL18bsrxmvn_4x4_kernelILj128ELj32EfllaafEEvT3_20rocsparse_direction_NS_24const_host_device_scalarIT1_EES1_PKS1_PKT2_SA_S7_PKT4_PKT5_S5_PT6_21rocsparse_index_base_b.uses_vcc, 1
	.set _ZN9rocsparseL18bsrxmvn_4x4_kernelILj128ELj32EfllaafEEvT3_20rocsparse_direction_NS_24const_host_device_scalarIT1_EES1_PKS1_PKT2_SA_S7_PKT4_PKT5_S5_PT6_21rocsparse_index_base_b.uses_flat_scratch, 0
	.set _ZN9rocsparseL18bsrxmvn_4x4_kernelILj128ELj32EfllaafEEvT3_20rocsparse_direction_NS_24const_host_device_scalarIT1_EES1_PKS1_PKT2_SA_S7_PKT4_PKT5_S5_PT6_21rocsparse_index_base_b.has_dyn_sized_stack, 0
	.set _ZN9rocsparseL18bsrxmvn_4x4_kernelILj128ELj32EfllaafEEvT3_20rocsparse_direction_NS_24const_host_device_scalarIT1_EES1_PKS1_PKT2_SA_S7_PKT4_PKT5_S5_PT6_21rocsparse_index_base_b.has_recursion, 0
	.set _ZN9rocsparseL18bsrxmvn_4x4_kernelILj128ELj32EfllaafEEvT3_20rocsparse_direction_NS_24const_host_device_scalarIT1_EES1_PKS1_PKT2_SA_S7_PKT4_PKT5_S5_PT6_21rocsparse_index_base_b.has_indirect_call, 0
	.section	.AMDGPU.csdata,"",@progbits
; Kernel info:
; codeLenInByte = 4424
; TotalNumSgprs: 30
; NumVgprs: 102
; NumAgprs: 0
; TotalNumVgprs: 102
; ScratchSize: 0
; MemoryBound: 0
; FloatMode: 240
; IeeeMode: 1
; LDSByteSize: 0 bytes/workgroup (compile time only)
; SGPRBlocks: 3
; VGPRBlocks: 12
; NumSGPRsForWavesPerEU: 30
; NumVGPRsForWavesPerEU: 102
; AccumOffset: 104
; Occupancy: 4
; WaveLimiterHint : 1
; COMPUTE_PGM_RSRC2:SCRATCH_EN: 0
; COMPUTE_PGM_RSRC2:USER_SGPR: 2
; COMPUTE_PGM_RSRC2:TRAP_HANDLER: 0
; COMPUTE_PGM_RSRC2:TGID_X_EN: 1
; COMPUTE_PGM_RSRC2:TGID_Y_EN: 0
; COMPUTE_PGM_RSRC2:TGID_Z_EN: 0
; COMPUTE_PGM_RSRC2:TIDIG_COMP_CNT: 0
; COMPUTE_PGM_RSRC3_GFX90A:ACCUM_OFFSET: 25
; COMPUTE_PGM_RSRC3_GFX90A:TG_SPLIT: 0
	.section	.text._ZN9rocsparseL18bsrxmvn_4x4_kernelILj128ELj64EfllaafEEvT3_20rocsparse_direction_NS_24const_host_device_scalarIT1_EES1_PKS1_PKT2_SA_S7_PKT4_PKT5_S5_PT6_21rocsparse_index_base_b,"axG",@progbits,_ZN9rocsparseL18bsrxmvn_4x4_kernelILj128ELj64EfllaafEEvT3_20rocsparse_direction_NS_24const_host_device_scalarIT1_EES1_PKS1_PKT2_SA_S7_PKT4_PKT5_S5_PT6_21rocsparse_index_base_b,comdat
	.globl	_ZN9rocsparseL18bsrxmvn_4x4_kernelILj128ELj64EfllaafEEvT3_20rocsparse_direction_NS_24const_host_device_scalarIT1_EES1_PKS1_PKT2_SA_S7_PKT4_PKT5_S5_PT6_21rocsparse_index_base_b ; -- Begin function _ZN9rocsparseL18bsrxmvn_4x4_kernelILj128ELj64EfllaafEEvT3_20rocsparse_direction_NS_24const_host_device_scalarIT1_EES1_PKS1_PKT2_SA_S7_PKT4_PKT5_S5_PT6_21rocsparse_index_base_b
	.p2align	8
	.type	_ZN9rocsparseL18bsrxmvn_4x4_kernelILj128ELj64EfllaafEEvT3_20rocsparse_direction_NS_24const_host_device_scalarIT1_EES1_PKS1_PKT2_SA_S7_PKT4_PKT5_S5_PT6_21rocsparse_index_base_b,@function
_ZN9rocsparseL18bsrxmvn_4x4_kernelILj128ELj64EfllaafEEvT3_20rocsparse_direction_NS_24const_host_device_scalarIT1_EES1_PKS1_PKT2_SA_S7_PKT4_PKT5_S5_PT6_21rocsparse_index_base_b: ; @_ZN9rocsparseL18bsrxmvn_4x4_kernelILj128ELj64EfllaafEEvT3_20rocsparse_direction_NS_24const_host_device_scalarIT1_EES1_PKS1_PKT2_SA_S7_PKT4_PKT5_S5_PT6_21rocsparse_index_base_b
; %bb.0:
	s_load_dwordx2 s[4:5], s[0:1], 0x60
	s_load_dwordx4 s[12:15], s[0:1], 0x10
	s_load_dwordx2 s[16:17], s[0:1], 0x50
	s_waitcnt lgkmcnt(0)
	s_bitcmp1_b32 s5, 0
	s_cselect_b64 s[8:9], -1, 0
	s_xor_b64 s[6:7], s[8:9], -1
	s_and_b64 vcc, exec, s[8:9]
	s_cbranch_vccnz .LBB89_2
; %bb.1:
	s_load_dword s12, s[12:13], 0x0
.LBB89_2:
	s_andn2_b64 vcc, exec, s[6:7]
	s_cbranch_vccnz .LBB89_4
; %bb.3:
	s_load_dword s16, s[16:17], 0x0
.LBB89_4:
	s_waitcnt lgkmcnt(0)
	v_cmp_neq_f32_e64 s[6:7], s12, 0
	v_cmp_neq_f32_e64 s[8:9], s16, 1.0
	s_or_b64 s[6:7], s[6:7], s[8:9]
	s_andn2_b64 vcc, exec, s[6:7]
	s_cbranch_vccnz .LBB89_10
; %bb.5:
	s_load_dwordx2 s[6:7], s[0:1], 0x20
	v_lshrrev_b32_e32 v1, 6, v0
	v_lshl_or_b32 v2, s2, 1, v1
	v_mov_b32_e32 v3, 0
	s_mov_b64 s[2:3], 0
	s_waitcnt lgkmcnt(0)
	s_cmp_lg_u64 s[6:7], 0
	s_cbranch_scc0 .LBB89_11
; %bb.6:
	v_cmp_gt_i64_e32 vcc, s[14:15], v[2:3]
                                        ; implicit-def: $vgpr12_vgpr13
                                        ; implicit-def: $vgpr16_vgpr17
	s_and_saveexec_b64 s[8:9], vcc
	s_xor_b64 s[8:9], exec, s[8:9]
	s_cbranch_execz .LBB89_8
; %bb.7:
	v_lshl_add_u64 v[4:5], v[2:3], 3, s[6:7]
	global_load_dwordx2 v[4:5], v[4:5], off
	s_mov_b32 s5, 0
	s_mov_b64 s[2:3], exec
	v_mov_b64_e32 v[16:17], s[4:5]
	s_waitcnt vmcnt(0)
	v_subrev_co_u32_e32 v12, vcc, s4, v4
	s_nop 1
	v_subbrev_co_u32_e32 v13, vcc, 0, v5, vcc
.LBB89_8:
	s_or_b64 exec, exec, s[8:9]
.LBB89_9:
	s_and_saveexec_b64 s[4:5], s[2:3]
	s_cbranch_execnz .LBB89_15
.LBB89_10:
	s_endpgm
.LBB89_11:
                                        ; implicit-def: $vgpr12_vgpr13
                                        ; implicit-def: $vgpr16_vgpr17
	s_cbranch_execz .LBB89_9
; %bb.12:
	s_load_dwordx2 s[6:7], s[0:1], 0x0
	s_waitcnt lgkmcnt(0)
	v_cmp_gt_i64_e32 vcc, s[6:7], v[2:3]
	s_and_saveexec_b64 s[6:7], vcc
; %bb.13:
	s_mov_b32 s5, 0
	s_or_b64 s[2:3], s[2:3], exec
; %bb.14:
	s_or_b64 exec, exec, s[6:7]
	v_mov_b64_e32 v[16:17], s[4:5]
	v_mov_b64_e32 v[12:13], v[2:3]
	s_and_saveexec_b64 s[4:5], s[2:3]
	s_cbranch_execz .LBB89_10
.LBB89_15:
	s_load_dwordx8 s[4:11], s[0:1], 0x28
	v_lshlrev_b64 v[2:3], 3, v[12:13]
	s_load_dword s2, s[0:1], 0x8
	v_and_b32_e32 v14, 63, v0
	v_mov_b32_e32 v15, 0
	s_waitcnt lgkmcnt(0)
	v_lshl_add_u64 v[4:5], s[4:5], 0, v[2:3]
	s_cmp_eq_u64 s[6:7], 0
	v_lshl_add_u64 v[2:3], s[6:7], 0, v[2:3]
	global_load_dwordx2 v[8:9], v[4:5], off
	v_lshl_add_u64 v[4:5], v[4:5], 0, 8
	s_cselect_b64 vcc, -1, 0
	v_cndmask_b32_e32 v3, v3, v5, vcc
	v_cndmask_b32_e32 v2, v2, v4, vcc
	global_load_dwordx2 v[2:3], v[2:3], off
	s_load_dwordx2 s[4:5], s[0:1], 0x48
	s_cmp_eq_u32 s2, 1
	s_waitcnt vmcnt(1)
	v_sub_co_u32_e32 v0, vcc, v8, v16
	s_nop 1
	v_subb_co_u32_e32 v1, vcc, v9, v17, vcc
	v_lshl_add_u64 v[18:19], v[0:1], 0, v[14:15]
	s_waitcnt vmcnt(0)
	v_sub_co_u32_e32 v20, vcc, v2, v16
	v_lshl_add_u64 v[22:23], v[18:19], 4, s[10:11]
	s_nop 0
	v_subb_co_u32_e32 v21, vcc, v3, v17, vcc
	v_cmp_lt_i64_e64 s[2:3], v[18:19], v[20:21]
	s_cbranch_scc1 .LBB89_27
; %bb.16:
	v_mov_b32_e32 v24, v15
	v_mov_b32_e32 v27, v15
	v_mov_b32_e32 v26, v15
	s_and_saveexec_b64 s[6:7], s[2:3]
	s_cbranch_execz .LBB89_26
; %bb.17:
	v_or_b32_e32 v0, 64, v14
	v_sub_co_u32_e32 v0, vcc, v0, v16
	v_not_b32_e32 v3, v9
	s_nop 0
	v_subb_co_u32_e32 v1, vcc, 0, v17, vcc
	v_lshl_add_u64 v[0:1], v[0:1], 0, v[8:9]
	v_cmp_gt_i64_e32 vcc, v[0:1], v[20:21]
	v_not_b32_e32 v2, v8
	v_mov_b32_e32 v27, 0
	v_cndmask_b32_e32 v1, v21, v1, vcc
	v_cndmask_b32_e32 v0, v20, v0, vcc
	v_sub_co_u32_e32 v4, vcc, v16, v14
	s_mov_b64 s[10:11], 0xc0
	s_nop 0
	v_subbrev_co_u32_e32 v5, vcc, 0, v17, vcc
	v_lshl_add_u64 v[2:3], v[4:5], 0, v[2:3]
	v_lshl_add_u64 v[0:1], v[2:3], 0, v[0:1]
	v_and_b32_e32 v26, 0xc0, v0
	v_cmp_ne_u64_e32 vcc, s[10:11], v[26:27]
	v_mov_b32_e32 v26, v27
	v_mov_b32_e32 v24, v27
	v_mov_b32_e32 v25, v27
	v_mov_b64_e32 v[10:11], v[18:19]
	v_mov_b64_e32 v[28:29], v[22:23]
	s_and_saveexec_b64 s[10:11], vcc
	s_cbranch_execz .LBB89_21
; %bb.18:
	v_lshrrev_b32_e32 v2, 6, v0
	v_add_u32_e32 v2, 1, v2
	v_and_b32_e32 v4, 3, v2
	v_sub_co_u32_e32 v4, vcc, 0, v4
	v_mov_b32_e32 v25, 0
	s_nop 0
	v_subb_co_u32_e64 v5, s[18:19], 0, 0, vcc
	v_lshl_add_u64 v[2:3], v[18:19], 3, s[8:9]
	s_mov_b64 s[14:15], 0
	s_mov_b64 s[18:19], 0x400
	;; [unrolled: 1-line block ×3, first 2 shown]
	v_mov_b64_e32 v[28:29], v[22:23]
	v_mov_b64_e32 v[10:11], v[18:19]
	v_mov_b32_e32 v24, v25
	v_mov_b32_e32 v27, v25
	;; [unrolled: 1-line block ×3, first 2 shown]
.LBB89_19:                              ; =>This Inner Loop Header: Depth=1
	global_load_dwordx2 v[6:7], v[2:3], off
	global_load_dwordx4 v[30:33], v[28:29], off
	v_lshl_add_u64 v[4:5], v[4:5], 0, 1
	v_lshl_add_u64 v[28:29], v[28:29], 0, s[18:19]
	;; [unrolled: 1-line block ×4, first 2 shown]
	s_waitcnt vmcnt(1)
	v_sub_co_u32_e32 v6, vcc, v6, v16
	s_nop 1
	v_subb_co_u32_e32 v7, vcc, v7, v17, vcc
	s_waitcnt lgkmcnt(0)
	v_lshl_add_u64 v[6:7], v[6:7], 2, s[4:5]
	global_load_dword v15, v[6:7], off
	s_waitcnt vmcnt(1)
	v_cvt_f32_i32_sdwa v34, sext(v30) dst_sel:DWORD dst_unused:UNUSED_PAD src0_sel:BYTE_0
	v_cvt_f32_i32_sdwa v37, sext(v31) dst_sel:DWORD dst_unused:UNUSED_PAD src0_sel:BYTE_0
	v_cvt_f32_i32_sdwa v38, sext(v31) dst_sel:DWORD dst_unused:UNUSED_PAD src0_sel:BYTE_1
	v_cvt_f32_i32_sdwa v39, sext(v31) dst_sel:DWORD dst_unused:UNUSED_PAD src0_sel:BYTE_2
	v_cvt_f32_i32_sdwa v7, sext(v31) dst_sel:DWORD dst_unused:UNUSED_PAD src0_sel:BYTE_3
	v_cvt_f32_i32_sdwa v40, sext(v32) dst_sel:DWORD dst_unused:UNUSED_PAD src0_sel:BYTE_0
	v_cvt_f32_i32_sdwa v43, sext(v33) dst_sel:DWORD dst_unused:UNUSED_PAD src0_sel:BYTE_0
	v_cvt_f32_i32_sdwa v44, sext(v33) dst_sel:DWORD dst_unused:UNUSED_PAD src0_sel:BYTE_1
	v_cvt_f32_i32_sdwa v45, sext(v33) dst_sel:DWORD dst_unused:UNUSED_PAD src0_sel:BYTE_2
	v_cvt_f32_i32_sdwa v31, sext(v33) dst_sel:DWORD dst_unused:UNUSED_PAD src0_sel:BYTE_3
	v_cvt_f32_i32_sdwa v35, sext(v30) dst_sel:DWORD dst_unused:UNUSED_PAD src0_sel:BYTE_1
	v_cvt_f32_i32_sdwa v41, sext(v32) dst_sel:DWORD dst_unused:UNUSED_PAD src0_sel:BYTE_1
	v_cvt_f32_i32_sdwa v36, sext(v30) dst_sel:DWORD dst_unused:UNUSED_PAD src0_sel:BYTE_2
	v_cvt_f32_i32_sdwa v42, sext(v32) dst_sel:DWORD dst_unused:UNUSED_PAD src0_sel:BYTE_2
	v_cvt_f32_i32_sdwa v6, sext(v30) dst_sel:DWORD dst_unused:UNUSED_PAD src0_sel:BYTE_3
	v_cvt_f32_i32_sdwa v30, sext(v32) dst_sel:DWORD dst_unused:UNUSED_PAD src0_sel:BYTE_3
	v_cmp_eq_u64_e32 vcc, 0, v[4:5]
	s_or_b64 s[14:15], vcc, s[14:15]
	s_waitcnt vmcnt(0)
	v_cvt_f32_i32_sdwa v33, sext(v15) dst_sel:DWORD dst_unused:UNUSED_PAD src0_sel:BYTE_0
	v_cvt_f32_i32_sdwa v46, sext(v15) dst_sel:DWORD dst_unused:UNUSED_PAD src0_sel:BYTE_1
	v_cvt_f32_i32_sdwa v47, sext(v15) dst_sel:DWORD dst_unused:UNUSED_PAD src0_sel:BYTE_2
	v_cvt_f32_i32_sdwa v32, sext(v15) dst_sel:DWORD dst_unused:UNUSED_PAD src0_sel:BYTE_3
	v_fmac_f32_e32 v26, v34, v33
	v_fmac_f32_e32 v27, v37, v33
	;; [unrolled: 1-line block ×12, first 2 shown]
	v_pk_fma_f32 v[26:27], v[6:7], v[32:33], v[26:27] op_sel_hi:[1,0,1]
	v_pk_fma_f32 v[24:25], v[30:31], v[32:33], v[24:25] op_sel_hi:[1,0,1]
	s_andn2_b64 exec, exec, s[14:15]
	s_cbranch_execnz .LBB89_19
; %bb.20:
	s_or_b64 exec, exec, s[14:15]
.LBB89_21:
	s_or_b64 exec, exec, s[10:11]
	s_mov_b64 s[10:11], 0xbf
	v_cmp_lt_u64_e32 vcc, s[10:11], v[0:1]
	s_and_saveexec_b64 s[10:11], vcc
	s_cbranch_execz .LBB89_25
; %bb.22:
	v_lshl_add_u64 v[0:1], v[10:11], 3, s[8:9]
	s_mov_b64 s[14:15], 0x400
	v_lshl_add_u64 v[30:31], v[0:1], 0, s[14:15]
	s_mov_b64 s[14:15], 0
	s_mov_b64 s[18:19], 0x100
	;; [unrolled: 1-line block ×4, first 2 shown]
.LBB89_23:                              ; =>This Inner Loop Header: Depth=1
	global_load_dwordx4 v[0:3], v[28:29], off
	global_load_dwordx4 v[4:7], v[28:29], off offset:3072
	global_load_dwordx4 v[32:35], v[28:29], off offset:1024
	;; [unrolled: 1-line block ×3, first 2 shown]
	global_load_dwordx2 v[40:41], v[30:31], off offset:-1024
	global_load_dwordx2 v[42:43], v[30:31], off offset:-512
	global_load_dwordx2 v[44:45], v[30:31], off
	global_load_dwordx2 v[46:47], v[30:31], off offset:512
	v_lshl_add_u64 v[10:11], v[10:11], 0, s[18:19]
	v_cmp_ge_i64_e32 vcc, v[10:11], v[20:21]
	s_or_b64 s[14:15], vcc, s[14:15]
	v_lshl_add_u64 v[30:31], v[30:31], 0, s[20:21]
	v_lshl_add_u64 v[28:29], v[28:29], 0, s[22:23]
	s_waitcnt vmcnt(7)
	v_cvt_f32_i32_sdwa v15, sext(v0) dst_sel:DWORD dst_unused:UNUSED_PAD src0_sel:BYTE_0
	v_cvt_f32_i32_sdwa v83, sext(v1) dst_sel:DWORD dst_unused:UNUSED_PAD src0_sel:BYTE_0
	;; [unrolled: 1-line block ×4, first 2 shown]
	s_waitcnt vmcnt(3)
	v_sub_co_u32_e32 v40, vcc, v40, v16
	v_cvt_f32_i32_sdwa v79, sext(v0) dst_sel:DWORD dst_unused:UNUSED_PAD src0_sel:BYTE_1
	s_nop 0
	v_subb_co_u32_e32 v41, vcc, v41, v17, vcc
	s_waitcnt vmcnt(2)
	v_sub_co_u32_e32 v42, vcc, v42, v16
	s_waitcnt lgkmcnt(0)
	v_lshl_add_u64 v[40:41], v[40:41], 2, s[4:5]
	v_subb_co_u32_e32 v43, vcc, v43, v17, vcc
	s_waitcnt vmcnt(1)
	v_sub_co_u32_e32 v44, vcc, v44, v16
	v_lshl_add_u64 v[42:43], v[42:43], 2, s[4:5]
	s_nop 0
	v_subb_co_u32_e32 v45, vcc, v45, v17, vcc
	s_waitcnt vmcnt(0)
	v_sub_co_u32_e32 v46, vcc, v46, v16
	v_lshl_add_u64 v[44:45], v[44:45], 2, s[4:5]
	s_nop 0
	v_subb_co_u32_e32 v47, vcc, v47, v17, vcc
	v_lshl_add_u64 v[46:47], v[46:47], 2, s[4:5]
	global_load_dword v78, v[40:41], off
	global_load_dword v84, v[42:43], off
	;; [unrolled: 1-line block ×4, first 2 shown]
	v_cvt_f32_i32_sdwa v85, sext(v1) dst_sel:DWORD dst_unused:UNUSED_PAD src0_sel:BYTE_1
	v_cvt_f32_i32_sdwa v89, sext(v2) dst_sel:DWORD dst_unused:UNUSED_PAD src0_sel:BYTE_1
	;; [unrolled: 1-line block ×3, first 2 shown]
	v_cvt_f32_i32_sdwa v81, sext(v0) dst_sel:DWORD dst_unused:UNUSED_PAD src0_sel:BYTE_2
	v_cvt_f32_i32_sdwa v87, sext(v1) dst_sel:DWORD dst_unused:UNUSED_PAD src0_sel:BYTE_2
	v_cvt_f32_i32_sdwa v91, sext(v2) dst_sel:DWORD dst_unused:UNUSED_PAD src0_sel:BYTE_2
	v_cvt_f32_i32_sdwa v77, sext(v3) dst_sel:DWORD dst_unused:UNUSED_PAD src0_sel:BYTE_3
	v_cvt_f32_i32_sdwa v3, sext(v3) dst_sel:DWORD dst_unused:UNUSED_PAD src0_sel:BYTE_2
	v_cvt_f32_i32_sdwa v0, sext(v0) dst_sel:DWORD dst_unused:UNUSED_PAD src0_sel:BYTE_3
	v_cvt_f32_i32_sdwa v1, sext(v1) dst_sel:DWORD dst_unused:UNUSED_PAD src0_sel:BYTE_3
	v_cvt_f32_i32_sdwa v76, sext(v2) dst_sel:DWORD dst_unused:UNUSED_PAD src0_sel:BYTE_3
	v_cvt_f32_i32_sdwa v51, sext(v33) dst_sel:DWORD dst_unused:UNUSED_PAD src0_sel:BYTE_0
	v_cvt_f32_i32_sdwa v50, sext(v32) dst_sel:DWORD dst_unused:UNUSED_PAD src0_sel:BYTE_0
	v_cvt_f32_i32_sdwa v43, sext(v35) dst_sel:DWORD dst_unused:UNUSED_PAD src0_sel:BYTE_0
	v_cvt_f32_i32_sdwa v42, sext(v34) dst_sel:DWORD dst_unused:UNUSED_PAD src0_sel:BYTE_0
	v_cvt_f32_i32_sdwa v53, sext(v33) dst_sel:DWORD dst_unused:UNUSED_PAD src0_sel:BYTE_1
	v_cvt_f32_i32_sdwa v52, sext(v32) dst_sel:DWORD dst_unused:UNUSED_PAD src0_sel:BYTE_1
	v_cvt_f32_i32_sdwa v45, sext(v35) dst_sel:DWORD dst_unused:UNUSED_PAD src0_sel:BYTE_1
	v_cvt_f32_i32_sdwa v44, sext(v34) dst_sel:DWORD dst_unused:UNUSED_PAD src0_sel:BYTE_1
	v_cvt_f32_i32_sdwa v55, sext(v33) dst_sel:DWORD dst_unused:UNUSED_PAD src0_sel:BYTE_2
	v_cvt_f32_i32_sdwa v54, sext(v32) dst_sel:DWORD dst_unused:UNUSED_PAD src0_sel:BYTE_2
	v_cvt_f32_i32_sdwa v47, sext(v35) dst_sel:DWORD dst_unused:UNUSED_PAD src0_sel:BYTE_2
	v_cvt_f32_i32_sdwa v46, sext(v34) dst_sel:DWORD dst_unused:UNUSED_PAD src0_sel:BYTE_2
	v_cvt_f32_i32_sdwa v33, sext(v33) dst_sel:DWORD dst_unused:UNUSED_PAD src0_sel:BYTE_3
	v_cvt_f32_i32_sdwa v32, sext(v32) dst_sel:DWORD dst_unused:UNUSED_PAD src0_sel:BYTE_3
	v_cvt_f32_i32_sdwa v35, sext(v35) dst_sel:DWORD dst_unused:UNUSED_PAD src0_sel:BYTE_3
	v_cvt_f32_i32_sdwa v34, sext(v34) dst_sel:DWORD dst_unused:UNUSED_PAD src0_sel:BYTE_3
	v_cvt_f32_i32_sdwa v57, sext(v37) dst_sel:DWORD dst_unused:UNUSED_PAD src0_sel:BYTE_0
	v_cvt_f32_i32_sdwa v56, sext(v36) dst_sel:DWORD dst_unused:UNUSED_PAD src0_sel:BYTE_0
	v_cvt_f32_i32_sdwa v67, sext(v39) dst_sel:DWORD dst_unused:UNUSED_PAD src0_sel:BYTE_0
	v_cvt_f32_i32_sdwa v66, sext(v38) dst_sel:DWORD dst_unused:UNUSED_PAD src0_sel:BYTE_0
	v_cvt_f32_i32_sdwa v59, sext(v37) dst_sel:DWORD dst_unused:UNUSED_PAD src0_sel:BYTE_1
	v_cvt_f32_i32_sdwa v58, sext(v36) dst_sel:DWORD dst_unused:UNUSED_PAD src0_sel:BYTE_1
	v_cvt_f32_i32_sdwa v69, sext(v39) dst_sel:DWORD dst_unused:UNUSED_PAD src0_sel:BYTE_1
	v_cvt_f32_i32_sdwa v68, sext(v38) dst_sel:DWORD dst_unused:UNUSED_PAD src0_sel:BYTE_1
	v_cvt_f32_i32_sdwa v61, sext(v37) dst_sel:DWORD dst_unused:UNUSED_PAD src0_sel:BYTE_2
	v_cvt_f32_i32_sdwa v60, sext(v36) dst_sel:DWORD dst_unused:UNUSED_PAD src0_sel:BYTE_2
	v_cvt_f32_i32_sdwa v71, sext(v39) dst_sel:DWORD dst_unused:UNUSED_PAD src0_sel:BYTE_2
	v_cvt_f32_i32_sdwa v70, sext(v38) dst_sel:DWORD dst_unused:UNUSED_PAD src0_sel:BYTE_2
	v_cvt_f32_i32_sdwa v37, sext(v37) dst_sel:DWORD dst_unused:UNUSED_PAD src0_sel:BYTE_3
	;; [unrolled: 16-line block ×3, first 2 shown]
	v_cvt_f32_i32_sdwa v4, sext(v4) dst_sel:DWORD dst_unused:UNUSED_PAD src0_sel:BYTE_3
	v_cvt_f32_i32_sdwa v7, sext(v7) dst_sel:DWORD dst_unused:UNUSED_PAD src0_sel:BYTE_3
	;; [unrolled: 1-line block ×3, first 2 shown]
	s_waitcnt vmcnt(3)
	v_cvt_f32_i32_sdwa v90, sext(v78) dst_sel:DWORD dst_unused:UNUSED_PAD src0_sel:BYTE_0
	v_cvt_f32_i32_sdwa v95, sext(v78) dst_sel:DWORD dst_unused:UNUSED_PAD src0_sel:BYTE_1
	v_cvt_f32_i32_sdwa v97, sext(v78) dst_sel:DWORD dst_unused:UNUSED_PAD src0_sel:BYTE_2
	v_cvt_f32_i32_sdwa v2, sext(v78) dst_sel:DWORD dst_unused:UNUSED_PAD src0_sel:BYTE_3
	s_waitcnt vmcnt(2)
	v_cvt_f32_i32_sdwa v78, sext(v84) dst_sel:DWORD dst_unused:UNUSED_PAD src0_sel:BYTE_0
	v_fmac_f32_e32 v26, v15, v90
	v_fmac_f32_e32 v27, v83, v90
	;; [unrolled: 1-line block ×4, first 2 shown]
	v_cvt_f32_i32_sdwa v80, sext(v84) dst_sel:DWORD dst_unused:UNUSED_PAD src0_sel:BYTE_1
	v_fmac_f32_e32 v26, v79, v95
	v_fmac_f32_e32 v27, v85, v95
	;; [unrolled: 1-line block ×4, first 2 shown]
	v_cvt_f32_i32_sdwa v82, sext(v84) dst_sel:DWORD dst_unused:UNUSED_PAD src0_sel:BYTE_2
	v_fmac_f32_e32 v26, v81, v97
	v_fmac_f32_e32 v27, v87, v97
	;; [unrolled: 1-line block ×4, first 2 shown]
	v_cvt_f32_i32_sdwa v84, sext(v84) dst_sel:DWORD dst_unused:UNUSED_PAD src0_sel:BYTE_3
	v_pk_fma_f32 v[0:1], v[0:1], v[2:3], v[26:27] op_sel_hi:[1,0,1]
	v_pk_fma_f32 v[2:3], v[76:77], v[2:3], v[24:25] op_sel_hi:[1,0,1]
	s_waitcnt vmcnt(1)
	v_cvt_f32_i32_sdwa v86, sext(v92) dst_sel:DWORD dst_unused:UNUSED_PAD src0_sel:BYTE_0
	v_pk_fma_f32 v[0:1], v[50:51], v[78:79], v[0:1] op_sel_hi:[1,0,1]
	v_pk_fma_f32 v[2:3], v[42:43], v[78:79], v[2:3] op_sel_hi:[1,0,1]
	v_cvt_f32_i32_sdwa v88, sext(v92) dst_sel:DWORD dst_unused:UNUSED_PAD src0_sel:BYTE_1
	v_pk_fma_f32 v[0:1], v[52:53], v[80:81], v[0:1] op_sel_hi:[1,0,1]
	v_pk_fma_f32 v[2:3], v[44:45], v[80:81], v[2:3] op_sel_hi:[1,0,1]
	v_cvt_f32_i32_sdwa v90, sext(v92) dst_sel:DWORD dst_unused:UNUSED_PAD src0_sel:BYTE_2
	v_pk_fma_f32 v[0:1], v[54:55], v[82:83], v[0:1] op_sel_hi:[1,0,1]
	v_pk_fma_f32 v[2:3], v[46:47], v[82:83], v[2:3] op_sel_hi:[1,0,1]
	v_cvt_f32_i32_sdwa v92, sext(v92) dst_sel:DWORD dst_unused:UNUSED_PAD src0_sel:BYTE_3
	v_pk_fma_f32 v[0:1], v[32:33], v[84:85], v[0:1] op_sel_hi:[1,0,1]
	v_pk_fma_f32 v[2:3], v[34:35], v[84:85], v[2:3] op_sel_hi:[1,0,1]
	s_waitcnt vmcnt(0)
	v_cvt_f32_i32_sdwa v94, sext(v93) dst_sel:DWORD dst_unused:UNUSED_PAD src0_sel:BYTE_0
	v_pk_fma_f32 v[0:1], v[56:57], v[86:87], v[0:1] op_sel_hi:[1,0,1]
	v_pk_fma_f32 v[2:3], v[66:67], v[86:87], v[2:3] op_sel_hi:[1,0,1]
	v_cvt_f32_i32_sdwa v96, sext(v93) dst_sel:DWORD dst_unused:UNUSED_PAD src0_sel:BYTE_1
	v_pk_fma_f32 v[0:1], v[58:59], v[88:89], v[0:1] op_sel_hi:[1,0,1]
	v_pk_fma_f32 v[2:3], v[68:69], v[88:89], v[2:3] op_sel_hi:[1,0,1]
	v_cvt_f32_i32_sdwa v98, sext(v93) dst_sel:DWORD dst_unused:UNUSED_PAD src0_sel:BYTE_2
	v_pk_fma_f32 v[0:1], v[60:61], v[90:91], v[0:1] op_sel_hi:[1,0,1]
	v_pk_fma_f32 v[2:3], v[70:71], v[90:91], v[2:3] op_sel_hi:[1,0,1]
	v_cvt_f32_i32_sdwa v100, sext(v93) dst_sel:DWORD dst_unused:UNUSED_PAD src0_sel:BYTE_3
	v_pk_fma_f32 v[0:1], v[36:37], v[92:93], v[0:1] op_sel_hi:[1,0,1]
	v_pk_fma_f32 v[2:3], v[38:39], v[92:93], v[2:3] op_sel_hi:[1,0,1]
	;; [unrolled: 1-line block ×10, first 2 shown]
	s_andn2_b64 exec, exec, s[14:15]
	s_cbranch_execnz .LBB89_23
; %bb.24:
	s_or_b64 exec, exec, s[14:15]
.LBB89_25:
	s_or_b64 exec, exec, s[10:11]
	v_mov_b32_e32 v15, v25
.LBB89_26:
	s_or_b64 exec, exec, s[6:7]
	v_mov_b32_e32 v25, v15
	s_cbranch_execz .LBB89_28
	s_branch .LBB89_39
.LBB89_27:
                                        ; implicit-def: $vgpr25
                                        ; implicit-def: $vgpr27
.LBB89_28:
	v_mov_b32_e32 v25, 0
	v_mov_b32_e32 v24, 0
	v_mov_b32_e32 v27, 0
	v_mov_b32_e32 v26, 0
	s_and_saveexec_b64 s[6:7], s[2:3]
	s_cbranch_execz .LBB89_38
; %bb.29:
	v_or_b32_e32 v0, 64, v14
	v_sub_co_u32_e32 v0, vcc, v0, v16
	v_not_b32_e32 v3, v9
	s_nop 0
	v_subb_co_u32_e32 v1, vcc, 0, v17, vcc
	v_lshl_add_u64 v[0:1], v[0:1], 0, v[8:9]
	v_cmp_gt_i64_e32 vcc, v[0:1], v[20:21]
	v_not_b32_e32 v2, v8
	v_mov_b32_e32 v24, 0
	v_cndmask_b32_e32 v1, v21, v1, vcc
	v_cndmask_b32_e32 v0, v20, v0, vcc
	v_sub_co_u32_e32 v4, vcc, v16, v14
	s_mov_b64 s[2:3], 0xc0
	s_nop 0
	v_subbrev_co_u32_e32 v5, vcc, 0, v17, vcc
	v_lshl_add_u64 v[2:3], v[4:5], 0, v[2:3]
	v_lshl_add_u64 v[0:1], v[2:3], 0, v[0:1]
	v_and_b32_e32 v2, 0xc0, v0
	v_mov_b32_e32 v3, v24
	v_mov_b32_e32 v25, v24
	v_cmp_ne_u64_e32 vcc, s[2:3], v[2:3]
	v_mov_b64_e32 v[26:27], v[24:25]
	s_and_saveexec_b64 s[2:3], vcc
	s_cbranch_execz .LBB89_33
; %bb.30:
	v_lshrrev_b32_e32 v2, 6, v0
	v_add_u32_e32 v2, 1, v2
	v_and_b32_e32 v4, 3, v2
	v_sub_co_u32_e32 v4, vcc, 0, v4
	v_lshl_add_u64 v[2:3], v[18:19], 3, s[8:9]
	s_nop 0
	v_subb_co_u32_e64 v5, s[14:15], 0, 0, vcc
	s_mov_b64 s[10:11], 0
	s_mov_b64 s[14:15], 0x400
	;; [unrolled: 1-line block ×3, first 2 shown]
	v_mov_b32_e32 v25, v24
	v_mov_b32_e32 v26, v24
	;; [unrolled: 1-line block ×3, first 2 shown]
.LBB89_31:                              ; =>This Inner Loop Header: Depth=1
	global_load_dwordx2 v[10:11], v[2:3], off
	global_load_dwordx4 v[6:9], v[22:23], off
	v_lshl_add_u64 v[4:5], v[4:5], 0, 1
	v_lshl_add_u64 v[22:23], v[22:23], 0, s[14:15]
	;; [unrolled: 1-line block ×4, first 2 shown]
	s_waitcnt vmcnt(1)
	v_sub_co_u32_e32 v10, vcc, v10, v16
	s_nop 1
	v_subb_co_u32_e32 v11, vcc, v11, v17, vcc
	s_waitcnt lgkmcnt(0)
	v_lshl_add_u64 v[10:11], v[10:11], 2, s[4:5]
	global_load_dword v15, v[10:11], off
	s_waitcnt vmcnt(1)
	v_cvt_f32_i32_sdwa v11, sext(v6) dst_sel:DWORD dst_unused:UNUSED_PAD src0_sel:BYTE_1
	v_cvt_f32_i32_sdwa v10, sext(v6) dst_sel:DWORD dst_unused:UNUSED_PAD src0_sel:BYTE_0
	v_cvt_f32_i32_sdwa v29, sext(v7) dst_sel:DWORD dst_unused:UNUSED_PAD src0_sel:BYTE_1
	v_cvt_f32_i32_sdwa v28, sext(v7) dst_sel:DWORD dst_unused:UNUSED_PAD src0_sel:BYTE_0
	;; [unrolled: 2-line block ×3, first 2 shown]
	v_cvt_f32_i32_sdwa v33, sext(v6) dst_sel:DWORD dst_unused:UNUSED_PAD src0_sel:BYTE_3
	v_cvt_f32_i32_sdwa v32, sext(v6) dst_sel:DWORD dst_unused:UNUSED_PAD src0_sel:BYTE_2
	v_cvt_f32_i32_sdwa v35, sext(v7) dst_sel:DWORD dst_unused:UNUSED_PAD src0_sel:BYTE_3
	v_cvt_f32_i32_sdwa v34, sext(v7) dst_sel:DWORD dst_unused:UNUSED_PAD src0_sel:BYTE_2
	;; [unrolled: 2-line block ×3, first 2 shown]
	v_cvt_f32_i32_sdwa v37, sext(v9) dst_sel:DWORD dst_unused:UNUSED_PAD src0_sel:BYTE_1
	v_cvt_f32_i32_sdwa v36, sext(v9) dst_sel:DWORD dst_unused:UNUSED_PAD src0_sel:BYTE_0
	v_cvt_f32_i32_sdwa v39, sext(v9) dst_sel:DWORD dst_unused:UNUSED_PAD src0_sel:BYTE_3
	v_cvt_f32_i32_sdwa v38, sext(v9) dst_sel:DWORD dst_unused:UNUSED_PAD src0_sel:BYTE_2
	v_cmp_eq_u64_e32 vcc, 0, v[4:5]
	s_or_b64 s[10:11], vcc, s[10:11]
	s_waitcnt vmcnt(0)
	v_cvt_f32_i32_sdwa v8, sext(v15) dst_sel:DWORD dst_unused:UNUSED_PAD src0_sel:BYTE_0
	v_cvt_f32_i32_sdwa v40, sext(v15) dst_sel:DWORD dst_unused:UNUSED_PAD src0_sel:BYTE_1
	v_cvt_f32_i32_sdwa v42, sext(v15) dst_sel:DWORD dst_unused:UNUSED_PAD src0_sel:BYTE_2
	v_cvt_f32_i32_sdwa v44, sext(v15) dst_sel:DWORD dst_unused:UNUSED_PAD src0_sel:BYTE_3
	v_pk_fma_f32 v[10:11], v[10:11], v[8:9], v[26:27] op_sel_hi:[1,0,1]
	v_pk_fma_f32 v[8:9], v[32:33], v[8:9], v[24:25] op_sel_hi:[1,0,1]
	;; [unrolled: 1-line block ×8, first 2 shown]
	s_andn2_b64 exec, exec, s[10:11]
	s_cbranch_execnz .LBB89_31
; %bb.32:
	s_or_b64 exec, exec, s[10:11]
.LBB89_33:
	s_or_b64 exec, exec, s[2:3]
	s_mov_b64 s[2:3], 0xbf
	v_cmp_lt_u64_e32 vcc, s[2:3], v[0:1]
	s_and_saveexec_b64 s[2:3], vcc
	s_cbranch_execz .LBB89_37
; %bb.34:
	v_lshl_add_u64 v[0:1], v[18:19], 3, s[8:9]
	s_mov_b64 s[8:9], 0x400
	v_lshl_add_u64 v[28:29], v[0:1], 0, s[8:9]
	s_mov_b64 s[8:9], 0
	s_mov_b64 s[10:11], 0x1000
	;; [unrolled: 1-line block ×4, first 2 shown]
.LBB89_35:                              ; =>This Inner Loop Header: Depth=1
	global_load_dwordx4 v[0:3], v[22:23], off
	global_load_dwordx4 v[4:7], v[22:23], off offset:1024
	global_load_dwordx4 v[8:11], v[22:23], off offset:2048
	global_load_dwordx2 v[34:35], v[28:29], off offset:-1024
	global_load_dwordx2 v[36:37], v[28:29], off offset:-512
	global_load_dwordx2 v[38:39], v[28:29], off
	global_load_dwordx2 v[40:41], v[28:29], off offset:512
	global_load_dwordx4 v[30:33], v[22:23], off offset:3072
	v_lshl_add_u64 v[18:19], v[18:19], 0, s[14:15]
	v_cmp_ge_i64_e32 vcc, v[18:19], v[20:21]
	s_or_b64 s[8:9], vcc, s[8:9]
	v_lshl_add_u64 v[22:23], v[22:23], 0, s[10:11]
	v_lshl_add_u64 v[28:29], v[28:29], 0, s[18:19]
	s_waitcnt vmcnt(7)
	v_cvt_f32_i32_sdwa v43, sext(v0) dst_sel:DWORD dst_unused:UNUSED_PAD src0_sel:BYTE_1
	v_cvt_f32_i32_sdwa v42, sext(v0) dst_sel:DWORD dst_unused:UNUSED_PAD src0_sel:BYTE_0
	v_cvt_f32_i32_sdwa v45, sext(v1) dst_sel:DWORD dst_unused:UNUSED_PAD src0_sel:BYTE_1
	s_waitcnt vmcnt(4)
	v_sub_co_u32_e32 v34, vcc, v34, v16
	v_cvt_f32_i32_sdwa v44, sext(v1) dst_sel:DWORD dst_unused:UNUSED_PAD src0_sel:BYTE_0
	s_nop 0
	v_subb_co_u32_e32 v35, vcc, v35, v17, vcc
	s_waitcnt vmcnt(3)
	v_sub_co_u32_e32 v36, vcc, v36, v16
	s_waitcnt lgkmcnt(0)
	v_lshl_add_u64 v[34:35], v[34:35], 2, s[4:5]
	v_subb_co_u32_e32 v37, vcc, v37, v17, vcc
	s_waitcnt vmcnt(2)
	v_sub_co_u32_e32 v38, vcc, v38, v16
	v_lshl_add_u64 v[36:37], v[36:37], 2, s[4:5]
	s_nop 0
	v_subb_co_u32_e32 v39, vcc, v39, v17, vcc
	s_waitcnt vmcnt(1)
	v_sub_co_u32_e32 v40, vcc, v40, v16
	v_lshl_add_u64 v[38:39], v[38:39], 2, s[4:5]
	s_nop 0
	v_subb_co_u32_e32 v41, vcc, v41, v17, vcc
	v_lshl_add_u64 v[40:41], v[40:41], 2, s[4:5]
	global_load_dword v15, v[34:35], off
	global_load_dword v85, v[36:37], off
	;; [unrolled: 1-line block ×4, first 2 shown]
	v_cvt_f32_i32_sdwa v47, sext(v2) dst_sel:DWORD dst_unused:UNUSED_PAD src0_sel:BYTE_1
	v_cvt_f32_i32_sdwa v46, sext(v2) dst_sel:DWORD dst_unused:UNUSED_PAD src0_sel:BYTE_0
	v_cvt_f32_i32_sdwa v49, sext(v0) dst_sel:DWORD dst_unused:UNUSED_PAD src0_sel:BYTE_3
	v_cvt_f32_i32_sdwa v48, sext(v0) dst_sel:DWORD dst_unused:UNUSED_PAD src0_sel:BYTE_2
	v_cvt_f32_i32_sdwa v51, sext(v1) dst_sel:DWORD dst_unused:UNUSED_PAD src0_sel:BYTE_3
	v_cvt_f32_i32_sdwa v50, sext(v1) dst_sel:DWORD dst_unused:UNUSED_PAD src0_sel:BYTE_2
	;; [unrolled: 2-line block ×3, first 2 shown]
	v_cvt_f32_i32_sdwa v53, sext(v3) dst_sel:DWORD dst_unused:UNUSED_PAD src0_sel:BYTE_1
	v_cvt_f32_i32_sdwa v52, sext(v3) dst_sel:DWORD dst_unused:UNUSED_PAD src0_sel:BYTE_0
	v_cvt_f32_i32_sdwa v55, sext(v3) dst_sel:DWORD dst_unused:UNUSED_PAD src0_sel:BYTE_3
	v_cvt_f32_i32_sdwa v54, sext(v3) dst_sel:DWORD dst_unused:UNUSED_PAD src0_sel:BYTE_2
	v_cvt_f32_i32_sdwa v3, sext(v4) dst_sel:DWORD dst_unused:UNUSED_PAD src0_sel:BYTE_1
	v_cvt_f32_i32_sdwa v2, sext(v4) dst_sel:DWORD dst_unused:UNUSED_PAD src0_sel:BYTE_0
	v_cvt_f32_i32_sdwa v57, sext(v5) dst_sel:DWORD dst_unused:UNUSED_PAD src0_sel:BYTE_1
	v_cvt_f32_i32_sdwa v56, sext(v5) dst_sel:DWORD dst_unused:UNUSED_PAD src0_sel:BYTE_0
	;; [unrolled: 2-line block ×5, first 2 shown]
	v_cvt_f32_i32_sdwa v35, sext(v4) dst_sel:DWORD dst_unused:UNUSED_PAD src0_sel:BYTE_3
	v_cvt_f32_i32_sdwa v34, sext(v4) dst_sel:DWORD dst_unused:UNUSED_PAD src0_sel:BYTE_2
	v_cvt_f32_i32_sdwa v37, sext(v5) dst_sel:DWORD dst_unused:UNUSED_PAD src0_sel:BYTE_3
	v_cvt_f32_i32_sdwa v36, sext(v5) dst_sel:DWORD dst_unused:UNUSED_PAD src0_sel:BYTE_2
	;; [unrolled: 2-line block ×4, first 2 shown]
	v_cvt_f32_i32_sdwa v7, sext(v9) dst_sel:DWORD dst_unused:UNUSED_PAD src0_sel:BYTE_1
	v_cvt_f32_i32_sdwa v6, sext(v9) dst_sel:DWORD dst_unused:UNUSED_PAD src0_sel:BYTE_0
	v_cvt_f32_i32_sdwa v41, sext(v10) dst_sel:DWORD dst_unused:UNUSED_PAD src0_sel:BYTE_1
	v_cvt_f32_i32_sdwa v40, sext(v10) dst_sel:DWORD dst_unused:UNUSED_PAD src0_sel:BYTE_0
	;; [unrolled: 2-line block ×3, first 2 shown]
	v_cvt_f32_i32_sdwa v67, sext(v8) dst_sel:DWORD dst_unused:UNUSED_PAD src0_sel:BYTE_3
	v_cvt_f32_i32_sdwa v66, sext(v8) dst_sel:DWORD dst_unused:UNUSED_PAD src0_sel:BYTE_2
	v_cvt_f32_i32_sdwa v69, sext(v9) dst_sel:DWORD dst_unused:UNUSED_PAD src0_sel:BYTE_3
	v_cvt_f32_i32_sdwa v68, sext(v9) dst_sel:DWORD dst_unused:UNUSED_PAD src0_sel:BYTE_2
	;; [unrolled: 2-line block ×4, first 2 shown]
	s_waitcnt vmcnt(4)
	v_cvt_f32_i32_sdwa v11, sext(v30) dst_sel:DWORD dst_unused:UNUSED_PAD src0_sel:BYTE_1
	v_cvt_f32_i32_sdwa v10, sext(v30) dst_sel:DWORD dst_unused:UNUSED_PAD src0_sel:BYTE_0
	v_cvt_f32_i32_sdwa v73, sext(v31) dst_sel:DWORD dst_unused:UNUSED_PAD src0_sel:BYTE_1
	v_cvt_f32_i32_sdwa v72, sext(v31) dst_sel:DWORD dst_unused:UNUSED_PAD src0_sel:BYTE_0
	v_cvt_f32_i32_sdwa v75, sext(v30) dst_sel:DWORD dst_unused:UNUSED_PAD src0_sel:BYTE_3
	v_cvt_f32_i32_sdwa v74, sext(v30) dst_sel:DWORD dst_unused:UNUSED_PAD src0_sel:BYTE_2
	v_cvt_f32_i32_sdwa v77, sext(v31) dst_sel:DWORD dst_unused:UNUSED_PAD src0_sel:BYTE_3
	v_cvt_f32_i32_sdwa v76, sext(v31) dst_sel:DWORD dst_unused:UNUSED_PAD src0_sel:BYTE_2
	v_cvt_f32_i32_sdwa v31, sext(v32) dst_sel:DWORD dst_unused:UNUSED_PAD src0_sel:BYTE_1
	v_cvt_f32_i32_sdwa v30, sext(v32) dst_sel:DWORD dst_unused:UNUSED_PAD src0_sel:BYTE_0
	v_cvt_f32_i32_sdwa v79, sext(v32) dst_sel:DWORD dst_unused:UNUSED_PAD src0_sel:BYTE_3
	v_cvt_f32_i32_sdwa v78, sext(v32) dst_sel:DWORD dst_unused:UNUSED_PAD src0_sel:BYTE_2
	v_cvt_f32_i32_sdwa v81, sext(v33) dst_sel:DWORD dst_unused:UNUSED_PAD src0_sel:BYTE_1
	v_cvt_f32_i32_sdwa v80, sext(v33) dst_sel:DWORD dst_unused:UNUSED_PAD src0_sel:BYTE_0
	v_cvt_f32_i32_sdwa v83, sext(v33) dst_sel:DWORD dst_unused:UNUSED_PAD src0_sel:BYTE_3
	v_cvt_f32_i32_sdwa v82, sext(v33) dst_sel:DWORD dst_unused:UNUSED_PAD src0_sel:BYTE_2
	s_waitcnt vmcnt(3)
	v_cvt_f32_i32_sdwa v32, sext(v15) dst_sel:DWORD dst_unused:UNUSED_PAD src0_sel:BYTE_0
	v_cvt_f32_i32_sdwa v84, sext(v15) dst_sel:DWORD dst_unused:UNUSED_PAD src0_sel:BYTE_1
	v_cvt_f32_i32_sdwa v86, sext(v15) dst_sel:DWORD dst_unused:UNUSED_PAD src0_sel:BYTE_2
	v_cvt_f32_i32_sdwa v88, sext(v15) dst_sel:DWORD dst_unused:UNUSED_PAD src0_sel:BYTE_3
	s_waitcnt vmcnt(2)
	v_cvt_f32_i32_sdwa v90, sext(v85) dst_sel:DWORD dst_unused:UNUSED_PAD src0_sel:BYTE_0
	v_pk_fma_f32 v[26:27], v[42:43], v[32:33], v[26:27] op_sel_hi:[1,0,1]
	v_pk_fma_f32 v[24:25], v[48:49], v[32:33], v[24:25] op_sel_hi:[1,0,1]
	v_cvt_f32_i32_sdwa v42, sext(v85) dst_sel:DWORD dst_unused:UNUSED_PAD src0_sel:BYTE_1
	v_pk_fma_f32 v[26:27], v[44:45], v[84:85], v[26:27] op_sel_hi:[1,0,1]
	v_pk_fma_f32 v[24:25], v[50:51], v[84:85], v[24:25] op_sel_hi:[1,0,1]
	v_cvt_f32_i32_sdwa v32, sext(v85) dst_sel:DWORD dst_unused:UNUSED_PAD src0_sel:BYTE_2
	s_waitcnt vmcnt(1)
	v_pk_fma_f32 v[26:27], v[46:47], v[86:87], v[26:27] op_sel_hi:[1,0,1]
	v_pk_fma_f32 v[0:1], v[0:1], v[86:87], v[24:25] op_sel_hi:[1,0,1]
	v_cvt_f32_i32_sdwa v48, sext(v85) dst_sel:DWORD dst_unused:UNUSED_PAD src0_sel:BYTE_3
	s_waitcnt vmcnt(0)
	v_pk_fma_f32 v[26:27], v[52:53], v[88:89], v[26:27] op_sel_hi:[1,0,1]
	v_pk_fma_f32 v[0:1], v[54:55], v[88:89], v[0:1] op_sel_hi:[1,0,1]
	v_cvt_f32_i32_sdwa v92, sext(v87) dst_sel:DWORD dst_unused:UNUSED_PAD src0_sel:BYTE_0
	v_pk_fma_f32 v[2:3], v[2:3], v[90:91], v[26:27] op_sel_hi:[1,0,1]
	v_pk_fma_f32 v[0:1], v[34:35], v[90:91], v[0:1] op_sel_hi:[1,0,1]
	v_cvt_f32_i32_sdwa v44, sext(v87) dst_sel:DWORD dst_unused:UNUSED_PAD src0_sel:BYTE_1
	v_pk_fma_f32 v[2:3], v[56:57], v[42:43], v[2:3] op_sel_hi:[1,0,1]
	v_pk_fma_f32 v[0:1], v[36:37], v[42:43], v[0:1] op_sel_hi:[1,0,1]
	v_cvt_f32_i32_sdwa v50, sext(v87) dst_sel:DWORD dst_unused:UNUSED_PAD src0_sel:BYTE_2
	v_pk_fma_f32 v[2:3], v[58:59], v[32:33], v[2:3] op_sel_hi:[1,0,1]
	v_pk_fma_f32 v[0:1], v[4:5], v[32:33], v[0:1] op_sel_hi:[1,0,1]
	v_cvt_f32_i32_sdwa v84, sext(v87) dst_sel:DWORD dst_unused:UNUSED_PAD src0_sel:BYTE_3
	v_pk_fma_f32 v[2:3], v[60:61], v[48:49], v[2:3] op_sel_hi:[1,0,1]
	v_pk_fma_f32 v[0:1], v[38:39], v[48:49], v[0:1] op_sel_hi:[1,0,1]
	v_cvt_f32_i32_sdwa v46, sext(v89) dst_sel:DWORD dst_unused:UNUSED_PAD src0_sel:BYTE_0
	v_pk_fma_f32 v[2:3], v[62:63], v[92:93], v[2:3] op_sel_hi:[1,0,1]
	v_pk_fma_f32 v[0:1], v[66:67], v[92:93], v[0:1] op_sel_hi:[1,0,1]
	v_cvt_f32_i32_sdwa v24, sext(v89) dst_sel:DWORD dst_unused:UNUSED_PAD src0_sel:BYTE_1
	v_pk_fma_f32 v[2:3], v[6:7], v[44:45], v[2:3] op_sel_hi:[1,0,1]
	v_pk_fma_f32 v[0:1], v[68:69], v[44:45], v[0:1] op_sel_hi:[1,0,1]
	v_cvt_f32_i32_sdwa v86, sext(v89) dst_sel:DWORD dst_unused:UNUSED_PAD src0_sel:BYTE_2
	v_pk_fma_f32 v[2:3], v[40:41], v[50:51], v[2:3] op_sel_hi:[1,0,1]
	v_pk_fma_f32 v[0:1], v[8:9], v[50:51], v[0:1] op_sel_hi:[1,0,1]
	v_cvt_f32_i32_sdwa v94, sext(v89) dst_sel:DWORD dst_unused:UNUSED_PAD src0_sel:BYTE_3
	v_pk_fma_f32 v[2:3], v[64:65], v[84:85], v[2:3] op_sel_hi:[1,0,1]
	v_pk_fma_f32 v[0:1], v[70:71], v[84:85], v[0:1] op_sel_hi:[1,0,1]
	;; [unrolled: 1-line block ×10, first 2 shown]
	s_andn2_b64 exec, exec, s[8:9]
	s_cbranch_execnz .LBB89_35
; %bb.36:
	s_or_b64 exec, exec, s[8:9]
.LBB89_37:
	s_or_b64 exec, exec, s[2:3]
.LBB89_38:
	s_or_b64 exec, exec, s[6:7]
.LBB89_39:
	v_mov_b32_dpp v0, v26 row_shr:1 row_mask:0xf bank_mask:0xf
	v_mov_b32_dpp v1, v27 row_shr:1 row_mask:0xf bank_mask:0xf
	;; [unrolled: 1-line block ×4, first 2 shown]
	v_pk_add_f32 v[0:1], v[26:27], v[0:1]
	v_pk_add_f32 v[4:5], v[24:25], v[4:5]
	v_cmp_eq_u32_e32 vcc, 63, v14
	v_mov_b32_dpp v2, v0 row_shr:2 row_mask:0xf bank_mask:0xf
	v_mov_b32_dpp v3, v1 row_shr:2 row_mask:0xf bank_mask:0xf
	v_mov_b32_dpp v6, v4 row_shr:2 row_mask:0xf bank_mask:0xf
	v_mov_b32_dpp v7, v5 row_shr:2 row_mask:0xf bank_mask:0xf
	v_pk_add_f32 v[0:1], v[0:1], v[2:3]
	v_pk_add_f32 v[4:5], v[4:5], v[6:7]
	s_nop 0
	v_mov_b32_dpp v2, v0 row_shr:4 row_mask:0xf bank_mask:0xe
	v_mov_b32_dpp v3, v1 row_shr:4 row_mask:0xf bank_mask:0xe
	v_mov_b32_dpp v6, v4 row_shr:4 row_mask:0xf bank_mask:0xe
	v_mov_b32_dpp v7, v5 row_shr:4 row_mask:0xf bank_mask:0xe
	v_pk_add_f32 v[0:1], v[0:1], v[2:3]
	v_pk_add_f32 v[4:5], v[4:5], v[6:7]
	s_nop 0
	v_mov_b32_dpp v2, v0 row_shr:8 row_mask:0xf bank_mask:0xc
	v_mov_b32_dpp v3, v1 row_shr:8 row_mask:0xf bank_mask:0xc
	v_mov_b32_dpp v6, v4 row_shr:8 row_mask:0xf bank_mask:0xc
	v_mov_b32_dpp v7, v5 row_shr:8 row_mask:0xf bank_mask:0xc
	v_pk_add_f32 v[0:1], v[0:1], v[2:3]
	v_pk_add_f32 v[4:5], v[4:5], v[6:7]
	s_nop 0
	v_mov_b32_dpp v2, v0 row_bcast:15 row_mask:0xa bank_mask:0xf
	v_mov_b32_dpp v3, v1 row_bcast:15 row_mask:0xa bank_mask:0xf
	;; [unrolled: 1-line block ×4, first 2 shown]
	v_pk_add_f32 v[0:1], v[0:1], v[2:3]
	v_pk_add_f32 v[6:7], v[4:5], v[6:7]
	s_nop 0
	v_mov_b32_dpp v2, v0 row_bcast:31 row_mask:0xc bank_mask:0xf
	v_mov_b32_dpp v3, v1 row_bcast:31 row_mask:0xc bank_mask:0xf
	;; [unrolled: 1-line block ×4, first 2 shown]
	s_and_b64 exec, exec, vcc
	s_cbranch_execz .LBB89_10
; %bb.40:
	s_load_dwordx2 s[0:1], s[0:1], 0x58
	v_cmp_eq_f32_e64 s[2:3], s16, 0
	v_pk_add_f32 v[4:5], v[0:1], v[2:3]
	v_pk_add_f32 v[2:3], v[6:7], v[8:9]
	s_and_b64 vcc, exec, s[2:3]
	s_waitcnt lgkmcnt(0)
	v_lshl_add_u64 v[0:1], v[12:13], 4, s[0:1]
	s_cbranch_vccz .LBB89_42
; %bb.41:
	v_pk_mul_f32 v[6:7], s[12:13], v[4:5] op_sel_hi:[0,1]
	v_pk_mul_f32 v[8:9], s[12:13], v[2:3] op_sel_hi:[0,1]
	global_store_dwordx4 v[0:1], v[6:9], off
	s_cbranch_execnz .LBB89_10
	s_branch .LBB89_43
.LBB89_42:
.LBB89_43:
	global_load_dwordx4 v[6:9], v[0:1], off
	v_pk_mul_f32 v[4:5], s[12:13], v[4:5] op_sel_hi:[0,1]
	v_pk_mul_f32 v[10:11], s[12:13], v[2:3] op_sel_hi:[0,1]
	s_waitcnt vmcnt(0)
	v_pk_fma_f32 v[2:3], s[16:17], v[6:7], v[4:5] op_sel_hi:[0,1,1]
	v_pk_fma_f32 v[4:5], s[16:17], v[8:9], v[10:11] op_sel_hi:[0,1,1]
	global_store_dwordx4 v[0:1], v[2:5], off
	s_endpgm
	.section	.rodata,"a",@progbits
	.p2align	6, 0x0
	.amdhsa_kernel _ZN9rocsparseL18bsrxmvn_4x4_kernelILj128ELj64EfllaafEEvT3_20rocsparse_direction_NS_24const_host_device_scalarIT1_EES1_PKS1_PKT2_SA_S7_PKT4_PKT5_S5_PT6_21rocsparse_index_base_b
		.amdhsa_group_segment_fixed_size 0
		.amdhsa_private_segment_fixed_size 0
		.amdhsa_kernarg_size 104
		.amdhsa_user_sgpr_count 2
		.amdhsa_user_sgpr_dispatch_ptr 0
		.amdhsa_user_sgpr_queue_ptr 0
		.amdhsa_user_sgpr_kernarg_segment_ptr 1
		.amdhsa_user_sgpr_dispatch_id 0
		.amdhsa_user_sgpr_kernarg_preload_length 0
		.amdhsa_user_sgpr_kernarg_preload_offset 0
		.amdhsa_user_sgpr_private_segment_size 0
		.amdhsa_uses_dynamic_stack 0
		.amdhsa_enable_private_segment 0
		.amdhsa_system_sgpr_workgroup_id_x 1
		.amdhsa_system_sgpr_workgroup_id_y 0
		.amdhsa_system_sgpr_workgroup_id_z 0
		.amdhsa_system_sgpr_workgroup_info 0
		.amdhsa_system_vgpr_workitem_id 0
		.amdhsa_next_free_vgpr 102
		.amdhsa_next_free_sgpr 24
		.amdhsa_accum_offset 104
		.amdhsa_reserve_vcc 1
		.amdhsa_float_round_mode_32 0
		.amdhsa_float_round_mode_16_64 0
		.amdhsa_float_denorm_mode_32 3
		.amdhsa_float_denorm_mode_16_64 3
		.amdhsa_dx10_clamp 1
		.amdhsa_ieee_mode 1
		.amdhsa_fp16_overflow 0
		.amdhsa_tg_split 0
		.amdhsa_exception_fp_ieee_invalid_op 0
		.amdhsa_exception_fp_denorm_src 0
		.amdhsa_exception_fp_ieee_div_zero 0
		.amdhsa_exception_fp_ieee_overflow 0
		.amdhsa_exception_fp_ieee_underflow 0
		.amdhsa_exception_fp_ieee_inexact 0
		.amdhsa_exception_int_div_zero 0
	.end_amdhsa_kernel
	.section	.text._ZN9rocsparseL18bsrxmvn_4x4_kernelILj128ELj64EfllaafEEvT3_20rocsparse_direction_NS_24const_host_device_scalarIT1_EES1_PKS1_PKT2_SA_S7_PKT4_PKT5_S5_PT6_21rocsparse_index_base_b,"axG",@progbits,_ZN9rocsparseL18bsrxmvn_4x4_kernelILj128ELj64EfllaafEEvT3_20rocsparse_direction_NS_24const_host_device_scalarIT1_EES1_PKS1_PKT2_SA_S7_PKT4_PKT5_S5_PT6_21rocsparse_index_base_b,comdat
.Lfunc_end89:
	.size	_ZN9rocsparseL18bsrxmvn_4x4_kernelILj128ELj64EfllaafEEvT3_20rocsparse_direction_NS_24const_host_device_scalarIT1_EES1_PKS1_PKT2_SA_S7_PKT4_PKT5_S5_PT6_21rocsparse_index_base_b, .Lfunc_end89-_ZN9rocsparseL18bsrxmvn_4x4_kernelILj128ELj64EfllaafEEvT3_20rocsparse_direction_NS_24const_host_device_scalarIT1_EES1_PKS1_PKT2_SA_S7_PKT4_PKT5_S5_PT6_21rocsparse_index_base_b
                                        ; -- End function
	.set _ZN9rocsparseL18bsrxmvn_4x4_kernelILj128ELj64EfllaafEEvT3_20rocsparse_direction_NS_24const_host_device_scalarIT1_EES1_PKS1_PKT2_SA_S7_PKT4_PKT5_S5_PT6_21rocsparse_index_base_b.num_vgpr, 102
	.set _ZN9rocsparseL18bsrxmvn_4x4_kernelILj128ELj64EfllaafEEvT3_20rocsparse_direction_NS_24const_host_device_scalarIT1_EES1_PKS1_PKT2_SA_S7_PKT4_PKT5_S5_PT6_21rocsparse_index_base_b.num_agpr, 0
	.set _ZN9rocsparseL18bsrxmvn_4x4_kernelILj128ELj64EfllaafEEvT3_20rocsparse_direction_NS_24const_host_device_scalarIT1_EES1_PKS1_PKT2_SA_S7_PKT4_PKT5_S5_PT6_21rocsparse_index_base_b.numbered_sgpr, 24
	.set _ZN9rocsparseL18bsrxmvn_4x4_kernelILj128ELj64EfllaafEEvT3_20rocsparse_direction_NS_24const_host_device_scalarIT1_EES1_PKS1_PKT2_SA_S7_PKT4_PKT5_S5_PT6_21rocsparse_index_base_b.num_named_barrier, 0
	.set _ZN9rocsparseL18bsrxmvn_4x4_kernelILj128ELj64EfllaafEEvT3_20rocsparse_direction_NS_24const_host_device_scalarIT1_EES1_PKS1_PKT2_SA_S7_PKT4_PKT5_S5_PT6_21rocsparse_index_base_b.private_seg_size, 0
	.set _ZN9rocsparseL18bsrxmvn_4x4_kernelILj128ELj64EfllaafEEvT3_20rocsparse_direction_NS_24const_host_device_scalarIT1_EES1_PKS1_PKT2_SA_S7_PKT4_PKT5_S5_PT6_21rocsparse_index_base_b.uses_vcc, 1
	.set _ZN9rocsparseL18bsrxmvn_4x4_kernelILj128ELj64EfllaafEEvT3_20rocsparse_direction_NS_24const_host_device_scalarIT1_EES1_PKS1_PKT2_SA_S7_PKT4_PKT5_S5_PT6_21rocsparse_index_base_b.uses_flat_scratch, 0
	.set _ZN9rocsparseL18bsrxmvn_4x4_kernelILj128ELj64EfllaafEEvT3_20rocsparse_direction_NS_24const_host_device_scalarIT1_EES1_PKS1_PKT2_SA_S7_PKT4_PKT5_S5_PT6_21rocsparse_index_base_b.has_dyn_sized_stack, 0
	.set _ZN9rocsparseL18bsrxmvn_4x4_kernelILj128ELj64EfllaafEEvT3_20rocsparse_direction_NS_24const_host_device_scalarIT1_EES1_PKS1_PKT2_SA_S7_PKT4_PKT5_S5_PT6_21rocsparse_index_base_b.has_recursion, 0
	.set _ZN9rocsparseL18bsrxmvn_4x4_kernelILj128ELj64EfllaafEEvT3_20rocsparse_direction_NS_24const_host_device_scalarIT1_EES1_PKS1_PKT2_SA_S7_PKT4_PKT5_S5_PT6_21rocsparse_index_base_b.has_indirect_call, 0
	.section	.AMDGPU.csdata,"",@progbits
; Kernel info:
; codeLenInByte = 4472
; TotalNumSgprs: 30
; NumVgprs: 102
; NumAgprs: 0
; TotalNumVgprs: 102
; ScratchSize: 0
; MemoryBound: 0
; FloatMode: 240
; IeeeMode: 1
; LDSByteSize: 0 bytes/workgroup (compile time only)
; SGPRBlocks: 3
; VGPRBlocks: 12
; NumSGPRsForWavesPerEU: 30
; NumVGPRsForWavesPerEU: 102
; AccumOffset: 104
; Occupancy: 4
; WaveLimiterHint : 1
; COMPUTE_PGM_RSRC2:SCRATCH_EN: 0
; COMPUTE_PGM_RSRC2:USER_SGPR: 2
; COMPUTE_PGM_RSRC2:TRAP_HANDLER: 0
; COMPUTE_PGM_RSRC2:TGID_X_EN: 1
; COMPUTE_PGM_RSRC2:TGID_Y_EN: 0
; COMPUTE_PGM_RSRC2:TGID_Z_EN: 0
; COMPUTE_PGM_RSRC2:TIDIG_COMP_CNT: 0
; COMPUTE_PGM_RSRC3_GFX90A:ACCUM_OFFSET: 25
; COMPUTE_PGM_RSRC3_GFX90A:TG_SPLIT: 0
	.section	.text._ZN9rocsparseL18bsrxmvn_4x4_kernelILj128ELj4EfiiDF16_DF16_fEEvT3_20rocsparse_direction_NS_24const_host_device_scalarIT1_EES1_PKS1_PKT2_SA_S7_PKT4_PKT5_S5_PT6_21rocsparse_index_base_b,"axG",@progbits,_ZN9rocsparseL18bsrxmvn_4x4_kernelILj128ELj4EfiiDF16_DF16_fEEvT3_20rocsparse_direction_NS_24const_host_device_scalarIT1_EES1_PKS1_PKT2_SA_S7_PKT4_PKT5_S5_PT6_21rocsparse_index_base_b,comdat
	.globl	_ZN9rocsparseL18bsrxmvn_4x4_kernelILj128ELj4EfiiDF16_DF16_fEEvT3_20rocsparse_direction_NS_24const_host_device_scalarIT1_EES1_PKS1_PKT2_SA_S7_PKT4_PKT5_S5_PT6_21rocsparse_index_base_b ; -- Begin function _ZN9rocsparseL18bsrxmvn_4x4_kernelILj128ELj4EfiiDF16_DF16_fEEvT3_20rocsparse_direction_NS_24const_host_device_scalarIT1_EES1_PKS1_PKT2_SA_S7_PKT4_PKT5_S5_PT6_21rocsparse_index_base_b
	.p2align	8
	.type	_ZN9rocsparseL18bsrxmvn_4x4_kernelILj128ELj4EfiiDF16_DF16_fEEvT3_20rocsparse_direction_NS_24const_host_device_scalarIT1_EES1_PKS1_PKT2_SA_S7_PKT4_PKT5_S5_PT6_21rocsparse_index_base_b,@function
_ZN9rocsparseL18bsrxmvn_4x4_kernelILj128ELj4EfiiDF16_DF16_fEEvT3_20rocsparse_direction_NS_24const_host_device_scalarIT1_EES1_PKS1_PKT2_SA_S7_PKT4_PKT5_S5_PT6_21rocsparse_index_base_b: ; @_ZN9rocsparseL18bsrxmvn_4x4_kernelILj128ELj4EfiiDF16_DF16_fEEvT3_20rocsparse_direction_NS_24const_host_device_scalarIT1_EES1_PKS1_PKT2_SA_S7_PKT4_PKT5_S5_PT6_21rocsparse_index_base_b
; %bb.0:
	s_load_dwordx2 s[16:17], s[0:1], 0x58
	s_load_dwordx2 s[12:13], s[0:1], 0x8
	s_load_dwordx2 s[14:15], s[0:1], 0x48
	s_waitcnt lgkmcnt(0)
	s_bitcmp1_b32 s17, 0
	s_cselect_b64 s[6:7], -1, 0
	s_xor_b64 s[4:5], s[6:7], -1
	s_and_b64 vcc, exec, s[6:7]
	s_cbranch_vccnz .LBB90_2
; %bb.1:
	s_load_dword s12, s[12:13], 0x0
.LBB90_2:
	s_andn2_b64 vcc, exec, s[4:5]
	s_cbranch_vccnz .LBB90_4
; %bb.3:
	s_load_dword s14, s[14:15], 0x0
.LBB90_4:
	s_waitcnt lgkmcnt(0)
	v_cmp_neq_f32_e64 s[4:5], s12, 0
	v_cmp_neq_f32_e64 s[6:7], s14, 1.0
	s_or_b64 s[4:5], s[4:5], s[6:7]
	s_andn2_b64 vcc, exec, s[4:5]
	s_cbranch_vccnz .LBB90_10
; %bb.5:
	s_load_dwordx2 s[4:5], s[0:1], 0x18
	s_load_dwordx2 s[18:19], s[0:1], 0x0
	v_lshrrev_b32_e32 v1, 2, v0
	v_lshl_or_b32 v24, s2, 5, v1
	s_mov_b64 s[2:3], 0
	s_waitcnt lgkmcnt(0)
	s_cmp_lg_u64 s[4:5], 0
	s_cbranch_scc0 .LBB90_11
; %bb.6:
	s_load_dword s6, s[0:1], 0x10
                                        ; implicit-def: $vgpr1
	s_waitcnt lgkmcnt(0)
	v_cmp_gt_i32_e32 vcc, s6, v24
	s_and_saveexec_b64 s[6:7], vcc
	s_xor_b64 s[6:7], exec, s[6:7]
	s_cbranch_execz .LBB90_8
; %bb.7:
	v_ashrrev_i32_e32 v25, 31, v24
	v_lshl_add_u64 v[2:3], v[24:25], 2, s[4:5]
	global_load_dword v1, v[2:3], off
	s_mov_b64 s[2:3], exec
	s_waitcnt vmcnt(0)
	v_subrev_u32_e32 v1, s16, v1
.LBB90_8:
	s_or_b64 exec, exec, s[6:7]
	s_branch .LBB90_12
.LBB90_9:
	v_cmp_gt_i32_e32 vcc, s18, v24
	s_andn2_b64 s[2:3], s[2:3], exec
	s_and_b64 s[4:5], vcc, exec
	s_or_b64 s[2:3], s[2:3], s[4:5]
	s_and_saveexec_b64 s[4:5], s[2:3]
	s_cbranch_execnz .LBB90_13
.LBB90_10:
	s_endpgm
.LBB90_11:
                                        ; implicit-def: $vgpr1
	s_cbranch_execnz .LBB90_9
.LBB90_12:
	v_mov_b32_e32 v24, v1
	s_and_saveexec_b64 s[4:5], s[2:3]
	s_cbranch_execz .LBB90_10
.LBB90_13:
	s_load_dwordx8 s[4:11], s[0:1], 0x20
	v_ashrrev_i32_e32 v25, 31, v24
	v_lshlrev_b64 v[2:3], 2, v[24:25]
	v_and_b32_e32 v25, 3, v0
	s_waitcnt lgkmcnt(0)
	v_lshl_add_u64 v[6:7], s[4:5], 0, v[2:3]
	s_cmp_eq_u64 s[6:7], 0
	global_load_dword v4, v[6:7], off
	v_lshl_add_u64 v[6:7], v[6:7], 0, 4
	v_lshl_add_u64 v[2:3], s[6:7], 0, v[2:3]
	s_cselect_b64 vcc, -1, 0
	v_cndmask_b32_e32 v3, v3, v7, vcc
	v_cndmask_b32_e32 v2, v2, v6, vcc
	global_load_dword v1, v[2:3], off
	s_load_dwordx2 s[4:5], s[0:1], 0x40
	s_cmp_eq_u32 s19, 1
	s_waitcnt vmcnt(1)
	v_subrev_u32_e32 v0, s16, v4
	v_add_u32_e32 v26, v0, v25
	v_ashrrev_i32_e32 v27, 31, v26
	s_waitcnt vmcnt(0)
	v_subrev_u32_e32 v34, s16, v1
	v_lshlrev_b64 v[0:1], 5, v[26:27]
	v_lshl_add_u64 v[28:29], s[10:11], 0, v[0:1]
	v_cmp_lt_i32_e64 s[2:3], v26, v34
	s_cbranch_scc1 .LBB90_25
; %bb.14:
	v_mov_b32_e32 v33, 0
	v_mov_b32_e32 v32, 0
	;; [unrolled: 1-line block ×4, first 2 shown]
	s_and_saveexec_b64 s[6:7], s[2:3]
	s_cbranch_execz .LBB90_24
; %bb.15:
	v_add_u32_e32 v0, v4, v25
	v_subrev_u32_e32 v0, s16, v0
	v_add_u32_e32 v0, 4, v0
	v_max_i32_e32 v0, v0, v34
	v_not_b32_e32 v1, v4
	v_add3_u32 v0, s16, v0, v1
	v_sub_u32_e32 v5, v0, v25
	v_mov_b32_e32 v30, 0
	v_and_b32_e32 v0, 12, v5
	v_mov_b32_e32 v31, v30
	v_cmp_ne_u32_e32 vcc, 12, v0
	v_mov_b64_e32 v[32:33], v[30:31]
	v_mov_b32_e32 v0, v26
	v_mov_b64_e32 v[2:3], v[28:29]
	s_and_saveexec_b64 s[10:11], vcc
	s_cbranch_execz .LBB90_19
; %bb.16:
	v_lshrrev_b32_e32 v0, 2, v5
	v_add_u32_e32 v0, 1, v0
	v_and_b32_e32 v0, 3, v0
	v_sub_u32_e32 v6, 0, v0
	s_mov_b64 s[18:19], 0
	s_mov_b64 s[20:21], 0x80
	v_mov_b64_e32 v[2:3], v[28:29]
	v_mov_b32_e32 v0, v26
	v_mov_b32_e32 v31, v30
	;; [unrolled: 1-line block ×4, first 2 shown]
.LBB90_17:                              ; =>This Inner Loop Header: Depth=1
	v_ashrrev_i32_e32 v1, 31, v0
	v_lshl_add_u64 v[16:17], v[0:1], 2, s[8:9]
	global_load_dword v1, v[16:17], off
	global_load_dwordx4 v[8:11], v[2:3], off
	global_load_dwordx4 v[12:15], v[2:3], off offset:16
	v_add_co_u32_e32 v6, vcc, 1, v6
	v_lshl_add_u64 v[2:3], v[2:3], 0, s[20:21]
	v_add_u32_e32 v0, 4, v0
	s_or_b64 s[18:19], vcc, s[18:19]
	s_waitcnt vmcnt(2)
	v_subrev_u32_e32 v1, s16, v1
	v_lshlrev_b32_e32 v16, 2, v1
	v_ashrrev_i32_e32 v17, 31, v16
	s_waitcnt lgkmcnt(0)
	v_lshl_add_u64 v[16:17], v[16:17], 1, s[4:5]
	global_load_dwordx2 v[16:17], v[16:17], off
	s_waitcnt vmcnt(2)
	v_cvt_f32_f16_e32 v19, v10
	v_cvt_f32_f16_e32 v18, v8
	v_cvt_f32_f16_sdwa v21, v10 dst_sel:DWORD dst_unused:UNUSED_PAD src0_sel:WORD_1
	v_cvt_f32_f16_sdwa v20, v8 dst_sel:DWORD dst_unused:UNUSED_PAD src0_sel:WORD_1
	v_cvt_f32_f16_e32 v22, v9
	v_cvt_f32_f16_sdwa v10, v9 dst_sel:DWORD dst_unused:UNUSED_PAD src0_sel:WORD_1
	s_waitcnt vmcnt(1)
	v_cvt_f32_f16_e32 v9, v14
	v_cvt_f32_f16_e32 v8, v12
	v_cvt_f32_f16_sdwa v36, v12 dst_sel:DWORD dst_unused:UNUSED_PAD src0_sel:WORD_1
	v_cvt_f32_f16_sdwa v37, v14 dst_sel:DWORD dst_unused:UNUSED_PAD src0_sel:WORD_1
	v_cvt_f32_f16_e32 v23, v11
	v_cvt_f32_f16_e32 v39, v15
	;; [unrolled: 1-line block ×3, first 2 shown]
	v_cvt_f32_f16_sdwa v11, v11 dst_sel:DWORD dst_unused:UNUSED_PAD src0_sel:WORD_1
	v_cvt_f32_f16_sdwa v15, v15 dst_sel:DWORD dst_unused:UNUSED_PAD src0_sel:WORD_1
	;; [unrolled: 1-line block ×3, first 2 shown]
	s_waitcnt vmcnt(0)
	v_cvt_f32_f16_e32 v12, v16
	v_cvt_f32_f16_sdwa v16, v16 dst_sel:DWORD dst_unused:UNUSED_PAD src0_sel:WORD_1
	v_cvt_f32_f16_e32 v40, v17
	v_cvt_f32_f16_sdwa v42, v17 dst_sel:DWORD dst_unused:UNUSED_PAD src0_sel:WORD_1
	v_pk_fma_f32 v[18:19], v[18:19], v[12:13], v[30:31] op_sel_hi:[1,0,1]
	v_pk_fma_f32 v[8:9], v[8:9], v[12:13], v[32:33] op_sel_hi:[1,0,1]
	;; [unrolled: 1-line block ×8, first 2 shown]
	s_andn2_b64 exec, exec, s[18:19]
	s_cbranch_execnz .LBB90_17
; %bb.18:
	s_or_b64 exec, exec, s[18:19]
.LBB90_19:
	s_or_b64 exec, exec, s[10:11]
	v_cmp_lt_u32_e32 vcc, 11, v5
	s_and_saveexec_b64 s[10:11], vcc
	s_cbranch_execz .LBB90_23
; %bb.20:
	s_mov_b64 s[18:19], 0
	s_mov_b64 s[20:21], 0x200
.LBB90_21:                              ; =>This Inner Loop Header: Depth=1
	v_ashrrev_i32_e32 v1, 31, v0
	v_lshl_add_u64 v[22:23], v[0:1], 2, s[8:9]
	global_load_dwordx4 v[6:9], v[2:3], off
	global_load_dwordx4 v[10:13], v[2:3], off offset:16
	global_load_dwordx4 v[14:17], v[2:3], off offset:128
	;; [unrolled: 1-line block ×7, first 2 shown]
	global_load_dword v1, v[22:23], off
	global_load_dword v5, v[22:23], off offset:16
	global_load_dword v27, v[22:23], off offset:32
	;; [unrolled: 1-line block ×3, first 2 shown]
	v_add_u32_e32 v0, 16, v0
	v_cmp_ge_i32_e32 vcc, v0, v34
	v_lshl_add_u64 v[2:3], v[2:3], 0, s[20:21]
	s_or_b64 s[18:19], vcc, s[18:19]
	s_waitcnt vmcnt(9)
	v_cvt_f32_f16_sdwa v60, v14 dst_sel:DWORD dst_unused:UNUSED_PAD src0_sel:WORD_1
	v_cvt_f32_f16_sdwa v61, v16 dst_sel:DWORD dst_unused:UNUSED_PAD src0_sel:WORD_1
	v_cvt_f32_f16_e32 v62, v15
	s_waitcnt vmcnt(3)
	v_subrev_u32_e32 v1, s16, v1
	v_cvt_f32_f16_e32 v22, v6
	v_cvt_f32_f16_sdwa v52, v6 dst_sel:DWORD dst_unused:UNUSED_PAD src0_sel:WORD_1
	v_cvt_f32_f16_e32 v6, v10
	v_cvt_f32_f16_sdwa v56, v10 dst_sel:DWORD dst_unused:UNUSED_PAD src0_sel:WORD_1
	v_cvt_f32_f16_e32 v10, v14
	s_waitcnt vmcnt(2)
	v_subrev_u32_e32 v5, s16, v5
	s_waitcnt vmcnt(1)
	v_subrev_u32_e32 v14, s16, v27
	s_waitcnt vmcnt(0)
	v_subrev_u32_e32 v27, s16, v35
	v_lshlrev_b32_e32 v64, 2, v1
	v_lshlrev_b32_e32 v66, 2, v5
	;; [unrolled: 1-line block ×4, first 2 shown]
	v_ashrrev_i32_e32 v65, 31, v64
	v_ashrrev_i32_e32 v67, 31, v66
	;; [unrolled: 1-line block ×4, first 2 shown]
	s_waitcnt lgkmcnt(0)
	v_lshl_add_u64 v[64:65], v[64:65], 1, s[4:5]
	v_lshl_add_u64 v[66:67], v[66:67], 1, s[4:5]
	;; [unrolled: 1-line block ×4, first 2 shown]
	global_load_dwordx2 v[72:73], v[64:65], off
	global_load_dwordx2 v[74:75], v[66:67], off
	;; [unrolled: 1-line block ×4, first 2 shown]
	v_cvt_f32_f16_e32 v23, v8
	v_cvt_f32_f16_sdwa v53, v8 dst_sel:DWORD dst_unused:UNUSED_PAD src0_sel:WORD_1
	v_cvt_f32_f16_e32 v54, v7
	v_cvt_f32_f16_sdwa v8, v7 dst_sel:DWORD dst_unused:UNUSED_PAD src0_sel:WORD_1
	v_cvt_f32_f16_e32 v7, v12
	v_cvt_f32_f16_e32 v14, v18
	v_cvt_f32_f16_sdwa v64, v18 dst_sel:DWORD dst_unused:UNUSED_PAD src0_sel:WORD_1
	v_cvt_f32_f16_e32 v18, v36
	v_cvt_f32_f16_sdwa v68, v36 dst_sel:DWORD dst_unused:UNUSED_PAD src0_sel:WORD_1
	;; [unrolled: 2-line block ×5, first 2 shown]
	v_cvt_f32_f16_sdwa v57, v12 dst_sel:DWORD dst_unused:UNUSED_PAD src0_sel:WORD_1
	v_cvt_f32_f16_e32 v55, v9
	v_cvt_f32_f16_e32 v59, v13
	;; [unrolled: 1-line block ×3, first 2 shown]
	v_cvt_f32_f16_sdwa v9, v9 dst_sel:DWORD dst_unused:UNUSED_PAD src0_sel:WORD_1
	v_cvt_f32_f16_sdwa v13, v13 dst_sel:DWORD dst_unused:UNUSED_PAD src0_sel:WORD_1
	;; [unrolled: 1-line block ×3, first 2 shown]
	v_cvt_f32_f16_e32 v11, v16
	v_cvt_f32_f16_sdwa v16, v15 dst_sel:DWORD dst_unused:UNUSED_PAD src0_sel:WORD_1
	v_cvt_f32_f16_e32 v15, v20
	v_cvt_f32_f16_sdwa v65, v20 dst_sel:DWORD dst_unused:UNUSED_PAD src0_sel:WORD_1
	v_cvt_f32_f16_e32 v63, v17
	v_cvt_f32_f16_e32 v67, v21
	;; [unrolled: 1-line block ×3, first 2 shown]
	v_cvt_f32_f16_sdwa v17, v17 dst_sel:DWORD dst_unused:UNUSED_PAD src0_sel:WORD_1
	v_cvt_f32_f16_sdwa v21, v21 dst_sel:DWORD dst_unused:UNUSED_PAD src0_sel:WORD_1
	;; [unrolled: 1-line block ×3, first 2 shown]
	v_cvt_f32_f16_e32 v19, v38
	v_cvt_f32_f16_sdwa v69, v38 dst_sel:DWORD dst_unused:UNUSED_PAD src0_sel:WORD_1
	v_cvt_f32_f16_e32 v70, v37
	v_cvt_f32_f16_sdwa v38, v37 dst_sel:DWORD dst_unused:UNUSED_PAD src0_sel:WORD_1
	;; [unrolled: 2-line block ×3, first 2 shown]
	v_cvt_f32_f16_e32 v71, v39
	v_cvt_f32_f16_e32 v83, v43
	;; [unrolled: 1-line block ×3, first 2 shown]
	v_cvt_f32_f16_sdwa v39, v39 dst_sel:DWORD dst_unused:UNUSED_PAD src0_sel:WORD_1
	v_cvt_f32_f16_sdwa v43, v43 dst_sel:DWORD dst_unused:UNUSED_PAD src0_sel:WORD_1
	;; [unrolled: 1-line block ×3, first 2 shown]
	v_cvt_f32_f16_e32 v41, v46
	v_cvt_f32_f16_sdwa v85, v46 dst_sel:DWORD dst_unused:UNUSED_PAD src0_sel:WORD_1
	v_cvt_f32_f16_e32 v86, v45
	v_cvt_f32_f16_sdwa v46, v45 dst_sel:DWORD dst_unused:UNUSED_PAD src0_sel:WORD_1
	;; [unrolled: 2-line block ×3, first 2 shown]
	v_cvt_f32_f16_e32 v87, v47
	v_cvt_f32_f16_e32 v91, v51
	v_cvt_f32_f16_e32 v90, v49
	v_cvt_f32_f16_sdwa v47, v47 dst_sel:DWORD dst_unused:UNUSED_PAD src0_sel:WORD_1
	v_cvt_f32_f16_sdwa v51, v51 dst_sel:DWORD dst_unused:UNUSED_PAD src0_sel:WORD_1
	;; [unrolled: 1-line block ×3, first 2 shown]
	s_waitcnt vmcnt(3)
	v_cvt_f32_f16_e32 v48, v72
	v_cvt_f32_f16_sdwa v72, v72 dst_sel:DWORD dst_unused:UNUSED_PAD src0_sel:WORD_1
	v_cvt_f32_f16_e32 v92, v73
	v_cvt_f32_f16_sdwa v94, v73 dst_sel:DWORD dst_unused:UNUSED_PAD src0_sel:WORD_1
	s_waitcnt vmcnt(2)
	v_cvt_f32_f16_e32 v96, v74
	v_pk_fma_f32 v[22:23], v[22:23], v[48:49], v[30:31] op_sel_hi:[1,0,1]
	v_pk_fma_f32 v[6:7], v[6:7], v[48:49], v[32:33] op_sel_hi:[1,0,1]
	v_cvt_f32_f16_sdwa v74, v74 dst_sel:DWORD dst_unused:UNUSED_PAD src0_sel:WORD_1
	v_pk_fma_f32 v[22:23], v[52:53], v[72:73], v[22:23] op_sel_hi:[1,0,1]
	v_pk_fma_f32 v[6:7], v[56:57], v[72:73], v[6:7] op_sel_hi:[1,0,1]
	v_cvt_f32_f16_e32 v30, v75
	v_pk_fma_f32 v[22:23], v[54:55], v[92:93], v[22:23] op_sel_hi:[1,0,1]
	v_pk_fma_f32 v[6:7], v[58:59], v[92:93], v[6:7] op_sel_hi:[1,0,1]
	v_cvt_f32_f16_sdwa v98, v75 dst_sel:DWORD dst_unused:UNUSED_PAD src0_sel:WORD_1
	v_pk_fma_f32 v[8:9], v[8:9], v[94:95], v[22:23] op_sel_hi:[1,0,1]
	v_pk_fma_f32 v[6:7], v[12:13], v[94:95], v[6:7] op_sel_hi:[1,0,1]
	s_waitcnt vmcnt(1)
	v_cvt_f32_f16_e32 v32, v76
	v_pk_fma_f32 v[8:9], v[10:11], v[96:97], v[8:9] op_sel_hi:[1,0,1]
	v_pk_fma_f32 v[6:7], v[14:15], v[96:97], v[6:7] op_sel_hi:[1,0,1]
	v_cvt_f32_f16_sdwa v48, v76 dst_sel:DWORD dst_unused:UNUSED_PAD src0_sel:WORD_1
	v_pk_fma_f32 v[8:9], v[60:61], v[74:75], v[8:9] op_sel_hi:[1,0,1]
	v_pk_fma_f32 v[6:7], v[64:65], v[74:75], v[6:7] op_sel_hi:[1,0,1]
	v_cvt_f32_f16_e32 v52, v77
	v_pk_fma_f32 v[8:9], v[62:63], v[30:31], v[8:9] op_sel_hi:[1,0,1]
	v_pk_fma_f32 v[6:7], v[66:67], v[30:31], v[6:7] op_sel_hi:[1,0,1]
	v_cvt_f32_f16_sdwa v76, v77 dst_sel:DWORD dst_unused:UNUSED_PAD src0_sel:WORD_1
	v_pk_fma_f32 v[8:9], v[16:17], v[98:99], v[8:9] op_sel_hi:[1,0,1]
	v_pk_fma_f32 v[6:7], v[20:21], v[98:99], v[6:7] op_sel_hi:[1,0,1]
	;; [unrolled: 13-line block ×3, first 2 shown]
	v_pk_fma_f32 v[8:9], v[40:41], v[56:57], v[8:9] op_sel_hi:[1,0,1]
	v_pk_fma_f32 v[6:7], v[44:45], v[56:57], v[6:7] op_sel_hi:[1,0,1]
	;; [unrolled: 1-line block ×8, first 2 shown]
	s_andn2_b64 exec, exec, s[18:19]
	s_cbranch_execnz .LBB90_21
; %bb.22:
	s_or_b64 exec, exec, s[18:19]
.LBB90_23:
	s_or_b64 exec, exec, s[10:11]
.LBB90_24:
	s_or_b64 exec, exec, s[6:7]
	s_cbranch_execz .LBB90_26
	s_branch .LBB90_37
.LBB90_25:
                                        ; implicit-def: $vgpr33
                                        ; implicit-def: $vgpr31
.LBB90_26:
	v_mov_b32_e32 v33, 0
	v_mov_b32_e32 v32, 0
	;; [unrolled: 1-line block ×4, first 2 shown]
	s_and_saveexec_b64 s[6:7], s[2:3]
	s_cbranch_execz .LBB90_36
; %bb.27:
	v_add_u32_e32 v0, v4, v25
	v_subrev_u32_e32 v0, s16, v0
	v_add_u32_e32 v0, 4, v0
	v_max_i32_e32 v0, v0, v34
	v_not_b32_e32 v1, v4
	v_add3_u32 v0, s16, v0, v1
	v_sub_u32_e32 v0, v0, v25
	v_mov_b32_e32 v30, 0
	v_and_b32_e32 v1, 12, v0
	v_mov_b32_e32 v31, v30
	v_cmp_ne_u32_e32 vcc, 12, v1
	v_mov_b64_e32 v[32:33], v[30:31]
	s_and_saveexec_b64 s[2:3], vcc
	s_cbranch_execz .LBB90_31
; %bb.28:
	v_lshrrev_b32_e32 v1, 2, v0
	v_add_u32_e32 v1, 1, v1
	v_and_b32_e32 v1, 3, v1
	v_sub_u32_e32 v1, 0, v1
	s_mov_b64 s[10:11], 0
	s_mov_b64 s[18:19], 0x80
	v_mov_b32_e32 v31, v30
	v_mov_b32_e32 v32, v30
	;; [unrolled: 1-line block ×3, first 2 shown]
.LBB90_29:                              ; =>This Inner Loop Header: Depth=1
	v_ashrrev_i32_e32 v27, 31, v26
	v_lshl_add_u64 v[6:7], v[26:27], 2, s[8:9]
	global_load_dword v8, v[6:7], off
	global_load_dwordx4 v[2:5], v[28:29], off
	v_add_co_u32_e32 v1, vcc, 1, v1
	v_add_u32_e32 v26, 4, v26
	s_or_b64 s[10:11], vcc, s[10:11]
	s_waitcnt vmcnt(1)
	v_subrev_u32_e32 v6, s16, v8
	v_lshlrev_b32_e32 v6, 2, v6
	v_ashrrev_i32_e32 v7, 31, v6
	s_waitcnt lgkmcnt(0)
	v_lshl_add_u64 v[10:11], v[6:7], 1, s[4:5]
	global_load_dwordx2 v[12:13], v[10:11], off
	global_load_dwordx4 v[6:9], v[28:29], off offset:16
	s_waitcnt vmcnt(2)
	v_cvt_f32_f16_sdwa v11, v2 dst_sel:DWORD dst_unused:UNUSED_PAD src0_sel:WORD_1
	v_cvt_f32_f16_e32 v10, v2
	v_cvt_f32_f16_sdwa v21, v3 dst_sel:DWORD dst_unused:UNUSED_PAD src0_sel:WORD_1
	v_cvt_f32_f16_e32 v20, v3
	;; [unrolled: 2-line block ×4, first 2 shown]
	v_lshl_add_u64 v[28:29], v[28:29], 0, s[18:19]
	s_waitcnt vmcnt(1)
	v_cvt_f32_f16_e32 v22, v13
	s_waitcnt vmcnt(0)
	v_cvt_f32_f16_sdwa v19, v8 dst_sel:DWORD dst_unused:UNUSED_PAD src0_sel:WORD_1
	v_cvt_f32_f16_e32 v18, v8
	v_cvt_f32_f16_e32 v8, v12
	v_cvt_f32_f16_sdwa v12, v12 dst_sel:DWORD dst_unused:UNUSED_PAD src0_sel:WORD_1
	v_cvt_f32_f16_sdwa v17, v6 dst_sel:DWORD dst_unused:UNUSED_PAD src0_sel:WORD_1
	v_cvt_f32_f16_e32 v16, v6
	v_cvt_f32_f16_sdwa v5, v7 dst_sel:DWORD dst_unused:UNUSED_PAD src0_sel:WORD_1
	v_cvt_f32_f16_e32 v4, v7
	;; [unrolled: 2-line block ×3, first 2 shown]
	v_cvt_f32_f16_sdwa v36, v13 dst_sel:DWORD dst_unused:UNUSED_PAD src0_sel:WORD_1
	v_pk_fma_f32 v[10:11], v[10:11], v[8:9], v[30:31] op_sel_hi:[1,0,1]
	v_pk_fma_f32 v[8:9], v[20:21], v[8:9], v[32:33] op_sel_hi:[1,0,1]
	v_pk_fma_f32 v[10:11], v[14:15], v[12:13], v[10:11] op_sel_hi:[1,0,1]
	v_pk_fma_f32 v[2:3], v[2:3], v[12:13], v[8:9] op_sel_hi:[1,0,1]
	v_pk_fma_f32 v[8:9], v[16:17], v[22:23], v[10:11] op_sel_hi:[1,0,1]
	v_pk_fma_f32 v[2:3], v[4:5], v[22:23], v[2:3] op_sel_hi:[1,0,1]
	v_pk_fma_f32 v[30:31], v[18:19], v[36:37], v[8:9] op_sel_hi:[1,0,1]
	v_pk_fma_f32 v[32:33], v[6:7], v[36:37], v[2:3] op_sel_hi:[1,0,1]
	s_andn2_b64 exec, exec, s[10:11]
	s_cbranch_execnz .LBB90_29
; %bb.30:
	s_or_b64 exec, exec, s[10:11]
.LBB90_31:
	s_or_b64 exec, exec, s[2:3]
	v_cmp_lt_u32_e32 vcc, 11, v0
	s_and_saveexec_b64 s[2:3], vcc
	s_cbranch_execz .LBB90_35
; %bb.32:
	s_mov_b64 s[10:11], 0
	s_mov_b64 s[18:19], 0x200
.LBB90_33:                              ; =>This Inner Loop Header: Depth=1
	v_ashrrev_i32_e32 v27, 31, v26
	v_lshl_add_u64 v[44:45], v[26:27], 2, s[8:9]
	global_load_dwordx4 v[0:3], v[28:29], off
	global_load_dwordx4 v[4:7], v[28:29], off offset:16
	global_load_dwordx4 v[8:11], v[28:29], off offset:128
	;; [unrolled: 1-line block ×7, first 2 shown]
	global_load_dword v27, v[44:45], off
	global_load_dword v35, v[44:45], off offset:16
	global_load_dword v60, v[44:45], off offset:32
	;; [unrolled: 1-line block ×3, first 2 shown]
	v_add_u32_e32 v26, 16, v26
	v_cmp_ge_i32_e32 vcc, v26, v34
	v_lshl_add_u64 v[28:29], v[28:29], 0, s[18:19]
	s_or_b64 s[10:11], vcc, s[10:11]
	s_waitcnt vmcnt(11)
	v_cvt_f32_f16_sdwa v45, v0 dst_sel:DWORD dst_unused:UNUSED_PAD src0_sel:WORD_1
	v_cvt_f32_f16_e32 v44, v0
	v_cvt_f32_f16_sdwa v47, v2 dst_sel:DWORD dst_unused:UNUSED_PAD src0_sel:WORD_1
	v_cvt_f32_f16_e32 v46, v2
	s_waitcnt vmcnt(10)
	v_cvt_f32_f16_sdwa v49, v4 dst_sel:DWORD dst_unused:UNUSED_PAD src0_sel:WORD_1
	v_cvt_f32_f16_e32 v48, v4
	v_cvt_f32_f16_sdwa v51, v6 dst_sel:DWORD dst_unused:UNUSED_PAD src0_sel:WORD_1
	v_cvt_f32_f16_e32 v50, v6
	;; [unrolled: 2-line block ×6, first 2 shown]
	s_waitcnt vmcnt(9)
	v_cvt_f32_f16_sdwa v7, v8 dst_sel:DWORD dst_unused:UNUSED_PAD src0_sel:WORD_1
	v_cvt_f32_f16_e32 v6, v8
	s_waitcnt vmcnt(3)
	v_subrev_u32_e32 v8, s16, v27
	v_cvt_f32_f16_sdwa v55, v10 dst_sel:DWORD dst_unused:UNUSED_PAD src0_sel:WORD_1
	v_cvt_f32_f16_e32 v54, v10
	v_cvt_f32_f16_sdwa v57, v12 dst_sel:DWORD dst_unused:UNUSED_PAD src0_sel:WORD_1
	v_cvt_f32_f16_e32 v56, v12
	;; [unrolled: 2-line block ×3, first 2 shown]
	s_waitcnt vmcnt(2)
	v_subrev_u32_e32 v10, s16, v35
	s_waitcnt vmcnt(1)
	v_subrev_u32_e32 v12, s16, v60
	;; [unrolled: 2-line block ×3, first 2 shown]
	v_lshlrev_b32_e32 v62, 2, v8
	v_lshlrev_b32_e32 v64, 2, v10
	;; [unrolled: 1-line block ×4, first 2 shown]
	v_ashrrev_i32_e32 v63, 31, v62
	v_ashrrev_i32_e32 v65, 31, v64
	;; [unrolled: 1-line block ×4, first 2 shown]
	s_waitcnt lgkmcnt(0)
	v_lshl_add_u64 v[62:63], v[62:63], 1, s[4:5]
	v_lshl_add_u64 v[64:65], v[64:65], 1, s[4:5]
	;; [unrolled: 1-line block ×4, first 2 shown]
	global_load_dwordx2 v[70:71], v[62:63], off
	global_load_dwordx2 v[72:73], v[64:65], off
	global_load_dwordx2 v[74:75], v[66:67], off
	global_load_dwordx2 v[76:77], v[68:69], off
	v_cvt_f32_f16_sdwa v83, v42 dst_sel:DWORD dst_unused:UNUSED_PAD src0_sel:WORD_1
	v_cvt_f32_f16_e32 v82, v42
	v_cvt_f32_f16_sdwa v61, v9 dst_sel:DWORD dst_unused:UNUSED_PAD src0_sel:WORD_1
	v_cvt_f32_f16_e32 v60, v9
	;; [unrolled: 2-line block ×20, first 2 shown]
	s_waitcnt vmcnt(3)
	v_cvt_f32_f16_e32 v42, v70
	v_cvt_f32_f16_sdwa v70, v70 dst_sel:DWORD dst_unused:UNUSED_PAD src0_sel:WORD_1
	v_cvt_f32_f16_e32 v86, v71
	v_cvt_f32_f16_sdwa v88, v71 dst_sel:DWORD dst_unused:UNUSED_PAD src0_sel:WORD_1
	s_waitcnt vmcnt(2)
	v_cvt_f32_f16_e32 v90, v72
	v_pk_fma_f32 v[30:31], v[44:45], v[42:43], v[30:31] op_sel_hi:[1,0,1]
	v_pk_fma_f32 v[32:33], v[52:53], v[42:43], v[32:33] op_sel_hi:[1,0,1]
	v_cvt_f32_f16_sdwa v72, v72 dst_sel:DWORD dst_unused:UNUSED_PAD src0_sel:WORD_1
	v_pk_fma_f32 v[30:31], v[46:47], v[70:71], v[30:31] op_sel_hi:[1,0,1]
	v_pk_fma_f32 v[0:1], v[0:1], v[70:71], v[32:33] op_sel_hi:[1,0,1]
	v_cvt_f32_f16_e32 v44, v73
	v_pk_fma_f32 v[30:31], v[48:49], v[86:87], v[30:31] op_sel_hi:[1,0,1]
	v_pk_fma_f32 v[0:1], v[2:3], v[86:87], v[0:1] op_sel_hi:[1,0,1]
	v_cvt_f32_f16_sdwa v92, v73 dst_sel:DWORD dst_unused:UNUSED_PAD src0_sel:WORD_1
	v_pk_fma_f32 v[2:3], v[50:51], v[88:89], v[30:31] op_sel_hi:[1,0,1]
	v_pk_fma_f32 v[0:1], v[4:5], v[88:89], v[0:1] op_sel_hi:[1,0,1]
	s_waitcnt vmcnt(1)
	v_cvt_f32_f16_e32 v42, v74
	v_pk_fma_f32 v[2:3], v[6:7], v[90:91], v[2:3] op_sel_hi:[1,0,1]
	v_pk_fma_f32 v[0:1], v[60:61], v[90:91], v[0:1] op_sel_hi:[1,0,1]
	v_cvt_f32_f16_sdwa v52, v74 dst_sel:DWORD dst_unused:UNUSED_PAD src0_sel:WORD_1
	v_pk_fma_f32 v[2:3], v[54:55], v[72:73], v[2:3] op_sel_hi:[1,0,1]
	v_pk_fma_f32 v[0:1], v[8:9], v[72:73], v[0:1] op_sel_hi:[1,0,1]
	v_cvt_f32_f16_e32 v46, v75
	v_pk_fma_f32 v[2:3], v[56:57], v[44:45], v[2:3] op_sel_hi:[1,0,1]
	v_pk_fma_f32 v[0:1], v[10:11], v[44:45], v[0:1] op_sel_hi:[1,0,1]
	v_cvt_f32_f16_sdwa v74, v75 dst_sel:DWORD dst_unused:UNUSED_PAD src0_sel:WORD_1
	v_pk_fma_f32 v[2:3], v[58:59], v[92:93], v[2:3] op_sel_hi:[1,0,1]
	v_pk_fma_f32 v[0:1], v[12:13], v[92:93], v[0:1] op_sel_hi:[1,0,1]
	;; [unrolled: 13-line block ×3, first 2 shown]
	v_pk_fma_f32 v[2:3], v[22:23], v[32:33], v[2:3] op_sel_hi:[1,0,1]
	v_pk_fma_f32 v[0:1], v[80:81], v[32:33], v[0:1] op_sel_hi:[1,0,1]
	;; [unrolled: 1-line block ×8, first 2 shown]
	s_andn2_b64 exec, exec, s[10:11]
	s_cbranch_execnz .LBB90_33
; %bb.34:
	s_or_b64 exec, exec, s[10:11]
.LBB90_35:
	s_or_b64 exec, exec, s[2:3]
.LBB90_36:
	s_or_b64 exec, exec, s[6:7]
.LBB90_37:
	v_mov_b32_dpp v0, v30 row_shr:1 row_mask:0xf bank_mask:0xf
	v_mov_b32_dpp v1, v31 row_shr:1 row_mask:0xf bank_mask:0xf
	;; [unrolled: 1-line block ×4, first 2 shown]
	v_pk_add_f32 v[0:1], v[30:31], v[0:1]
	v_pk_add_f32 v[4:5], v[32:33], v[4:5]
	v_cmp_eq_u32_e32 vcc, 3, v25
	v_mov_b32_dpp v2, v0 row_shr:2 row_mask:0xf bank_mask:0xf
	v_mov_b32_dpp v3, v1 row_shr:2 row_mask:0xf bank_mask:0xf
	;; [unrolled: 1-line block ×4, first 2 shown]
	s_and_b64 exec, exec, vcc
	s_cbranch_execz .LBB90_10
; %bb.38:
	s_load_dwordx2 s[0:1], s[0:1], 0x50
	v_cmp_eq_f32_e64 s[2:3], s14, 0
	v_pk_add_f32 v[2:3], v[0:1], v[2:3]
	v_pk_add_f32 v[0:1], v[4:5], v[6:7]
	s_and_b64 vcc, exec, s[2:3]
	v_lshlrev_b32_e32 v4, 2, v24
	s_cbranch_vccz .LBB90_40
; %bb.39:
	v_ashrrev_i32_e32 v5, 31, v4
	s_waitcnt lgkmcnt(0)
	v_lshl_add_u64 v[10:11], v[4:5], 2, s[0:1]
	v_pk_mul_f32 v[6:7], s[12:13], v[2:3] op_sel_hi:[0,1]
	v_pk_mul_f32 v[8:9], s[12:13], v[0:1] op_sel_hi:[0,1]
	global_store_dwordx4 v[10:11], v[6:9], off
	s_cbranch_execnz .LBB90_10
	s_branch .LBB90_41
.LBB90_40:
.LBB90_41:
	v_ashrrev_i32_e32 v5, 31, v4
	s_waitcnt lgkmcnt(0)
	v_lshl_add_u64 v[8:9], v[4:5], 2, s[0:1]
	global_load_dwordx4 v[4:7], v[8:9], off
	v_pk_mul_f32 v[2:3], s[12:13], v[2:3] op_sel_hi:[0,1]
	v_pk_mul_f32 v[10:11], s[12:13], v[0:1] op_sel_hi:[0,1]
	s_waitcnt vmcnt(0)
	v_pk_fma_f32 v[0:1], s[14:15], v[4:5], v[2:3] op_sel_hi:[0,1,1]
	v_pk_fma_f32 v[2:3], s[14:15], v[6:7], v[10:11] op_sel_hi:[0,1,1]
	global_store_dwordx4 v[8:9], v[0:3], off
	s_endpgm
	.section	.rodata,"a",@progbits
	.p2align	6, 0x0
	.amdhsa_kernel _ZN9rocsparseL18bsrxmvn_4x4_kernelILj128ELj4EfiiDF16_DF16_fEEvT3_20rocsparse_direction_NS_24const_host_device_scalarIT1_EES1_PKS1_PKT2_SA_S7_PKT4_PKT5_S5_PT6_21rocsparse_index_base_b
		.amdhsa_group_segment_fixed_size 0
		.amdhsa_private_segment_fixed_size 0
		.amdhsa_kernarg_size 96
		.amdhsa_user_sgpr_count 2
		.amdhsa_user_sgpr_dispatch_ptr 0
		.amdhsa_user_sgpr_queue_ptr 0
		.amdhsa_user_sgpr_kernarg_segment_ptr 1
		.amdhsa_user_sgpr_dispatch_id 0
		.amdhsa_user_sgpr_kernarg_preload_length 0
		.amdhsa_user_sgpr_kernarg_preload_offset 0
		.amdhsa_user_sgpr_private_segment_size 0
		.amdhsa_uses_dynamic_stack 0
		.amdhsa_enable_private_segment 0
		.amdhsa_system_sgpr_workgroup_id_x 1
		.amdhsa_system_sgpr_workgroup_id_y 0
		.amdhsa_system_sgpr_workgroup_id_z 0
		.amdhsa_system_sgpr_workgroup_info 0
		.amdhsa_system_vgpr_workitem_id 0
		.amdhsa_next_free_vgpr 100
		.amdhsa_next_free_sgpr 22
		.amdhsa_accum_offset 100
		.amdhsa_reserve_vcc 1
		.amdhsa_float_round_mode_32 0
		.amdhsa_float_round_mode_16_64 0
		.amdhsa_float_denorm_mode_32 3
		.amdhsa_float_denorm_mode_16_64 3
		.amdhsa_dx10_clamp 1
		.amdhsa_ieee_mode 1
		.amdhsa_fp16_overflow 0
		.amdhsa_tg_split 0
		.amdhsa_exception_fp_ieee_invalid_op 0
		.amdhsa_exception_fp_denorm_src 0
		.amdhsa_exception_fp_ieee_div_zero 0
		.amdhsa_exception_fp_ieee_overflow 0
		.amdhsa_exception_fp_ieee_underflow 0
		.amdhsa_exception_fp_ieee_inexact 0
		.amdhsa_exception_int_div_zero 0
	.end_amdhsa_kernel
	.section	.text._ZN9rocsparseL18bsrxmvn_4x4_kernelILj128ELj4EfiiDF16_DF16_fEEvT3_20rocsparse_direction_NS_24const_host_device_scalarIT1_EES1_PKS1_PKT2_SA_S7_PKT4_PKT5_S5_PT6_21rocsparse_index_base_b,"axG",@progbits,_ZN9rocsparseL18bsrxmvn_4x4_kernelILj128ELj4EfiiDF16_DF16_fEEvT3_20rocsparse_direction_NS_24const_host_device_scalarIT1_EES1_PKS1_PKT2_SA_S7_PKT4_PKT5_S5_PT6_21rocsparse_index_base_b,comdat
.Lfunc_end90:
	.size	_ZN9rocsparseL18bsrxmvn_4x4_kernelILj128ELj4EfiiDF16_DF16_fEEvT3_20rocsparse_direction_NS_24const_host_device_scalarIT1_EES1_PKS1_PKT2_SA_S7_PKT4_PKT5_S5_PT6_21rocsparse_index_base_b, .Lfunc_end90-_ZN9rocsparseL18bsrxmvn_4x4_kernelILj128ELj4EfiiDF16_DF16_fEEvT3_20rocsparse_direction_NS_24const_host_device_scalarIT1_EES1_PKS1_PKT2_SA_S7_PKT4_PKT5_S5_PT6_21rocsparse_index_base_b
                                        ; -- End function
	.set _ZN9rocsparseL18bsrxmvn_4x4_kernelILj128ELj4EfiiDF16_DF16_fEEvT3_20rocsparse_direction_NS_24const_host_device_scalarIT1_EES1_PKS1_PKT2_SA_S7_PKT4_PKT5_S5_PT6_21rocsparse_index_base_b.num_vgpr, 100
	.set _ZN9rocsparseL18bsrxmvn_4x4_kernelILj128ELj4EfiiDF16_DF16_fEEvT3_20rocsparse_direction_NS_24const_host_device_scalarIT1_EES1_PKS1_PKT2_SA_S7_PKT4_PKT5_S5_PT6_21rocsparse_index_base_b.num_agpr, 0
	.set _ZN9rocsparseL18bsrxmvn_4x4_kernelILj128ELj4EfiiDF16_DF16_fEEvT3_20rocsparse_direction_NS_24const_host_device_scalarIT1_EES1_PKS1_PKT2_SA_S7_PKT4_PKT5_S5_PT6_21rocsparse_index_base_b.numbered_sgpr, 22
	.set _ZN9rocsparseL18bsrxmvn_4x4_kernelILj128ELj4EfiiDF16_DF16_fEEvT3_20rocsparse_direction_NS_24const_host_device_scalarIT1_EES1_PKS1_PKT2_SA_S7_PKT4_PKT5_S5_PT6_21rocsparse_index_base_b.num_named_barrier, 0
	.set _ZN9rocsparseL18bsrxmvn_4x4_kernelILj128ELj4EfiiDF16_DF16_fEEvT3_20rocsparse_direction_NS_24const_host_device_scalarIT1_EES1_PKS1_PKT2_SA_S7_PKT4_PKT5_S5_PT6_21rocsparse_index_base_b.private_seg_size, 0
	.set _ZN9rocsparseL18bsrxmvn_4x4_kernelILj128ELj4EfiiDF16_DF16_fEEvT3_20rocsparse_direction_NS_24const_host_device_scalarIT1_EES1_PKS1_PKT2_SA_S7_PKT4_PKT5_S5_PT6_21rocsparse_index_base_b.uses_vcc, 1
	.set _ZN9rocsparseL18bsrxmvn_4x4_kernelILj128ELj4EfiiDF16_DF16_fEEvT3_20rocsparse_direction_NS_24const_host_device_scalarIT1_EES1_PKS1_PKT2_SA_S7_PKT4_PKT5_S5_PT6_21rocsparse_index_base_b.uses_flat_scratch, 0
	.set _ZN9rocsparseL18bsrxmvn_4x4_kernelILj128ELj4EfiiDF16_DF16_fEEvT3_20rocsparse_direction_NS_24const_host_device_scalarIT1_EES1_PKS1_PKT2_SA_S7_PKT4_PKT5_S5_PT6_21rocsparse_index_base_b.has_dyn_sized_stack, 0
	.set _ZN9rocsparseL18bsrxmvn_4x4_kernelILj128ELj4EfiiDF16_DF16_fEEvT3_20rocsparse_direction_NS_24const_host_device_scalarIT1_EES1_PKS1_PKT2_SA_S7_PKT4_PKT5_S5_PT6_21rocsparse_index_base_b.has_recursion, 0
	.set _ZN9rocsparseL18bsrxmvn_4x4_kernelILj128ELj4EfiiDF16_DF16_fEEvT3_20rocsparse_direction_NS_24const_host_device_scalarIT1_EES1_PKS1_PKT2_SA_S7_PKT4_PKT5_S5_PT6_21rocsparse_index_base_b.has_indirect_call, 0
	.section	.AMDGPU.csdata,"",@progbits
; Kernel info:
; codeLenInByte = 3672
; TotalNumSgprs: 28
; NumVgprs: 100
; NumAgprs: 0
; TotalNumVgprs: 100
; ScratchSize: 0
; MemoryBound: 0
; FloatMode: 240
; IeeeMode: 1
; LDSByteSize: 0 bytes/workgroup (compile time only)
; SGPRBlocks: 3
; VGPRBlocks: 12
; NumSGPRsForWavesPerEU: 28
; NumVGPRsForWavesPerEU: 100
; AccumOffset: 100
; Occupancy: 4
; WaveLimiterHint : 1
; COMPUTE_PGM_RSRC2:SCRATCH_EN: 0
; COMPUTE_PGM_RSRC2:USER_SGPR: 2
; COMPUTE_PGM_RSRC2:TRAP_HANDLER: 0
; COMPUTE_PGM_RSRC2:TGID_X_EN: 1
; COMPUTE_PGM_RSRC2:TGID_Y_EN: 0
; COMPUTE_PGM_RSRC2:TGID_Z_EN: 0
; COMPUTE_PGM_RSRC2:TIDIG_COMP_CNT: 0
; COMPUTE_PGM_RSRC3_GFX90A:ACCUM_OFFSET: 24
; COMPUTE_PGM_RSRC3_GFX90A:TG_SPLIT: 0
	.section	.text._ZN9rocsparseL18bsrxmvn_4x4_kernelILj128ELj8EfiiDF16_DF16_fEEvT3_20rocsparse_direction_NS_24const_host_device_scalarIT1_EES1_PKS1_PKT2_SA_S7_PKT4_PKT5_S5_PT6_21rocsparse_index_base_b,"axG",@progbits,_ZN9rocsparseL18bsrxmvn_4x4_kernelILj128ELj8EfiiDF16_DF16_fEEvT3_20rocsparse_direction_NS_24const_host_device_scalarIT1_EES1_PKS1_PKT2_SA_S7_PKT4_PKT5_S5_PT6_21rocsparse_index_base_b,comdat
	.globl	_ZN9rocsparseL18bsrxmvn_4x4_kernelILj128ELj8EfiiDF16_DF16_fEEvT3_20rocsparse_direction_NS_24const_host_device_scalarIT1_EES1_PKS1_PKT2_SA_S7_PKT4_PKT5_S5_PT6_21rocsparse_index_base_b ; -- Begin function _ZN9rocsparseL18bsrxmvn_4x4_kernelILj128ELj8EfiiDF16_DF16_fEEvT3_20rocsparse_direction_NS_24const_host_device_scalarIT1_EES1_PKS1_PKT2_SA_S7_PKT4_PKT5_S5_PT6_21rocsparse_index_base_b
	.p2align	8
	.type	_ZN9rocsparseL18bsrxmvn_4x4_kernelILj128ELj8EfiiDF16_DF16_fEEvT3_20rocsparse_direction_NS_24const_host_device_scalarIT1_EES1_PKS1_PKT2_SA_S7_PKT4_PKT5_S5_PT6_21rocsparse_index_base_b,@function
_ZN9rocsparseL18bsrxmvn_4x4_kernelILj128ELj8EfiiDF16_DF16_fEEvT3_20rocsparse_direction_NS_24const_host_device_scalarIT1_EES1_PKS1_PKT2_SA_S7_PKT4_PKT5_S5_PT6_21rocsparse_index_base_b: ; @_ZN9rocsparseL18bsrxmvn_4x4_kernelILj128ELj8EfiiDF16_DF16_fEEvT3_20rocsparse_direction_NS_24const_host_device_scalarIT1_EES1_PKS1_PKT2_SA_S7_PKT4_PKT5_S5_PT6_21rocsparse_index_base_b
; %bb.0:
	s_load_dwordx2 s[16:17], s[0:1], 0x58
	s_load_dwordx2 s[12:13], s[0:1], 0x8
	;; [unrolled: 1-line block ×3, first 2 shown]
	s_waitcnt lgkmcnt(0)
	s_bitcmp1_b32 s17, 0
	s_cselect_b64 s[6:7], -1, 0
	s_xor_b64 s[4:5], s[6:7], -1
	s_and_b64 vcc, exec, s[6:7]
	s_cbranch_vccnz .LBB91_2
; %bb.1:
	s_load_dword s12, s[12:13], 0x0
.LBB91_2:
	s_andn2_b64 vcc, exec, s[4:5]
	s_cbranch_vccnz .LBB91_4
; %bb.3:
	s_load_dword s14, s[14:15], 0x0
.LBB91_4:
	s_waitcnt lgkmcnt(0)
	v_cmp_neq_f32_e64 s[4:5], s12, 0
	v_cmp_neq_f32_e64 s[6:7], s14, 1.0
	s_or_b64 s[4:5], s[4:5], s[6:7]
	s_andn2_b64 vcc, exec, s[4:5]
	s_cbranch_vccnz .LBB91_10
; %bb.5:
	s_load_dwordx2 s[4:5], s[0:1], 0x18
	s_load_dwordx2 s[18:19], s[0:1], 0x0
	v_lshrrev_b32_e32 v1, 3, v0
	v_lshl_or_b32 v24, s2, 4, v1
	s_mov_b64 s[2:3], 0
	s_waitcnt lgkmcnt(0)
	s_cmp_lg_u64 s[4:5], 0
	s_cbranch_scc0 .LBB91_11
; %bb.6:
	s_load_dword s6, s[0:1], 0x10
                                        ; implicit-def: $vgpr1
	s_waitcnt lgkmcnt(0)
	v_cmp_gt_i32_e32 vcc, s6, v24
	s_and_saveexec_b64 s[6:7], vcc
	s_xor_b64 s[6:7], exec, s[6:7]
	s_cbranch_execz .LBB91_8
; %bb.7:
	v_ashrrev_i32_e32 v25, 31, v24
	v_lshl_add_u64 v[2:3], v[24:25], 2, s[4:5]
	global_load_dword v1, v[2:3], off
	s_mov_b64 s[2:3], exec
	s_waitcnt vmcnt(0)
	v_subrev_u32_e32 v1, s16, v1
.LBB91_8:
	s_or_b64 exec, exec, s[6:7]
	s_branch .LBB91_12
.LBB91_9:
	v_cmp_gt_i32_e32 vcc, s18, v24
	s_andn2_b64 s[2:3], s[2:3], exec
	s_and_b64 s[4:5], vcc, exec
	s_or_b64 s[2:3], s[2:3], s[4:5]
	s_and_saveexec_b64 s[4:5], s[2:3]
	s_cbranch_execnz .LBB91_13
.LBB91_10:
	s_endpgm
.LBB91_11:
                                        ; implicit-def: $vgpr1
	s_cbranch_execnz .LBB91_9
.LBB91_12:
	v_mov_b32_e32 v24, v1
	s_and_saveexec_b64 s[4:5], s[2:3]
	s_cbranch_execz .LBB91_10
.LBB91_13:
	s_load_dwordx8 s[4:11], s[0:1], 0x20
	v_ashrrev_i32_e32 v25, 31, v24
	v_lshlrev_b64 v[2:3], 2, v[24:25]
	v_and_b32_e32 v25, 7, v0
	s_waitcnt lgkmcnt(0)
	v_lshl_add_u64 v[6:7], s[4:5], 0, v[2:3]
	s_cmp_eq_u64 s[6:7], 0
	global_load_dword v4, v[6:7], off
	v_lshl_add_u64 v[6:7], v[6:7], 0, 4
	v_lshl_add_u64 v[2:3], s[6:7], 0, v[2:3]
	s_cselect_b64 vcc, -1, 0
	v_cndmask_b32_e32 v3, v3, v7, vcc
	v_cndmask_b32_e32 v2, v2, v6, vcc
	global_load_dword v1, v[2:3], off
	s_load_dwordx2 s[4:5], s[0:1], 0x40
	s_cmp_eq_u32 s19, 1
	s_waitcnt vmcnt(1)
	v_subrev_u32_e32 v0, s16, v4
	v_add_u32_e32 v26, v0, v25
	v_ashrrev_i32_e32 v27, 31, v26
	s_waitcnt vmcnt(0)
	v_subrev_u32_e32 v34, s16, v1
	v_lshlrev_b64 v[0:1], 5, v[26:27]
	v_lshl_add_u64 v[28:29], s[10:11], 0, v[0:1]
	v_cmp_lt_i32_e64 s[2:3], v26, v34
	s_cbranch_scc1 .LBB91_25
; %bb.14:
	v_mov_b32_e32 v33, 0
	v_mov_b32_e32 v32, 0
	;; [unrolled: 1-line block ×4, first 2 shown]
	s_and_saveexec_b64 s[6:7], s[2:3]
	s_cbranch_execz .LBB91_24
; %bb.15:
	v_add_u32_e32 v0, v4, v25
	v_subrev_u32_e32 v0, s16, v0
	v_add_u32_e32 v0, 8, v0
	v_max_i32_e32 v0, v0, v34
	v_not_b32_e32 v1, v4
	v_add3_u32 v0, s16, v0, v1
	v_sub_u32_e32 v5, v0, v25
	v_mov_b32_e32 v30, 0
	v_and_b32_e32 v0, 24, v5
	v_mov_b32_e32 v31, v30
	v_cmp_ne_u32_e32 vcc, 24, v0
	v_mov_b64_e32 v[32:33], v[30:31]
	v_mov_b32_e32 v0, v26
	v_mov_b64_e32 v[2:3], v[28:29]
	s_and_saveexec_b64 s[10:11], vcc
	s_cbranch_execz .LBB91_19
; %bb.16:
	v_lshrrev_b32_e32 v0, 3, v5
	v_add_u32_e32 v0, 1, v0
	v_and_b32_e32 v0, 3, v0
	v_sub_u32_e32 v6, 0, v0
	s_mov_b64 s[18:19], 0
	s_mov_b64 s[20:21], 0x100
	v_mov_b64_e32 v[2:3], v[28:29]
	v_mov_b32_e32 v0, v26
	v_mov_b32_e32 v31, v30
	;; [unrolled: 1-line block ×4, first 2 shown]
.LBB91_17:                              ; =>This Inner Loop Header: Depth=1
	v_ashrrev_i32_e32 v1, 31, v0
	v_lshl_add_u64 v[16:17], v[0:1], 2, s[8:9]
	global_load_dword v1, v[16:17], off
	global_load_dwordx4 v[8:11], v[2:3], off
	global_load_dwordx4 v[12:15], v[2:3], off offset:16
	v_add_co_u32_e32 v6, vcc, 1, v6
	v_lshl_add_u64 v[2:3], v[2:3], 0, s[20:21]
	v_add_u32_e32 v0, 8, v0
	s_or_b64 s[18:19], vcc, s[18:19]
	s_waitcnt vmcnt(2)
	v_subrev_u32_e32 v1, s16, v1
	v_lshlrev_b32_e32 v16, 2, v1
	v_ashrrev_i32_e32 v17, 31, v16
	s_waitcnt lgkmcnt(0)
	v_lshl_add_u64 v[16:17], v[16:17], 1, s[4:5]
	global_load_dwordx2 v[16:17], v[16:17], off
	s_waitcnt vmcnt(2)
	v_cvt_f32_f16_e32 v19, v10
	v_cvt_f32_f16_e32 v18, v8
	v_cvt_f32_f16_sdwa v21, v10 dst_sel:DWORD dst_unused:UNUSED_PAD src0_sel:WORD_1
	v_cvt_f32_f16_sdwa v20, v8 dst_sel:DWORD dst_unused:UNUSED_PAD src0_sel:WORD_1
	v_cvt_f32_f16_e32 v22, v9
	v_cvt_f32_f16_sdwa v10, v9 dst_sel:DWORD dst_unused:UNUSED_PAD src0_sel:WORD_1
	s_waitcnt vmcnt(1)
	v_cvt_f32_f16_e32 v9, v14
	v_cvt_f32_f16_e32 v8, v12
	v_cvt_f32_f16_sdwa v36, v12 dst_sel:DWORD dst_unused:UNUSED_PAD src0_sel:WORD_1
	v_cvt_f32_f16_sdwa v37, v14 dst_sel:DWORD dst_unused:UNUSED_PAD src0_sel:WORD_1
	v_cvt_f32_f16_e32 v23, v11
	v_cvt_f32_f16_e32 v39, v15
	;; [unrolled: 1-line block ×3, first 2 shown]
	v_cvt_f32_f16_sdwa v11, v11 dst_sel:DWORD dst_unused:UNUSED_PAD src0_sel:WORD_1
	v_cvt_f32_f16_sdwa v15, v15 dst_sel:DWORD dst_unused:UNUSED_PAD src0_sel:WORD_1
	;; [unrolled: 1-line block ×3, first 2 shown]
	s_waitcnt vmcnt(0)
	v_cvt_f32_f16_e32 v12, v16
	v_cvt_f32_f16_sdwa v16, v16 dst_sel:DWORD dst_unused:UNUSED_PAD src0_sel:WORD_1
	v_cvt_f32_f16_e32 v40, v17
	v_cvt_f32_f16_sdwa v42, v17 dst_sel:DWORD dst_unused:UNUSED_PAD src0_sel:WORD_1
	v_pk_fma_f32 v[18:19], v[18:19], v[12:13], v[30:31] op_sel_hi:[1,0,1]
	v_pk_fma_f32 v[8:9], v[8:9], v[12:13], v[32:33] op_sel_hi:[1,0,1]
	;; [unrolled: 1-line block ×8, first 2 shown]
	s_andn2_b64 exec, exec, s[18:19]
	s_cbranch_execnz .LBB91_17
; %bb.18:
	s_or_b64 exec, exec, s[18:19]
.LBB91_19:
	s_or_b64 exec, exec, s[10:11]
	v_cmp_lt_u32_e32 vcc, 23, v5
	s_and_saveexec_b64 s[10:11], vcc
	s_cbranch_execz .LBB91_23
; %bb.20:
	s_mov_b64 s[18:19], 0
	s_mov_b64 s[20:21], 0x400
.LBB91_21:                              ; =>This Inner Loop Header: Depth=1
	v_ashrrev_i32_e32 v1, 31, v0
	v_lshl_add_u64 v[22:23], v[0:1], 2, s[8:9]
	global_load_dwordx4 v[6:9], v[2:3], off
	global_load_dwordx4 v[10:13], v[2:3], off offset:16
	global_load_dwordx4 v[14:17], v[2:3], off offset:256
	;; [unrolled: 1-line block ×7, first 2 shown]
	global_load_dword v1, v[22:23], off
	global_load_dword v5, v[22:23], off offset:32
	global_load_dword v27, v[22:23], off offset:64
	;; [unrolled: 1-line block ×3, first 2 shown]
	v_add_u32_e32 v0, 32, v0
	v_cmp_ge_i32_e32 vcc, v0, v34
	v_lshl_add_u64 v[2:3], v[2:3], 0, s[20:21]
	s_or_b64 s[18:19], vcc, s[18:19]
	s_waitcnt vmcnt(9)
	v_cvt_f32_f16_sdwa v60, v14 dst_sel:DWORD dst_unused:UNUSED_PAD src0_sel:WORD_1
	v_cvt_f32_f16_sdwa v61, v16 dst_sel:DWORD dst_unused:UNUSED_PAD src0_sel:WORD_1
	v_cvt_f32_f16_e32 v62, v15
	s_waitcnt vmcnt(3)
	v_subrev_u32_e32 v1, s16, v1
	v_cvt_f32_f16_e32 v22, v6
	v_cvt_f32_f16_sdwa v52, v6 dst_sel:DWORD dst_unused:UNUSED_PAD src0_sel:WORD_1
	v_cvt_f32_f16_e32 v6, v10
	v_cvt_f32_f16_sdwa v56, v10 dst_sel:DWORD dst_unused:UNUSED_PAD src0_sel:WORD_1
	v_cvt_f32_f16_e32 v10, v14
	s_waitcnt vmcnt(2)
	v_subrev_u32_e32 v5, s16, v5
	s_waitcnt vmcnt(1)
	v_subrev_u32_e32 v14, s16, v27
	;; [unrolled: 2-line block ×3, first 2 shown]
	v_lshlrev_b32_e32 v64, 2, v1
	v_lshlrev_b32_e32 v66, 2, v5
	;; [unrolled: 1-line block ×4, first 2 shown]
	v_ashrrev_i32_e32 v65, 31, v64
	v_ashrrev_i32_e32 v67, 31, v66
	;; [unrolled: 1-line block ×4, first 2 shown]
	s_waitcnt lgkmcnt(0)
	v_lshl_add_u64 v[64:65], v[64:65], 1, s[4:5]
	v_lshl_add_u64 v[66:67], v[66:67], 1, s[4:5]
	;; [unrolled: 1-line block ×4, first 2 shown]
	global_load_dwordx2 v[72:73], v[64:65], off
	global_load_dwordx2 v[74:75], v[66:67], off
	;; [unrolled: 1-line block ×4, first 2 shown]
	v_cvt_f32_f16_e32 v23, v8
	v_cvt_f32_f16_sdwa v53, v8 dst_sel:DWORD dst_unused:UNUSED_PAD src0_sel:WORD_1
	v_cvt_f32_f16_e32 v54, v7
	v_cvt_f32_f16_sdwa v8, v7 dst_sel:DWORD dst_unused:UNUSED_PAD src0_sel:WORD_1
	v_cvt_f32_f16_e32 v7, v12
	v_cvt_f32_f16_e32 v14, v18
	v_cvt_f32_f16_sdwa v64, v18 dst_sel:DWORD dst_unused:UNUSED_PAD src0_sel:WORD_1
	v_cvt_f32_f16_e32 v18, v36
	v_cvt_f32_f16_sdwa v68, v36 dst_sel:DWORD dst_unused:UNUSED_PAD src0_sel:WORD_1
	;; [unrolled: 2-line block ×5, first 2 shown]
	v_cvt_f32_f16_sdwa v57, v12 dst_sel:DWORD dst_unused:UNUSED_PAD src0_sel:WORD_1
	v_cvt_f32_f16_e32 v55, v9
	v_cvt_f32_f16_e32 v59, v13
	;; [unrolled: 1-line block ×3, first 2 shown]
	v_cvt_f32_f16_sdwa v9, v9 dst_sel:DWORD dst_unused:UNUSED_PAD src0_sel:WORD_1
	v_cvt_f32_f16_sdwa v13, v13 dst_sel:DWORD dst_unused:UNUSED_PAD src0_sel:WORD_1
	;; [unrolled: 1-line block ×3, first 2 shown]
	v_cvt_f32_f16_e32 v11, v16
	v_cvt_f32_f16_sdwa v16, v15 dst_sel:DWORD dst_unused:UNUSED_PAD src0_sel:WORD_1
	v_cvt_f32_f16_e32 v15, v20
	v_cvt_f32_f16_sdwa v65, v20 dst_sel:DWORD dst_unused:UNUSED_PAD src0_sel:WORD_1
	v_cvt_f32_f16_e32 v63, v17
	v_cvt_f32_f16_e32 v67, v21
	;; [unrolled: 1-line block ×3, first 2 shown]
	v_cvt_f32_f16_sdwa v17, v17 dst_sel:DWORD dst_unused:UNUSED_PAD src0_sel:WORD_1
	v_cvt_f32_f16_sdwa v21, v21 dst_sel:DWORD dst_unused:UNUSED_PAD src0_sel:WORD_1
	;; [unrolled: 1-line block ×3, first 2 shown]
	v_cvt_f32_f16_e32 v19, v38
	v_cvt_f32_f16_sdwa v69, v38 dst_sel:DWORD dst_unused:UNUSED_PAD src0_sel:WORD_1
	v_cvt_f32_f16_e32 v70, v37
	v_cvt_f32_f16_sdwa v38, v37 dst_sel:DWORD dst_unused:UNUSED_PAD src0_sel:WORD_1
	;; [unrolled: 2-line block ×3, first 2 shown]
	v_cvt_f32_f16_e32 v71, v39
	v_cvt_f32_f16_e32 v83, v43
	;; [unrolled: 1-line block ×3, first 2 shown]
	v_cvt_f32_f16_sdwa v39, v39 dst_sel:DWORD dst_unused:UNUSED_PAD src0_sel:WORD_1
	v_cvt_f32_f16_sdwa v43, v43 dst_sel:DWORD dst_unused:UNUSED_PAD src0_sel:WORD_1
	;; [unrolled: 1-line block ×3, first 2 shown]
	v_cvt_f32_f16_e32 v41, v46
	v_cvt_f32_f16_sdwa v85, v46 dst_sel:DWORD dst_unused:UNUSED_PAD src0_sel:WORD_1
	v_cvt_f32_f16_e32 v86, v45
	v_cvt_f32_f16_sdwa v46, v45 dst_sel:DWORD dst_unused:UNUSED_PAD src0_sel:WORD_1
	;; [unrolled: 2-line block ×3, first 2 shown]
	v_cvt_f32_f16_e32 v87, v47
	v_cvt_f32_f16_e32 v91, v51
	;; [unrolled: 1-line block ×3, first 2 shown]
	v_cvt_f32_f16_sdwa v47, v47 dst_sel:DWORD dst_unused:UNUSED_PAD src0_sel:WORD_1
	v_cvt_f32_f16_sdwa v51, v51 dst_sel:DWORD dst_unused:UNUSED_PAD src0_sel:WORD_1
	;; [unrolled: 1-line block ×3, first 2 shown]
	s_waitcnt vmcnt(3)
	v_cvt_f32_f16_e32 v48, v72
	v_cvt_f32_f16_sdwa v72, v72 dst_sel:DWORD dst_unused:UNUSED_PAD src0_sel:WORD_1
	v_cvt_f32_f16_e32 v92, v73
	v_cvt_f32_f16_sdwa v94, v73 dst_sel:DWORD dst_unused:UNUSED_PAD src0_sel:WORD_1
	s_waitcnt vmcnt(2)
	v_cvt_f32_f16_e32 v96, v74
	v_pk_fma_f32 v[22:23], v[22:23], v[48:49], v[30:31] op_sel_hi:[1,0,1]
	v_pk_fma_f32 v[6:7], v[6:7], v[48:49], v[32:33] op_sel_hi:[1,0,1]
	v_cvt_f32_f16_sdwa v74, v74 dst_sel:DWORD dst_unused:UNUSED_PAD src0_sel:WORD_1
	v_pk_fma_f32 v[22:23], v[52:53], v[72:73], v[22:23] op_sel_hi:[1,0,1]
	v_pk_fma_f32 v[6:7], v[56:57], v[72:73], v[6:7] op_sel_hi:[1,0,1]
	v_cvt_f32_f16_e32 v30, v75
	v_pk_fma_f32 v[22:23], v[54:55], v[92:93], v[22:23] op_sel_hi:[1,0,1]
	v_pk_fma_f32 v[6:7], v[58:59], v[92:93], v[6:7] op_sel_hi:[1,0,1]
	v_cvt_f32_f16_sdwa v98, v75 dst_sel:DWORD dst_unused:UNUSED_PAD src0_sel:WORD_1
	v_pk_fma_f32 v[8:9], v[8:9], v[94:95], v[22:23] op_sel_hi:[1,0,1]
	v_pk_fma_f32 v[6:7], v[12:13], v[94:95], v[6:7] op_sel_hi:[1,0,1]
	s_waitcnt vmcnt(1)
	v_cvt_f32_f16_e32 v32, v76
	v_pk_fma_f32 v[8:9], v[10:11], v[96:97], v[8:9] op_sel_hi:[1,0,1]
	v_pk_fma_f32 v[6:7], v[14:15], v[96:97], v[6:7] op_sel_hi:[1,0,1]
	v_cvt_f32_f16_sdwa v48, v76 dst_sel:DWORD dst_unused:UNUSED_PAD src0_sel:WORD_1
	v_pk_fma_f32 v[8:9], v[60:61], v[74:75], v[8:9] op_sel_hi:[1,0,1]
	v_pk_fma_f32 v[6:7], v[64:65], v[74:75], v[6:7] op_sel_hi:[1,0,1]
	v_cvt_f32_f16_e32 v52, v77
	v_pk_fma_f32 v[8:9], v[62:63], v[30:31], v[8:9] op_sel_hi:[1,0,1]
	v_pk_fma_f32 v[6:7], v[66:67], v[30:31], v[6:7] op_sel_hi:[1,0,1]
	v_cvt_f32_f16_sdwa v76, v77 dst_sel:DWORD dst_unused:UNUSED_PAD src0_sel:WORD_1
	v_pk_fma_f32 v[8:9], v[16:17], v[98:99], v[8:9] op_sel_hi:[1,0,1]
	v_pk_fma_f32 v[6:7], v[20:21], v[98:99], v[6:7] op_sel_hi:[1,0,1]
	;; [unrolled: 13-line block ×3, first 2 shown]
	v_pk_fma_f32 v[8:9], v[40:41], v[56:57], v[8:9] op_sel_hi:[1,0,1]
	v_pk_fma_f32 v[6:7], v[44:45], v[56:57], v[6:7] op_sel_hi:[1,0,1]
	;; [unrolled: 1-line block ×8, first 2 shown]
	s_andn2_b64 exec, exec, s[18:19]
	s_cbranch_execnz .LBB91_21
; %bb.22:
	s_or_b64 exec, exec, s[18:19]
.LBB91_23:
	s_or_b64 exec, exec, s[10:11]
.LBB91_24:
	s_or_b64 exec, exec, s[6:7]
	s_cbranch_execz .LBB91_26
	s_branch .LBB91_37
.LBB91_25:
                                        ; implicit-def: $vgpr33
                                        ; implicit-def: $vgpr31
.LBB91_26:
	v_mov_b32_e32 v33, 0
	v_mov_b32_e32 v32, 0
	;; [unrolled: 1-line block ×4, first 2 shown]
	s_and_saveexec_b64 s[6:7], s[2:3]
	s_cbranch_execz .LBB91_36
; %bb.27:
	v_add_u32_e32 v0, v4, v25
	v_subrev_u32_e32 v0, s16, v0
	v_add_u32_e32 v0, 8, v0
	v_max_i32_e32 v0, v0, v34
	v_not_b32_e32 v1, v4
	v_add3_u32 v0, s16, v0, v1
	v_sub_u32_e32 v0, v0, v25
	v_mov_b32_e32 v30, 0
	v_and_b32_e32 v1, 24, v0
	v_mov_b32_e32 v31, v30
	v_cmp_ne_u32_e32 vcc, 24, v1
	v_mov_b64_e32 v[32:33], v[30:31]
	s_and_saveexec_b64 s[2:3], vcc
	s_cbranch_execz .LBB91_31
; %bb.28:
	v_lshrrev_b32_e32 v1, 3, v0
	v_add_u32_e32 v1, 1, v1
	v_and_b32_e32 v1, 3, v1
	v_sub_u32_e32 v1, 0, v1
	s_mov_b64 s[10:11], 0
	s_mov_b64 s[18:19], 0x100
	v_mov_b32_e32 v31, v30
	v_mov_b32_e32 v32, v30
	;; [unrolled: 1-line block ×3, first 2 shown]
.LBB91_29:                              ; =>This Inner Loop Header: Depth=1
	v_ashrrev_i32_e32 v27, 31, v26
	v_lshl_add_u64 v[6:7], v[26:27], 2, s[8:9]
	global_load_dword v8, v[6:7], off
	global_load_dwordx4 v[2:5], v[28:29], off
	v_add_co_u32_e32 v1, vcc, 1, v1
	v_add_u32_e32 v26, 8, v26
	s_or_b64 s[10:11], vcc, s[10:11]
	s_waitcnt vmcnt(1)
	v_subrev_u32_e32 v6, s16, v8
	v_lshlrev_b32_e32 v6, 2, v6
	v_ashrrev_i32_e32 v7, 31, v6
	s_waitcnt lgkmcnt(0)
	v_lshl_add_u64 v[10:11], v[6:7], 1, s[4:5]
	global_load_dwordx2 v[12:13], v[10:11], off
	global_load_dwordx4 v[6:9], v[28:29], off offset:16
	s_waitcnt vmcnt(2)
	v_cvt_f32_f16_sdwa v11, v2 dst_sel:DWORD dst_unused:UNUSED_PAD src0_sel:WORD_1
	v_cvt_f32_f16_e32 v10, v2
	v_cvt_f32_f16_sdwa v21, v3 dst_sel:DWORD dst_unused:UNUSED_PAD src0_sel:WORD_1
	v_cvt_f32_f16_e32 v20, v3
	;; [unrolled: 2-line block ×4, first 2 shown]
	v_lshl_add_u64 v[28:29], v[28:29], 0, s[18:19]
	s_waitcnt vmcnt(1)
	v_cvt_f32_f16_e32 v22, v13
	s_waitcnt vmcnt(0)
	v_cvt_f32_f16_sdwa v19, v8 dst_sel:DWORD dst_unused:UNUSED_PAD src0_sel:WORD_1
	v_cvt_f32_f16_e32 v18, v8
	v_cvt_f32_f16_e32 v8, v12
	v_cvt_f32_f16_sdwa v12, v12 dst_sel:DWORD dst_unused:UNUSED_PAD src0_sel:WORD_1
	v_cvt_f32_f16_sdwa v17, v6 dst_sel:DWORD dst_unused:UNUSED_PAD src0_sel:WORD_1
	v_cvt_f32_f16_e32 v16, v6
	v_cvt_f32_f16_sdwa v5, v7 dst_sel:DWORD dst_unused:UNUSED_PAD src0_sel:WORD_1
	v_cvt_f32_f16_e32 v4, v7
	v_cvt_f32_f16_sdwa v7, v9 dst_sel:DWORD dst_unused:UNUSED_PAD src0_sel:WORD_1
	v_cvt_f32_f16_e32 v6, v9
	v_cvt_f32_f16_sdwa v36, v13 dst_sel:DWORD dst_unused:UNUSED_PAD src0_sel:WORD_1
	v_pk_fma_f32 v[10:11], v[10:11], v[8:9], v[30:31] op_sel_hi:[1,0,1]
	v_pk_fma_f32 v[8:9], v[20:21], v[8:9], v[32:33] op_sel_hi:[1,0,1]
	;; [unrolled: 1-line block ×8, first 2 shown]
	s_andn2_b64 exec, exec, s[10:11]
	s_cbranch_execnz .LBB91_29
; %bb.30:
	s_or_b64 exec, exec, s[10:11]
.LBB91_31:
	s_or_b64 exec, exec, s[2:3]
	v_cmp_lt_u32_e32 vcc, 23, v0
	s_and_saveexec_b64 s[2:3], vcc
	s_cbranch_execz .LBB91_35
; %bb.32:
	s_mov_b64 s[10:11], 0
	s_mov_b64 s[18:19], 0x400
.LBB91_33:                              ; =>This Inner Loop Header: Depth=1
	v_ashrrev_i32_e32 v27, 31, v26
	v_lshl_add_u64 v[44:45], v[26:27], 2, s[8:9]
	global_load_dwordx4 v[0:3], v[28:29], off
	global_load_dwordx4 v[4:7], v[28:29], off offset:16
	global_load_dwordx4 v[8:11], v[28:29], off offset:256
	;; [unrolled: 1-line block ×7, first 2 shown]
	global_load_dword v27, v[44:45], off
	global_load_dword v35, v[44:45], off offset:32
	global_load_dword v60, v[44:45], off offset:64
	;; [unrolled: 1-line block ×3, first 2 shown]
	v_add_u32_e32 v26, 32, v26
	v_cmp_ge_i32_e32 vcc, v26, v34
	v_lshl_add_u64 v[28:29], v[28:29], 0, s[18:19]
	s_or_b64 s[10:11], vcc, s[10:11]
	s_waitcnt vmcnt(11)
	v_cvt_f32_f16_sdwa v45, v0 dst_sel:DWORD dst_unused:UNUSED_PAD src0_sel:WORD_1
	v_cvt_f32_f16_e32 v44, v0
	v_cvt_f32_f16_sdwa v47, v2 dst_sel:DWORD dst_unused:UNUSED_PAD src0_sel:WORD_1
	v_cvt_f32_f16_e32 v46, v2
	s_waitcnt vmcnt(10)
	v_cvt_f32_f16_sdwa v49, v4 dst_sel:DWORD dst_unused:UNUSED_PAD src0_sel:WORD_1
	v_cvt_f32_f16_e32 v48, v4
	v_cvt_f32_f16_sdwa v51, v6 dst_sel:DWORD dst_unused:UNUSED_PAD src0_sel:WORD_1
	v_cvt_f32_f16_e32 v50, v6
	;; [unrolled: 2-line block ×6, first 2 shown]
	s_waitcnt vmcnt(9)
	v_cvt_f32_f16_sdwa v7, v8 dst_sel:DWORD dst_unused:UNUSED_PAD src0_sel:WORD_1
	v_cvt_f32_f16_e32 v6, v8
	s_waitcnt vmcnt(3)
	v_subrev_u32_e32 v8, s16, v27
	v_cvt_f32_f16_sdwa v55, v10 dst_sel:DWORD dst_unused:UNUSED_PAD src0_sel:WORD_1
	v_cvt_f32_f16_e32 v54, v10
	v_cvt_f32_f16_sdwa v57, v12 dst_sel:DWORD dst_unused:UNUSED_PAD src0_sel:WORD_1
	v_cvt_f32_f16_e32 v56, v12
	;; [unrolled: 2-line block ×3, first 2 shown]
	s_waitcnt vmcnt(2)
	v_subrev_u32_e32 v10, s16, v35
	s_waitcnt vmcnt(1)
	v_subrev_u32_e32 v12, s16, v60
	s_waitcnt vmcnt(0)
	v_subrev_u32_e32 v14, s16, v62
	v_lshlrev_b32_e32 v62, 2, v8
	v_lshlrev_b32_e32 v64, 2, v10
	;; [unrolled: 1-line block ×4, first 2 shown]
	v_ashrrev_i32_e32 v63, 31, v62
	v_ashrrev_i32_e32 v65, 31, v64
	;; [unrolled: 1-line block ×4, first 2 shown]
	s_waitcnt lgkmcnt(0)
	v_lshl_add_u64 v[62:63], v[62:63], 1, s[4:5]
	v_lshl_add_u64 v[64:65], v[64:65], 1, s[4:5]
	;; [unrolled: 1-line block ×4, first 2 shown]
	global_load_dwordx2 v[70:71], v[62:63], off
	global_load_dwordx2 v[72:73], v[64:65], off
	;; [unrolled: 1-line block ×4, first 2 shown]
	v_cvt_f32_f16_sdwa v83, v42 dst_sel:DWORD dst_unused:UNUSED_PAD src0_sel:WORD_1
	v_cvt_f32_f16_e32 v82, v42
	v_cvt_f32_f16_sdwa v61, v9 dst_sel:DWORD dst_unused:UNUSED_PAD src0_sel:WORD_1
	v_cvt_f32_f16_e32 v60, v9
	;; [unrolled: 2-line block ×20, first 2 shown]
	s_waitcnt vmcnt(3)
	v_cvt_f32_f16_e32 v42, v70
	v_cvt_f32_f16_sdwa v70, v70 dst_sel:DWORD dst_unused:UNUSED_PAD src0_sel:WORD_1
	v_cvt_f32_f16_e32 v86, v71
	v_cvt_f32_f16_sdwa v88, v71 dst_sel:DWORD dst_unused:UNUSED_PAD src0_sel:WORD_1
	s_waitcnt vmcnt(2)
	v_cvt_f32_f16_e32 v90, v72
	v_pk_fma_f32 v[30:31], v[44:45], v[42:43], v[30:31] op_sel_hi:[1,0,1]
	v_pk_fma_f32 v[32:33], v[52:53], v[42:43], v[32:33] op_sel_hi:[1,0,1]
	v_cvt_f32_f16_sdwa v72, v72 dst_sel:DWORD dst_unused:UNUSED_PAD src0_sel:WORD_1
	v_pk_fma_f32 v[30:31], v[46:47], v[70:71], v[30:31] op_sel_hi:[1,0,1]
	v_pk_fma_f32 v[0:1], v[0:1], v[70:71], v[32:33] op_sel_hi:[1,0,1]
	v_cvt_f32_f16_e32 v44, v73
	v_pk_fma_f32 v[30:31], v[48:49], v[86:87], v[30:31] op_sel_hi:[1,0,1]
	v_pk_fma_f32 v[0:1], v[2:3], v[86:87], v[0:1] op_sel_hi:[1,0,1]
	v_cvt_f32_f16_sdwa v92, v73 dst_sel:DWORD dst_unused:UNUSED_PAD src0_sel:WORD_1
	v_pk_fma_f32 v[2:3], v[50:51], v[88:89], v[30:31] op_sel_hi:[1,0,1]
	v_pk_fma_f32 v[0:1], v[4:5], v[88:89], v[0:1] op_sel_hi:[1,0,1]
	s_waitcnt vmcnt(1)
	v_cvt_f32_f16_e32 v42, v74
	v_pk_fma_f32 v[2:3], v[6:7], v[90:91], v[2:3] op_sel_hi:[1,0,1]
	v_pk_fma_f32 v[0:1], v[60:61], v[90:91], v[0:1] op_sel_hi:[1,0,1]
	v_cvt_f32_f16_sdwa v52, v74 dst_sel:DWORD dst_unused:UNUSED_PAD src0_sel:WORD_1
	v_pk_fma_f32 v[2:3], v[54:55], v[72:73], v[2:3] op_sel_hi:[1,0,1]
	v_pk_fma_f32 v[0:1], v[8:9], v[72:73], v[0:1] op_sel_hi:[1,0,1]
	v_cvt_f32_f16_e32 v46, v75
	v_pk_fma_f32 v[2:3], v[56:57], v[44:45], v[2:3] op_sel_hi:[1,0,1]
	v_pk_fma_f32 v[0:1], v[10:11], v[44:45], v[0:1] op_sel_hi:[1,0,1]
	v_cvt_f32_f16_sdwa v74, v75 dst_sel:DWORD dst_unused:UNUSED_PAD src0_sel:WORD_1
	v_pk_fma_f32 v[2:3], v[58:59], v[92:93], v[2:3] op_sel_hi:[1,0,1]
	v_pk_fma_f32 v[0:1], v[12:13], v[92:93], v[0:1] op_sel_hi:[1,0,1]
	;; [unrolled: 13-line block ×3, first 2 shown]
	v_pk_fma_f32 v[2:3], v[22:23], v[32:33], v[2:3] op_sel_hi:[1,0,1]
	v_pk_fma_f32 v[0:1], v[80:81], v[32:33], v[0:1] op_sel_hi:[1,0,1]
	v_pk_fma_f32 v[2:3], v[78:79], v[70:71], v[2:3] op_sel_hi:[1,0,1]
	v_pk_fma_f32 v[0:1], v[36:37], v[70:71], v[0:1] op_sel_hi:[1,0,1]
	v_pk_fma_f32 v[2:3], v[38:39], v[48:49], v[2:3] op_sel_hi:[1,0,1]
	v_pk_fma_f32 v[0:1], v[84:85], v[48:49], v[0:1] op_sel_hi:[1,0,1]
	v_pk_fma_f32 v[30:31], v[82:83], v[76:77], v[2:3] op_sel_hi:[1,0,1]
	v_pk_fma_f32 v[32:33], v[40:41], v[76:77], v[0:1] op_sel_hi:[1,0,1]
	s_andn2_b64 exec, exec, s[10:11]
	s_cbranch_execnz .LBB91_33
; %bb.34:
	s_or_b64 exec, exec, s[10:11]
.LBB91_35:
	s_or_b64 exec, exec, s[2:3]
.LBB91_36:
	s_or_b64 exec, exec, s[6:7]
.LBB91_37:
	v_mov_b32_dpp v0, v30 row_shr:1 row_mask:0xf bank_mask:0xf
	v_mov_b32_dpp v1, v31 row_shr:1 row_mask:0xf bank_mask:0xf
	;; [unrolled: 1-line block ×4, first 2 shown]
	v_pk_add_f32 v[0:1], v[30:31], v[0:1]
	v_pk_add_f32 v[4:5], v[32:33], v[4:5]
	v_cmp_eq_u32_e32 vcc, 7, v25
	v_mov_b32_dpp v2, v0 row_shr:2 row_mask:0xf bank_mask:0xf
	v_mov_b32_dpp v3, v1 row_shr:2 row_mask:0xf bank_mask:0xf
	;; [unrolled: 1-line block ×4, first 2 shown]
	v_pk_add_f32 v[0:1], v[0:1], v[2:3]
	v_pk_add_f32 v[4:5], v[4:5], v[6:7]
	s_nop 0
	v_mov_b32_dpp v2, v0 row_shr:4 row_mask:0xf bank_mask:0xe
	v_mov_b32_dpp v3, v1 row_shr:4 row_mask:0xf bank_mask:0xe
	;; [unrolled: 1-line block ×4, first 2 shown]
	s_and_b64 exec, exec, vcc
	s_cbranch_execz .LBB91_10
; %bb.38:
	s_load_dwordx2 s[0:1], s[0:1], 0x50
	v_cmp_eq_f32_e64 s[2:3], s14, 0
	v_pk_add_f32 v[2:3], v[0:1], v[2:3]
	v_pk_add_f32 v[0:1], v[4:5], v[6:7]
	s_and_b64 vcc, exec, s[2:3]
	v_lshlrev_b32_e32 v4, 2, v24
	s_cbranch_vccz .LBB91_40
; %bb.39:
	v_ashrrev_i32_e32 v5, 31, v4
	s_waitcnt lgkmcnt(0)
	v_lshl_add_u64 v[10:11], v[4:5], 2, s[0:1]
	v_pk_mul_f32 v[6:7], s[12:13], v[2:3] op_sel_hi:[0,1]
	v_pk_mul_f32 v[8:9], s[12:13], v[0:1] op_sel_hi:[0,1]
	global_store_dwordx4 v[10:11], v[6:9], off
	s_cbranch_execnz .LBB91_10
	s_branch .LBB91_41
.LBB91_40:
.LBB91_41:
	v_ashrrev_i32_e32 v5, 31, v4
	s_waitcnt lgkmcnt(0)
	v_lshl_add_u64 v[8:9], v[4:5], 2, s[0:1]
	global_load_dwordx4 v[4:7], v[8:9], off
	v_pk_mul_f32 v[2:3], s[12:13], v[2:3] op_sel_hi:[0,1]
	v_pk_mul_f32 v[10:11], s[12:13], v[0:1] op_sel_hi:[0,1]
	s_waitcnt vmcnt(0)
	v_pk_fma_f32 v[0:1], s[14:15], v[4:5], v[2:3] op_sel_hi:[0,1,1]
	v_pk_fma_f32 v[2:3], s[14:15], v[6:7], v[10:11] op_sel_hi:[0,1,1]
	global_store_dwordx4 v[8:9], v[0:3], off
	s_endpgm
	.section	.rodata,"a",@progbits
	.p2align	6, 0x0
	.amdhsa_kernel _ZN9rocsparseL18bsrxmvn_4x4_kernelILj128ELj8EfiiDF16_DF16_fEEvT3_20rocsparse_direction_NS_24const_host_device_scalarIT1_EES1_PKS1_PKT2_SA_S7_PKT4_PKT5_S5_PT6_21rocsparse_index_base_b
		.amdhsa_group_segment_fixed_size 0
		.amdhsa_private_segment_fixed_size 0
		.amdhsa_kernarg_size 96
		.amdhsa_user_sgpr_count 2
		.amdhsa_user_sgpr_dispatch_ptr 0
		.amdhsa_user_sgpr_queue_ptr 0
		.amdhsa_user_sgpr_kernarg_segment_ptr 1
		.amdhsa_user_sgpr_dispatch_id 0
		.amdhsa_user_sgpr_kernarg_preload_length 0
		.amdhsa_user_sgpr_kernarg_preload_offset 0
		.amdhsa_user_sgpr_private_segment_size 0
		.amdhsa_uses_dynamic_stack 0
		.amdhsa_enable_private_segment 0
		.amdhsa_system_sgpr_workgroup_id_x 1
		.amdhsa_system_sgpr_workgroup_id_y 0
		.amdhsa_system_sgpr_workgroup_id_z 0
		.amdhsa_system_sgpr_workgroup_info 0
		.amdhsa_system_vgpr_workitem_id 0
		.amdhsa_next_free_vgpr 100
		.amdhsa_next_free_sgpr 22
		.amdhsa_accum_offset 100
		.amdhsa_reserve_vcc 1
		.amdhsa_float_round_mode_32 0
		.amdhsa_float_round_mode_16_64 0
		.amdhsa_float_denorm_mode_32 3
		.amdhsa_float_denorm_mode_16_64 3
		.amdhsa_dx10_clamp 1
		.amdhsa_ieee_mode 1
		.amdhsa_fp16_overflow 0
		.amdhsa_tg_split 0
		.amdhsa_exception_fp_ieee_invalid_op 0
		.amdhsa_exception_fp_denorm_src 0
		.amdhsa_exception_fp_ieee_div_zero 0
		.amdhsa_exception_fp_ieee_overflow 0
		.amdhsa_exception_fp_ieee_underflow 0
		.amdhsa_exception_fp_ieee_inexact 0
		.amdhsa_exception_int_div_zero 0
	.end_amdhsa_kernel
	.section	.text._ZN9rocsparseL18bsrxmvn_4x4_kernelILj128ELj8EfiiDF16_DF16_fEEvT3_20rocsparse_direction_NS_24const_host_device_scalarIT1_EES1_PKS1_PKT2_SA_S7_PKT4_PKT5_S5_PT6_21rocsparse_index_base_b,"axG",@progbits,_ZN9rocsparseL18bsrxmvn_4x4_kernelILj128ELj8EfiiDF16_DF16_fEEvT3_20rocsparse_direction_NS_24const_host_device_scalarIT1_EES1_PKS1_PKT2_SA_S7_PKT4_PKT5_S5_PT6_21rocsparse_index_base_b,comdat
.Lfunc_end91:
	.size	_ZN9rocsparseL18bsrxmvn_4x4_kernelILj128ELj8EfiiDF16_DF16_fEEvT3_20rocsparse_direction_NS_24const_host_device_scalarIT1_EES1_PKS1_PKT2_SA_S7_PKT4_PKT5_S5_PT6_21rocsparse_index_base_b, .Lfunc_end91-_ZN9rocsparseL18bsrxmvn_4x4_kernelILj128ELj8EfiiDF16_DF16_fEEvT3_20rocsparse_direction_NS_24const_host_device_scalarIT1_EES1_PKS1_PKT2_SA_S7_PKT4_PKT5_S5_PT6_21rocsparse_index_base_b
                                        ; -- End function
	.set _ZN9rocsparseL18bsrxmvn_4x4_kernelILj128ELj8EfiiDF16_DF16_fEEvT3_20rocsparse_direction_NS_24const_host_device_scalarIT1_EES1_PKS1_PKT2_SA_S7_PKT4_PKT5_S5_PT6_21rocsparse_index_base_b.num_vgpr, 100
	.set _ZN9rocsparseL18bsrxmvn_4x4_kernelILj128ELj8EfiiDF16_DF16_fEEvT3_20rocsparse_direction_NS_24const_host_device_scalarIT1_EES1_PKS1_PKT2_SA_S7_PKT4_PKT5_S5_PT6_21rocsparse_index_base_b.num_agpr, 0
	.set _ZN9rocsparseL18bsrxmvn_4x4_kernelILj128ELj8EfiiDF16_DF16_fEEvT3_20rocsparse_direction_NS_24const_host_device_scalarIT1_EES1_PKS1_PKT2_SA_S7_PKT4_PKT5_S5_PT6_21rocsparse_index_base_b.numbered_sgpr, 22
	.set _ZN9rocsparseL18bsrxmvn_4x4_kernelILj128ELj8EfiiDF16_DF16_fEEvT3_20rocsparse_direction_NS_24const_host_device_scalarIT1_EES1_PKS1_PKT2_SA_S7_PKT4_PKT5_S5_PT6_21rocsparse_index_base_b.num_named_barrier, 0
	.set _ZN9rocsparseL18bsrxmvn_4x4_kernelILj128ELj8EfiiDF16_DF16_fEEvT3_20rocsparse_direction_NS_24const_host_device_scalarIT1_EES1_PKS1_PKT2_SA_S7_PKT4_PKT5_S5_PT6_21rocsparse_index_base_b.private_seg_size, 0
	.set _ZN9rocsparseL18bsrxmvn_4x4_kernelILj128ELj8EfiiDF16_DF16_fEEvT3_20rocsparse_direction_NS_24const_host_device_scalarIT1_EES1_PKS1_PKT2_SA_S7_PKT4_PKT5_S5_PT6_21rocsparse_index_base_b.uses_vcc, 1
	.set _ZN9rocsparseL18bsrxmvn_4x4_kernelILj128ELj8EfiiDF16_DF16_fEEvT3_20rocsparse_direction_NS_24const_host_device_scalarIT1_EES1_PKS1_PKT2_SA_S7_PKT4_PKT5_S5_PT6_21rocsparse_index_base_b.uses_flat_scratch, 0
	.set _ZN9rocsparseL18bsrxmvn_4x4_kernelILj128ELj8EfiiDF16_DF16_fEEvT3_20rocsparse_direction_NS_24const_host_device_scalarIT1_EES1_PKS1_PKT2_SA_S7_PKT4_PKT5_S5_PT6_21rocsparse_index_base_b.has_dyn_sized_stack, 0
	.set _ZN9rocsparseL18bsrxmvn_4x4_kernelILj128ELj8EfiiDF16_DF16_fEEvT3_20rocsparse_direction_NS_24const_host_device_scalarIT1_EES1_PKS1_PKT2_SA_S7_PKT4_PKT5_S5_PT6_21rocsparse_index_base_b.has_recursion, 0
	.set _ZN9rocsparseL18bsrxmvn_4x4_kernelILj128ELj8EfiiDF16_DF16_fEEvT3_20rocsparse_direction_NS_24const_host_device_scalarIT1_EES1_PKS1_PKT2_SA_S7_PKT4_PKT5_S5_PT6_21rocsparse_index_base_b.has_indirect_call, 0
	.section	.AMDGPU.csdata,"",@progbits
; Kernel info:
; codeLenInByte = 3724
; TotalNumSgprs: 28
; NumVgprs: 100
; NumAgprs: 0
; TotalNumVgprs: 100
; ScratchSize: 0
; MemoryBound: 0
; FloatMode: 240
; IeeeMode: 1
; LDSByteSize: 0 bytes/workgroup (compile time only)
; SGPRBlocks: 3
; VGPRBlocks: 12
; NumSGPRsForWavesPerEU: 28
; NumVGPRsForWavesPerEU: 100
; AccumOffset: 100
; Occupancy: 4
; WaveLimiterHint : 1
; COMPUTE_PGM_RSRC2:SCRATCH_EN: 0
; COMPUTE_PGM_RSRC2:USER_SGPR: 2
; COMPUTE_PGM_RSRC2:TRAP_HANDLER: 0
; COMPUTE_PGM_RSRC2:TGID_X_EN: 1
; COMPUTE_PGM_RSRC2:TGID_Y_EN: 0
; COMPUTE_PGM_RSRC2:TGID_Z_EN: 0
; COMPUTE_PGM_RSRC2:TIDIG_COMP_CNT: 0
; COMPUTE_PGM_RSRC3_GFX90A:ACCUM_OFFSET: 24
; COMPUTE_PGM_RSRC3_GFX90A:TG_SPLIT: 0
	.section	.text._ZN9rocsparseL18bsrxmvn_4x4_kernelILj128ELj16EfiiDF16_DF16_fEEvT3_20rocsparse_direction_NS_24const_host_device_scalarIT1_EES1_PKS1_PKT2_SA_S7_PKT4_PKT5_S5_PT6_21rocsparse_index_base_b,"axG",@progbits,_ZN9rocsparseL18bsrxmvn_4x4_kernelILj128ELj16EfiiDF16_DF16_fEEvT3_20rocsparse_direction_NS_24const_host_device_scalarIT1_EES1_PKS1_PKT2_SA_S7_PKT4_PKT5_S5_PT6_21rocsparse_index_base_b,comdat
	.globl	_ZN9rocsparseL18bsrxmvn_4x4_kernelILj128ELj16EfiiDF16_DF16_fEEvT3_20rocsparse_direction_NS_24const_host_device_scalarIT1_EES1_PKS1_PKT2_SA_S7_PKT4_PKT5_S5_PT6_21rocsparse_index_base_b ; -- Begin function _ZN9rocsparseL18bsrxmvn_4x4_kernelILj128ELj16EfiiDF16_DF16_fEEvT3_20rocsparse_direction_NS_24const_host_device_scalarIT1_EES1_PKS1_PKT2_SA_S7_PKT4_PKT5_S5_PT6_21rocsparse_index_base_b
	.p2align	8
	.type	_ZN9rocsparseL18bsrxmvn_4x4_kernelILj128ELj16EfiiDF16_DF16_fEEvT3_20rocsparse_direction_NS_24const_host_device_scalarIT1_EES1_PKS1_PKT2_SA_S7_PKT4_PKT5_S5_PT6_21rocsparse_index_base_b,@function
_ZN9rocsparseL18bsrxmvn_4x4_kernelILj128ELj16EfiiDF16_DF16_fEEvT3_20rocsparse_direction_NS_24const_host_device_scalarIT1_EES1_PKS1_PKT2_SA_S7_PKT4_PKT5_S5_PT6_21rocsparse_index_base_b: ; @_ZN9rocsparseL18bsrxmvn_4x4_kernelILj128ELj16EfiiDF16_DF16_fEEvT3_20rocsparse_direction_NS_24const_host_device_scalarIT1_EES1_PKS1_PKT2_SA_S7_PKT4_PKT5_S5_PT6_21rocsparse_index_base_b
; %bb.0:
	s_load_dwordx2 s[16:17], s[0:1], 0x58
	s_load_dwordx2 s[12:13], s[0:1], 0x8
	;; [unrolled: 1-line block ×3, first 2 shown]
	s_waitcnt lgkmcnt(0)
	s_bitcmp1_b32 s17, 0
	s_cselect_b64 s[6:7], -1, 0
	s_xor_b64 s[4:5], s[6:7], -1
	s_and_b64 vcc, exec, s[6:7]
	s_cbranch_vccnz .LBB92_2
; %bb.1:
	s_load_dword s12, s[12:13], 0x0
.LBB92_2:
	s_andn2_b64 vcc, exec, s[4:5]
	s_cbranch_vccnz .LBB92_4
; %bb.3:
	s_load_dword s14, s[14:15], 0x0
.LBB92_4:
	s_waitcnt lgkmcnt(0)
	v_cmp_neq_f32_e64 s[4:5], s12, 0
	v_cmp_neq_f32_e64 s[6:7], s14, 1.0
	s_or_b64 s[4:5], s[4:5], s[6:7]
	s_andn2_b64 vcc, exec, s[4:5]
	s_cbranch_vccnz .LBB92_10
; %bb.5:
	s_load_dwordx2 s[4:5], s[0:1], 0x18
	s_load_dwordx2 s[18:19], s[0:1], 0x0
	v_lshrrev_b32_e32 v1, 4, v0
	v_lshl_or_b32 v28, s2, 3, v1
	s_mov_b64 s[2:3], 0
	s_waitcnt lgkmcnt(0)
	s_cmp_lg_u64 s[4:5], 0
	s_cbranch_scc0 .LBB92_11
; %bb.6:
	s_load_dword s6, s[0:1], 0x10
                                        ; implicit-def: $vgpr1
	s_waitcnt lgkmcnt(0)
	v_cmp_gt_i32_e32 vcc, s6, v28
	s_and_saveexec_b64 s[6:7], vcc
	s_xor_b64 s[6:7], exec, s[6:7]
	s_cbranch_execz .LBB92_8
; %bb.7:
	v_ashrrev_i32_e32 v29, 31, v28
	v_lshl_add_u64 v[2:3], v[28:29], 2, s[4:5]
	global_load_dword v1, v[2:3], off
	s_mov_b64 s[2:3], exec
	s_waitcnt vmcnt(0)
	v_subrev_u32_e32 v1, s16, v1
.LBB92_8:
	s_or_b64 exec, exec, s[6:7]
	s_branch .LBB92_12
.LBB92_9:
	v_cmp_gt_i32_e32 vcc, s18, v28
	s_andn2_b64 s[2:3], s[2:3], exec
	s_and_b64 s[4:5], vcc, exec
	s_or_b64 s[2:3], s[2:3], s[4:5]
	s_and_saveexec_b64 s[4:5], s[2:3]
	s_cbranch_execnz .LBB92_13
.LBB92_10:
	s_endpgm
.LBB92_11:
                                        ; implicit-def: $vgpr1
	s_cbranch_execnz .LBB92_9
.LBB92_12:
	v_mov_b32_e32 v28, v1
	s_and_saveexec_b64 s[4:5], s[2:3]
	s_cbranch_execz .LBB92_10
.LBB92_13:
	s_load_dwordx8 s[4:11], s[0:1], 0x20
	v_ashrrev_i32_e32 v29, 31, v28
	v_lshlrev_b64 v[2:3], 2, v[28:29]
	v_and_b32_e32 v29, 15, v0
	s_waitcnt lgkmcnt(0)
	v_lshl_add_u64 v[4:5], s[4:5], 0, v[2:3]
	s_cmp_eq_u64 s[6:7], 0
	global_load_dword v8, v[4:5], off
	v_lshl_add_u64 v[4:5], v[4:5], 0, 4
	v_lshl_add_u64 v[2:3], s[6:7], 0, v[2:3]
	s_cselect_b64 vcc, -1, 0
	v_cndmask_b32_e32 v3, v3, v5, vcc
	v_cndmask_b32_e32 v2, v2, v4, vcc
	global_load_dword v1, v[2:3], off
	s_load_dwordx2 s[4:5], s[0:1], 0x40
	s_cmp_eq_u32 s19, 1
	s_waitcnt vmcnt(1)
	v_subrev_u32_e32 v0, s16, v8
	v_add_u32_e32 v30, v0, v29
	v_ashrrev_i32_e32 v31, 31, v30
	s_waitcnt vmcnt(0)
	v_subrev_u32_e32 v38, s16, v1
	v_lshlrev_b64 v[0:1], 5, v[30:31]
	v_lshl_add_u64 v[32:33], s[10:11], 0, v[0:1]
	v_cmp_lt_i32_e64 s[2:3], v30, v38
	s_cbranch_scc1 .LBB92_25
; %bb.14:
	v_mov_b32_e32 v35, 0
	v_mov_b32_e32 v34, 0
	;; [unrolled: 1-line block ×4, first 2 shown]
	s_and_saveexec_b64 s[6:7], s[2:3]
	s_cbranch_execz .LBB92_24
; %bb.15:
	v_add_u32_e32 v0, v8, v29
	v_subrev_u32_e32 v0, s16, v0
	v_add_u32_e32 v0, 16, v0
	v_max_i32_e32 v0, v0, v38
	v_not_b32_e32 v1, v8
	v_add3_u32 v0, s16, v0, v1
	v_sub_u32_e32 v0, v0, v29
	v_and_b32_e32 v1, 48, v0
	v_mov_b32_e32 v36, 0
	v_cmp_ne_u32_e32 vcc, 48, v1
	v_mov_b32_e32 v37, v36
	v_mov_b32_e32 v34, v36
	;; [unrolled: 1-line block ×4, first 2 shown]
	v_mov_b64_e32 v[6:7], v[32:33]
	s_and_saveexec_b64 s[10:11], vcc
	s_cbranch_execz .LBB92_19
; %bb.16:
	v_lshrrev_b32_e32 v1, 4, v0
	v_add_u32_e32 v1, 1, v1
	v_and_b32_e32 v1, 3, v1
	v_mov_b32_e32 v35, 0
	v_sub_u32_e32 v1, 0, v1
	s_mov_b64 s[18:19], 0
	s_mov_b64 s[20:21], 0x200
	v_mov_b64_e32 v[6:7], v[32:33]
	v_mov_b32_e32 v4, v30
	v_mov_b32_e32 v34, v35
	;; [unrolled: 1-line block ×4, first 2 shown]
.LBB92_17:                              ; =>This Inner Loop Header: Depth=1
	v_ashrrev_i32_e32 v5, 31, v4
	v_lshl_add_u64 v[2:3], v[4:5], 2, s[8:9]
	global_load_dword v5, v[2:3], off
	global_load_dwordx4 v[10:13], v[6:7], off
	global_load_dwordx4 v[14:17], v[6:7], off offset:16
	v_add_co_u32_e32 v1, vcc, 1, v1
	v_lshl_add_u64 v[6:7], v[6:7], 0, s[20:21]
	v_add_u32_e32 v4, 16, v4
	s_or_b64 s[18:19], vcc, s[18:19]
	s_waitcnt vmcnt(2)
	v_subrev_u32_e32 v2, s16, v5
	v_lshlrev_b32_e32 v2, 2, v2
	v_ashrrev_i32_e32 v3, 31, v2
	s_waitcnt lgkmcnt(0)
	v_lshl_add_u64 v[2:3], v[2:3], 1, s[4:5]
	global_load_dwordx2 v[2:3], v[2:3], off
	s_waitcnt vmcnt(2)
	v_cvt_f32_f16_e32 v18, v10
	v_cvt_f32_f16_e32 v19, v12
	v_cvt_f32_f16_sdwa v21, v12 dst_sel:DWORD dst_unused:UNUSED_PAD src0_sel:WORD_1
	v_cvt_f32_f16_sdwa v20, v10 dst_sel:DWORD dst_unused:UNUSED_PAD src0_sel:WORD_1
	v_cvt_f32_f16_e32 v22, v11
	v_cvt_f32_f16_sdwa v12, v11 dst_sel:DWORD dst_unused:UNUSED_PAD src0_sel:WORD_1
	s_waitcnt vmcnt(1)
	v_cvt_f32_f16_e32 v10, v14
	v_cvt_f32_f16_e32 v11, v16
	v_cvt_f32_f16_sdwa v24, v14 dst_sel:DWORD dst_unused:UNUSED_PAD src0_sel:WORD_1
	v_cvt_f32_f16_sdwa v25, v16 dst_sel:DWORD dst_unused:UNUSED_PAD src0_sel:WORD_1
	v_cvt_f32_f16_e32 v23, v13
	v_cvt_f32_f16_e32 v27, v17
	;; [unrolled: 1-line block ×3, first 2 shown]
	v_cvt_f32_f16_sdwa v13, v13 dst_sel:DWORD dst_unused:UNUSED_PAD src0_sel:WORD_1
	v_cvt_f32_f16_sdwa v17, v17 dst_sel:DWORD dst_unused:UNUSED_PAD src0_sel:WORD_1
	;; [unrolled: 1-line block ×3, first 2 shown]
	s_waitcnt vmcnt(0)
	v_cvt_f32_f16_e32 v14, v2
	v_cvt_f32_f16_sdwa v2, v2 dst_sel:DWORD dst_unused:UNUSED_PAD src0_sel:WORD_1
	v_cvt_f32_f16_e32 v40, v3
	v_cvt_f32_f16_sdwa v42, v3 dst_sel:DWORD dst_unused:UNUSED_PAD src0_sel:WORD_1
	v_pk_fma_f32 v[18:19], v[18:19], v[14:15], v[36:37] op_sel_hi:[1,0,1]
	v_pk_fma_f32 v[10:11], v[10:11], v[14:15], v[34:35] op_sel_hi:[1,0,1]
	;; [unrolled: 1-line block ×8, first 2 shown]
	s_andn2_b64 exec, exec, s[18:19]
	s_cbranch_execnz .LBB92_17
; %bb.18:
	s_or_b64 exec, exec, s[18:19]
.LBB92_19:
	s_or_b64 exec, exec, s[10:11]
	v_cmp_lt_u32_e32 vcc, 47, v0
	s_and_saveexec_b64 s[10:11], vcc
	s_cbranch_execz .LBB92_23
; %bb.20:
	s_mov_b64 s[18:19], 0
	s_mov_b64 s[20:21], 0x800
.LBB92_21:                              ; =>This Inner Loop Header: Depth=1
	v_ashrrev_i32_e32 v5, 31, v4
	v_lshl_add_u64 v[26:27], v[4:5], 2, s[8:9]
	global_load_dwordx4 v[0:3], v[6:7], off
	global_load_dwordx4 v[10:13], v[6:7], off offset:16
	global_load_dwordx4 v[14:17], v[6:7], off offset:512
	;; [unrolled: 1-line block ×7, first 2 shown]
	global_load_dword v5, v[26:27], off
	global_load_dword v9, v[26:27], off offset:64
	global_load_dword v31, v[26:27], off offset:128
	;; [unrolled: 1-line block ×3, first 2 shown]
	v_add_u32_e32 v4, 64, v4
	v_cmp_ge_i32_e32 vcc, v4, v38
	v_lshl_add_u64 v[6:7], v[6:7], 0, s[20:21]
	s_or_b64 s[18:19], vcc, s[18:19]
	s_waitcnt vmcnt(9)
	v_cvt_f32_f16_sdwa v61, v16 dst_sel:DWORD dst_unused:UNUSED_PAD src0_sel:WORD_1
	v_cvt_f32_f16_e32 v62, v15
	v_cvt_f32_f16_sdwa v60, v14 dst_sel:DWORD dst_unused:UNUSED_PAD src0_sel:WORD_1
	s_waitcnt vmcnt(3)
	v_subrev_u32_e32 v5, s16, v5
	v_cvt_f32_f16_e32 v27, v2
	v_cvt_f32_f16_sdwa v53, v2 dst_sel:DWORD dst_unused:UNUSED_PAD src0_sel:WORD_1
	v_cvt_f32_f16_e32 v54, v1
	v_cvt_f32_f16_sdwa v2, v1 dst_sel:DWORD dst_unused:UNUSED_PAD src0_sel:WORD_1
	;; [unrolled: 2-line block ×5, first 2 shown]
	s_waitcnt vmcnt(2)
	v_subrev_u32_e32 v9, s16, v9
	s_waitcnt vmcnt(1)
	v_subrev_u32_e32 v15, s16, v31
	;; [unrolled: 2-line block ×3, first 2 shown]
	v_lshlrev_b32_e32 v64, 2, v5
	v_lshlrev_b32_e32 v66, 2, v9
	;; [unrolled: 1-line block ×4, first 2 shown]
	v_ashrrev_i32_e32 v65, 31, v64
	v_ashrrev_i32_e32 v67, 31, v66
	;; [unrolled: 1-line block ×4, first 2 shown]
	s_waitcnt lgkmcnt(0)
	v_lshl_add_u64 v[64:65], v[64:65], 1, s[4:5]
	v_lshl_add_u64 v[66:67], v[66:67], 1, s[4:5]
	;; [unrolled: 1-line block ×4, first 2 shown]
	global_load_dwordx2 v[72:73], v[64:65], off
	global_load_dwordx2 v[74:75], v[66:67], off
	;; [unrolled: 1-line block ×4, first 2 shown]
	v_cvt_f32_f16_e32 v26, v0
	v_cvt_f32_f16_sdwa v52, v0 dst_sel:DWORD dst_unused:UNUSED_PAD src0_sel:WORD_1
	v_cvt_f32_f16_e32 v0, v10
	v_cvt_f32_f16_sdwa v56, v10 dst_sel:DWORD dst_unused:UNUSED_PAD src0_sel:WORD_1
	v_cvt_f32_f16_e32 v10, v14
	v_cvt_f32_f16_e32 v14, v18
	v_cvt_f32_f16_sdwa v64, v18 dst_sel:DWORD dst_unused:UNUSED_PAD src0_sel:WORD_1
	v_cvt_f32_f16_e32 v18, v22
	v_cvt_f32_f16_sdwa v68, v22 dst_sel:DWORD dst_unused:UNUSED_PAD src0_sel:WORD_1
	;; [unrolled: 2-line block ×5, first 2 shown]
	v_cvt_f32_f16_e32 v55, v3
	v_cvt_f32_f16_e32 v59, v13
	v_cvt_f32_f16_sdwa v3, v3 dst_sel:DWORD dst_unused:UNUSED_PAD src0_sel:WORD_1
	v_cvt_f32_f16_sdwa v13, v13 dst_sel:DWORD dst_unused:UNUSED_PAD src0_sel:WORD_1
	v_cvt_f32_f16_e32 v15, v20
	v_cvt_f32_f16_sdwa v65, v20 dst_sel:DWORD dst_unused:UNUSED_PAD src0_sel:WORD_1
	v_cvt_f32_f16_e32 v63, v17
	v_cvt_f32_f16_e32 v67, v21
	;; [unrolled: 1-line block ×3, first 2 shown]
	v_cvt_f32_f16_sdwa v17, v17 dst_sel:DWORD dst_unused:UNUSED_PAD src0_sel:WORD_1
	v_cvt_f32_f16_sdwa v21, v21 dst_sel:DWORD dst_unused:UNUSED_PAD src0_sel:WORD_1
	;; [unrolled: 1-line block ×3, first 2 shown]
	v_cvt_f32_f16_e32 v19, v24
	v_cvt_f32_f16_sdwa v69, v24 dst_sel:DWORD dst_unused:UNUSED_PAD src0_sel:WORD_1
	v_cvt_f32_f16_e32 v70, v23
	v_cvt_f32_f16_sdwa v24, v23 dst_sel:DWORD dst_unused:UNUSED_PAD src0_sel:WORD_1
	;; [unrolled: 2-line block ×3, first 2 shown]
	v_cvt_f32_f16_e32 v71, v25
	v_cvt_f32_f16_e32 v83, v43
	;; [unrolled: 1-line block ×3, first 2 shown]
	v_cvt_f32_f16_sdwa v25, v25 dst_sel:DWORD dst_unused:UNUSED_PAD src0_sel:WORD_1
	v_cvt_f32_f16_sdwa v43, v43 dst_sel:DWORD dst_unused:UNUSED_PAD src0_sel:WORD_1
	;; [unrolled: 1-line block ×3, first 2 shown]
	v_cvt_f32_f16_e32 v41, v46
	v_cvt_f32_f16_sdwa v85, v46 dst_sel:DWORD dst_unused:UNUSED_PAD src0_sel:WORD_1
	v_cvt_f32_f16_e32 v86, v45
	v_cvt_f32_f16_sdwa v46, v45 dst_sel:DWORD dst_unused:UNUSED_PAD src0_sel:WORD_1
	;; [unrolled: 2-line block ×3, first 2 shown]
	v_cvt_f32_f16_e32 v87, v47
	v_cvt_f32_f16_e32 v91, v51
	;; [unrolled: 1-line block ×3, first 2 shown]
	v_cvt_f32_f16_sdwa v47, v47 dst_sel:DWORD dst_unused:UNUSED_PAD src0_sel:WORD_1
	v_cvt_f32_f16_sdwa v51, v51 dst_sel:DWORD dst_unused:UNUSED_PAD src0_sel:WORD_1
	;; [unrolled: 1-line block ×3, first 2 shown]
	s_waitcnt vmcnt(3)
	v_cvt_f32_f16_e32 v48, v72
	v_cvt_f32_f16_sdwa v72, v72 dst_sel:DWORD dst_unused:UNUSED_PAD src0_sel:WORD_1
	v_cvt_f32_f16_e32 v92, v73
	v_cvt_f32_f16_sdwa v94, v73 dst_sel:DWORD dst_unused:UNUSED_PAD src0_sel:WORD_1
	s_waitcnt vmcnt(2)
	v_cvt_f32_f16_e32 v96, v74
	v_pk_fma_f32 v[26:27], v[26:27], v[48:49], v[36:37] op_sel_hi:[1,0,1]
	v_pk_fma_f32 v[0:1], v[0:1], v[48:49], v[34:35] op_sel_hi:[1,0,1]
	v_cvt_f32_f16_sdwa v74, v74 dst_sel:DWORD dst_unused:UNUSED_PAD src0_sel:WORD_1
	v_pk_fma_f32 v[26:27], v[52:53], v[72:73], v[26:27] op_sel_hi:[1,0,1]
	v_pk_fma_f32 v[0:1], v[56:57], v[72:73], v[0:1] op_sel_hi:[1,0,1]
	v_cvt_f32_f16_e32 v36, v75
	v_pk_fma_f32 v[26:27], v[54:55], v[92:93], v[26:27] op_sel_hi:[1,0,1]
	v_pk_fma_f32 v[0:1], v[58:59], v[92:93], v[0:1] op_sel_hi:[1,0,1]
	v_cvt_f32_f16_sdwa v98, v75 dst_sel:DWORD dst_unused:UNUSED_PAD src0_sel:WORD_1
	v_pk_fma_f32 v[2:3], v[2:3], v[94:95], v[26:27] op_sel_hi:[1,0,1]
	v_pk_fma_f32 v[0:1], v[12:13], v[94:95], v[0:1] op_sel_hi:[1,0,1]
	s_waitcnt vmcnt(1)
	v_cvt_f32_f16_e32 v34, v76
	v_pk_fma_f32 v[2:3], v[10:11], v[96:97], v[2:3] op_sel_hi:[1,0,1]
	v_pk_fma_f32 v[0:1], v[14:15], v[96:97], v[0:1] op_sel_hi:[1,0,1]
	v_cvt_f32_f16_sdwa v48, v76 dst_sel:DWORD dst_unused:UNUSED_PAD src0_sel:WORD_1
	v_pk_fma_f32 v[2:3], v[60:61], v[74:75], v[2:3] op_sel_hi:[1,0,1]
	v_pk_fma_f32 v[0:1], v[64:65], v[74:75], v[0:1] op_sel_hi:[1,0,1]
	v_cvt_f32_f16_e32 v52, v77
	v_pk_fma_f32 v[2:3], v[62:63], v[36:37], v[2:3] op_sel_hi:[1,0,1]
	v_pk_fma_f32 v[0:1], v[66:67], v[36:37], v[0:1] op_sel_hi:[1,0,1]
	v_cvt_f32_f16_sdwa v76, v77 dst_sel:DWORD dst_unused:UNUSED_PAD src0_sel:WORD_1
	v_pk_fma_f32 v[2:3], v[16:17], v[98:99], v[2:3] op_sel_hi:[1,0,1]
	v_pk_fma_f32 v[0:1], v[20:21], v[98:99], v[0:1] op_sel_hi:[1,0,1]
	;; [unrolled: 13-line block ×3, first 2 shown]
	v_pk_fma_f32 v[2:3], v[40:41], v[56:57], v[2:3] op_sel_hi:[1,0,1]
	v_pk_fma_f32 v[0:1], v[44:45], v[56:57], v[0:1] op_sel_hi:[1,0,1]
	;; [unrolled: 1-line block ×8, first 2 shown]
	s_andn2_b64 exec, exec, s[18:19]
	s_cbranch_execnz .LBB92_21
; %bb.22:
	s_or_b64 exec, exec, s[18:19]
.LBB92_23:
	s_or_b64 exec, exec, s[10:11]
.LBB92_24:
	s_or_b64 exec, exec, s[6:7]
	s_cbranch_execz .LBB92_26
	s_branch .LBB92_37
.LBB92_25:
                                        ; implicit-def: $vgpr35
                                        ; implicit-def: $vgpr37
.LBB92_26:
	v_mov_b32_e32 v35, 0
	v_mov_b32_e32 v34, 0
	;; [unrolled: 1-line block ×4, first 2 shown]
	s_and_saveexec_b64 s[6:7], s[2:3]
	s_cbranch_execz .LBB92_36
; %bb.27:
	v_add_u32_e32 v0, v8, v29
	v_subrev_u32_e32 v0, s16, v0
	v_add_u32_e32 v0, 16, v0
	v_max_i32_e32 v0, v0, v38
	v_not_b32_e32 v1, v8
	v_add3_u32 v0, s16, v0, v1
	v_sub_u32_e32 v0, v0, v29
	v_and_b32_e32 v1, 48, v0
	v_mov_b32_e32 v36, 0
	v_cmp_ne_u32_e32 vcc, 48, v1
	v_mov_b32_e32 v37, v36
	v_mov_b32_e32 v34, v36
	;; [unrolled: 1-line block ×3, first 2 shown]
	s_and_saveexec_b64 s[2:3], vcc
	s_cbranch_execz .LBB92_31
; %bb.28:
	v_lshrrev_b32_e32 v1, 4, v0
	v_add_u32_e32 v1, 1, v1
	v_and_b32_e32 v1, 3, v1
	v_mov_b32_e32 v35, 0
	v_sub_u32_e32 v1, 0, v1
	s_mov_b64 s[10:11], 0
	s_mov_b64 s[18:19], 0x200
	v_mov_b32_e32 v34, v35
	v_mov_b32_e32 v37, v35
	;; [unrolled: 1-line block ×3, first 2 shown]
.LBB92_29:                              ; =>This Inner Loop Header: Depth=1
	v_ashrrev_i32_e32 v31, 31, v30
	v_lshl_add_u64 v[6:7], v[30:31], 2, s[8:9]
	global_load_dword v8, v[6:7], off
	global_load_dwordx4 v[2:5], v[32:33], off
	v_add_co_u32_e32 v1, vcc, 1, v1
	v_add_u32_e32 v30, 16, v30
	s_or_b64 s[10:11], vcc, s[10:11]
	s_waitcnt vmcnt(1)
	v_subrev_u32_e32 v6, s16, v8
	v_lshlrev_b32_e32 v6, 2, v6
	v_ashrrev_i32_e32 v7, 31, v6
	s_waitcnt lgkmcnt(0)
	v_lshl_add_u64 v[10:11], v[6:7], 1, s[4:5]
	global_load_dwordx2 v[12:13], v[10:11], off
	global_load_dwordx4 v[6:9], v[32:33], off offset:16
	s_waitcnt vmcnt(2)
	v_cvt_f32_f16_sdwa v11, v2 dst_sel:DWORD dst_unused:UNUSED_PAD src0_sel:WORD_1
	v_cvt_f32_f16_e32 v10, v2
	v_cvt_f32_f16_sdwa v15, v3 dst_sel:DWORD dst_unused:UNUSED_PAD src0_sel:WORD_1
	v_cvt_f32_f16_e32 v14, v3
	;; [unrolled: 2-line block ×4, first 2 shown]
	v_lshl_add_u64 v[32:33], v[32:33], 0, s[18:19]
	s_waitcnt vmcnt(1)
	v_cvt_f32_f16_e32 v22, v13
	s_waitcnt vmcnt(0)
	v_cvt_f32_f16_sdwa v19, v8 dst_sel:DWORD dst_unused:UNUSED_PAD src0_sel:WORD_1
	v_cvt_f32_f16_e32 v18, v8
	v_cvt_f32_f16_e32 v8, v12
	v_cvt_f32_f16_sdwa v12, v12 dst_sel:DWORD dst_unused:UNUSED_PAD src0_sel:WORD_1
	v_cvt_f32_f16_sdwa v17, v6 dst_sel:DWORD dst_unused:UNUSED_PAD src0_sel:WORD_1
	v_cvt_f32_f16_e32 v16, v6
	v_cvt_f32_f16_sdwa v5, v7 dst_sel:DWORD dst_unused:UNUSED_PAD src0_sel:WORD_1
	v_cvt_f32_f16_e32 v4, v7
	;; [unrolled: 2-line block ×3, first 2 shown]
	v_cvt_f32_f16_sdwa v24, v13 dst_sel:DWORD dst_unused:UNUSED_PAD src0_sel:WORD_1
	v_pk_fma_f32 v[10:11], v[10:11], v[8:9], v[36:37] op_sel_hi:[1,0,1]
	v_pk_fma_f32 v[8:9], v[14:15], v[8:9], v[34:35] op_sel_hi:[1,0,1]
	;; [unrolled: 1-line block ×8, first 2 shown]
	s_andn2_b64 exec, exec, s[10:11]
	s_cbranch_execnz .LBB92_29
; %bb.30:
	s_or_b64 exec, exec, s[10:11]
.LBB92_31:
	s_or_b64 exec, exec, s[2:3]
	v_cmp_lt_u32_e32 vcc, 47, v0
	s_and_saveexec_b64 s[2:3], vcc
	s_cbranch_execz .LBB92_35
; %bb.32:
	s_mov_b64 s[10:11], 0
	s_mov_b64 s[18:19], 0x800
.LBB92_33:                              ; =>This Inner Loop Header: Depth=1
	v_ashrrev_i32_e32 v31, 31, v30
	v_lshl_add_u64 v[44:45], v[30:31], 2, s[8:9]
	global_load_dwordx4 v[0:3], v[32:33], off
	global_load_dwordx4 v[4:7], v[32:33], off offset:16
	global_load_dwordx4 v[8:11], v[32:33], off offset:512
	;; [unrolled: 1-line block ×7, first 2 shown]
	global_load_dword v31, v[44:45], off
	global_load_dword v39, v[44:45], off offset:64
	global_load_dword v58, v[44:45], off offset:128
	global_load_dword v60, v[44:45], off offset:192
	v_add_u32_e32 v30, 64, v30
	v_cmp_ge_i32_e32 vcc, v30, v38
	v_lshl_add_u64 v[32:33], v[32:33], 0, s[18:19]
	s_or_b64 s[10:11], vcc, s[10:11]
	s_waitcnt vmcnt(11)
	v_cvt_f32_f16_sdwa v45, v0 dst_sel:DWORD dst_unused:UNUSED_PAD src0_sel:WORD_1
	v_cvt_f32_f16_e32 v44, v0
	v_cvt_f32_f16_sdwa v47, v1 dst_sel:DWORD dst_unused:UNUSED_PAD src0_sel:WORD_1
	v_cvt_f32_f16_e32 v46, v1
	v_cvt_f32_f16_sdwa v1, v2 dst_sel:DWORD dst_unused:UNUSED_PAD src0_sel:WORD_1
	v_cvt_f32_f16_e32 v0, v2
	s_waitcnt vmcnt(10)
	v_cvt_f32_f16_sdwa v49, v4 dst_sel:DWORD dst_unused:UNUSED_PAD src0_sel:WORD_1
	v_cvt_f32_f16_e32 v48, v4
	v_cvt_f32_f16_sdwa v51, v6 dst_sel:DWORD dst_unused:UNUSED_PAD src0_sel:WORD_1
	v_cvt_f32_f16_e32 v50, v6
	;; [unrolled: 2-line block ×5, first 2 shown]
	s_waitcnt vmcnt(9)
	v_cvt_f32_f16_sdwa v7, v8 dst_sel:DWORD dst_unused:UNUSED_PAD src0_sel:WORD_1
	v_cvt_f32_f16_e32 v6, v8
	v_cvt_f32_f16_sdwa v55, v9 dst_sel:DWORD dst_unused:UNUSED_PAD src0_sel:WORD_1
	v_cvt_f32_f16_e32 v54, v9
	;; [unrolled: 2-line block ×3, first 2 shown]
	s_waitcnt vmcnt(3)
	v_subrev_u32_e32 v10, s16, v31
	v_cvt_f32_f16_sdwa v57, v12 dst_sel:DWORD dst_unused:UNUSED_PAD src0_sel:WORD_1
	v_cvt_f32_f16_e32 v56, v12
	s_waitcnt vmcnt(2)
	v_subrev_u32_e32 v12, s16, v39
	s_waitcnt vmcnt(1)
	v_subrev_u32_e32 v31, s16, v58
	;; [unrolled: 2-line block ×3, first 2 shown]
	v_lshlrev_b32_e32 v60, 2, v10
	v_lshlrev_b32_e32 v62, 2, v12
	;; [unrolled: 1-line block ×4, first 2 shown]
	v_ashrrev_i32_e32 v61, 31, v60
	v_ashrrev_i32_e32 v63, 31, v62
	;; [unrolled: 1-line block ×4, first 2 shown]
	s_waitcnt lgkmcnt(0)
	v_lshl_add_u64 v[60:61], v[60:61], 1, s[4:5]
	v_lshl_add_u64 v[62:63], v[62:63], 1, s[4:5]
	;; [unrolled: 1-line block ×4, first 2 shown]
	global_load_dwordx2 v[68:69], v[60:61], off
	global_load_dwordx2 v[70:71], v[62:63], off
	global_load_dwordx2 v[72:73], v[64:65], off
	global_load_dwordx2 v[74:75], v[66:67], off
	v_cvt_f32_f16_sdwa v83, v42 dst_sel:DWORD dst_unused:UNUSED_PAD src0_sel:WORD_1
	v_cvt_f32_f16_e32 v82, v42
	v_cvt_f32_f16_sdwa v61, v11 dst_sel:DWORD dst_unused:UNUSED_PAD src0_sel:WORD_1
	v_cvt_f32_f16_e32 v60, v11
	v_cvt_f32_f16_sdwa v11, v13 dst_sel:DWORD dst_unused:UNUSED_PAD src0_sel:WORD_1
	v_cvt_f32_f16_e32 v10, v13
	v_cvt_f32_f16_sdwa v59, v14 dst_sel:DWORD dst_unused:UNUSED_PAD src0_sel:WORD_1
	v_cvt_f32_f16_e32 v58, v14
	v_cvt_f32_f16_sdwa v13, v15 dst_sel:DWORD dst_unused:UNUSED_PAD src0_sel:WORD_1
	v_cvt_f32_f16_e32 v12, v15
	v_cvt_f32_f16_sdwa v15, v16 dst_sel:DWORD dst_unused:UNUSED_PAD src0_sel:WORD_1
	v_cvt_f32_f16_e32 v14, v16
	v_cvt_f32_f16_sdwa v63, v17 dst_sel:DWORD dst_unused:UNUSED_PAD src0_sel:WORD_1
	v_cvt_f32_f16_e32 v62, v17
	v_cvt_f32_f16_sdwa v17, v18 dst_sel:DWORD dst_unused:UNUSED_PAD src0_sel:WORD_1
	v_cvt_f32_f16_e32 v16, v18
	v_cvt_f32_f16_sdwa v67, v19 dst_sel:DWORD dst_unused:UNUSED_PAD src0_sel:WORD_1
	v_cvt_f32_f16_e32 v66, v19
	v_cvt_f32_f16_sdwa v65, v20 dst_sel:DWORD dst_unused:UNUSED_PAD src0_sel:WORD_1
	v_cvt_f32_f16_e32 v64, v20
	v_cvt_f32_f16_sdwa v77, v21 dst_sel:DWORD dst_unused:UNUSED_PAD src0_sel:WORD_1
	v_cvt_f32_f16_e32 v76, v21
	v_cvt_f32_f16_sdwa v19, v22 dst_sel:DWORD dst_unused:UNUSED_PAD src0_sel:WORD_1
	v_cvt_f32_f16_e32 v18, v22
	v_cvt_f32_f16_sdwa v21, v23 dst_sel:DWORD dst_unused:UNUSED_PAD src0_sel:WORD_1
	v_cvt_f32_f16_e32 v20, v23
	v_cvt_f32_f16_sdwa v23, v24 dst_sel:DWORD dst_unused:UNUSED_PAD src0_sel:WORD_1
	v_cvt_f32_f16_e32 v22, v24
	v_cvt_f32_f16_sdwa v79, v25 dst_sel:DWORD dst_unused:UNUSED_PAD src0_sel:WORD_1
	v_cvt_f32_f16_e32 v78, v25
	v_cvt_f32_f16_sdwa v25, v26 dst_sel:DWORD dst_unused:UNUSED_PAD src0_sel:WORD_1
	v_cvt_f32_f16_e32 v24, v26
	v_cvt_f32_f16_sdwa v81, v27 dst_sel:DWORD dst_unused:UNUSED_PAD src0_sel:WORD_1
	v_cvt_f32_f16_e32 v80, v27
	v_cvt_f32_f16_sdwa v27, v40 dst_sel:DWORD dst_unused:UNUSED_PAD src0_sel:WORD_1
	v_cvt_f32_f16_e32 v26, v40
	v_cvt_f32_f16_sdwa v85, v41 dst_sel:DWORD dst_unused:UNUSED_PAD src0_sel:WORD_1
	v_cvt_f32_f16_e32 v84, v41
	v_cvt_f32_f16_sdwa v41, v43 dst_sel:DWORD dst_unused:UNUSED_PAD src0_sel:WORD_1
	v_cvt_f32_f16_e32 v40, v43
	s_waitcnt vmcnt(3)
	v_cvt_f32_f16_e32 v42, v68
	v_cvt_f32_f16_sdwa v68, v68 dst_sel:DWORD dst_unused:UNUSED_PAD src0_sel:WORD_1
	v_cvt_f32_f16_e32 v86, v69
	v_cvt_f32_f16_sdwa v88, v69 dst_sel:DWORD dst_unused:UNUSED_PAD src0_sel:WORD_1
	s_waitcnt vmcnt(2)
	v_cvt_f32_f16_e32 v90, v70
	v_pk_fma_f32 v[36:37], v[44:45], v[42:43], v[36:37] op_sel_hi:[1,0,1]
	v_pk_fma_f32 v[34:35], v[46:47], v[42:43], v[34:35] op_sel_hi:[1,0,1]
	v_cvt_f32_f16_sdwa v70, v70 dst_sel:DWORD dst_unused:UNUSED_PAD src0_sel:WORD_1
	v_pk_fma_f32 v[0:1], v[0:1], v[68:69], v[36:37] op_sel_hi:[1,0,1]
	v_pk_fma_f32 v[34:35], v[52:53], v[68:69], v[34:35] op_sel_hi:[1,0,1]
	v_cvt_f32_f16_e32 v44, v71
	v_pk_fma_f32 v[0:1], v[48:49], v[86:87], v[0:1] op_sel_hi:[1,0,1]
	v_pk_fma_f32 v[2:3], v[2:3], v[86:87], v[34:35] op_sel_hi:[1,0,1]
	v_cvt_f32_f16_sdwa v92, v71 dst_sel:DWORD dst_unused:UNUSED_PAD src0_sel:WORD_1
	v_pk_fma_f32 v[0:1], v[50:51], v[88:89], v[0:1] op_sel_hi:[1,0,1]
	v_pk_fma_f32 v[2:3], v[4:5], v[88:89], v[2:3] op_sel_hi:[1,0,1]
	s_waitcnt vmcnt(1)
	v_cvt_f32_f16_e32 v42, v72
	v_pk_fma_f32 v[0:1], v[6:7], v[90:91], v[0:1] op_sel_hi:[1,0,1]
	v_pk_fma_f32 v[2:3], v[54:55], v[90:91], v[2:3] op_sel_hi:[1,0,1]
	v_cvt_f32_f16_sdwa v46, v72 dst_sel:DWORD dst_unused:UNUSED_PAD src0_sel:WORD_1
	v_pk_fma_f32 v[0:1], v[8:9], v[70:71], v[0:1] op_sel_hi:[1,0,1]
	v_pk_fma_f32 v[2:3], v[60:61], v[70:71], v[2:3] op_sel_hi:[1,0,1]
	v_cvt_f32_f16_e32 v36, v73
	v_pk_fma_f32 v[0:1], v[56:57], v[44:45], v[0:1] op_sel_hi:[1,0,1]
	v_pk_fma_f32 v[2:3], v[10:11], v[44:45], v[2:3] op_sel_hi:[1,0,1]
	v_cvt_f32_f16_sdwa v72, v73 dst_sel:DWORD dst_unused:UNUSED_PAD src0_sel:WORD_1
	v_pk_fma_f32 v[0:1], v[58:59], v[92:93], v[0:1] op_sel_hi:[1,0,1]
	v_pk_fma_f32 v[2:3], v[12:13], v[92:93], v[2:3] op_sel_hi:[1,0,1]
	;; [unrolled: 13-line block ×3, first 2 shown]
	v_pk_fma_f32 v[0:1], v[22:23], v[52:53], v[0:1] op_sel_hi:[1,0,1]
	v_pk_fma_f32 v[2:3], v[78:79], v[52:53], v[2:3] op_sel_hi:[1,0,1]
	;; [unrolled: 1-line block ×8, first 2 shown]
	s_andn2_b64 exec, exec, s[10:11]
	s_cbranch_execnz .LBB92_33
; %bb.34:
	s_or_b64 exec, exec, s[10:11]
.LBB92_35:
	s_or_b64 exec, exec, s[2:3]
.LBB92_36:
	s_or_b64 exec, exec, s[6:7]
.LBB92_37:
	v_mov_b32_dpp v0, v36 row_shr:1 row_mask:0xf bank_mask:0xf
	v_mov_b32_dpp v1, v37 row_shr:1 row_mask:0xf bank_mask:0xf
	v_mov_b32_dpp v4, v34 row_shr:1 row_mask:0xf bank_mask:0xf
	v_mov_b32_dpp v5, v35 row_shr:1 row_mask:0xf bank_mask:0xf
	v_pk_add_f32 v[0:1], v[36:37], v[0:1]
	v_pk_add_f32 v[4:5], v[34:35], v[4:5]
	v_cmp_eq_u32_e32 vcc, 15, v29
	v_mov_b32_dpp v2, v0 row_shr:2 row_mask:0xf bank_mask:0xf
	v_mov_b32_dpp v3, v1 row_shr:2 row_mask:0xf bank_mask:0xf
	;; [unrolled: 1-line block ×4, first 2 shown]
	v_pk_add_f32 v[0:1], v[0:1], v[2:3]
	v_pk_add_f32 v[4:5], v[4:5], v[6:7]
	s_nop 0
	v_mov_b32_dpp v2, v0 row_shr:4 row_mask:0xf bank_mask:0xe
	v_mov_b32_dpp v3, v1 row_shr:4 row_mask:0xf bank_mask:0xe
	;; [unrolled: 1-line block ×4, first 2 shown]
	v_pk_add_f32 v[0:1], v[0:1], v[2:3]
	v_pk_add_f32 v[4:5], v[4:5], v[6:7]
	s_nop 0
	v_mov_b32_dpp v2, v0 row_shr:8 row_mask:0xf bank_mask:0xc
	v_mov_b32_dpp v3, v1 row_shr:8 row_mask:0xf bank_mask:0xc
	;; [unrolled: 1-line block ×4, first 2 shown]
	s_and_b64 exec, exec, vcc
	s_cbranch_execz .LBB92_10
; %bb.38:
	s_load_dwordx2 s[0:1], s[0:1], 0x50
	v_cmp_eq_f32_e64 s[2:3], s14, 0
	v_pk_add_f32 v[2:3], v[0:1], v[2:3]
	v_pk_add_f32 v[0:1], v[4:5], v[6:7]
	s_and_b64 vcc, exec, s[2:3]
	v_lshlrev_b32_e32 v4, 2, v28
	s_cbranch_vccz .LBB92_40
; %bb.39:
	v_ashrrev_i32_e32 v5, 31, v4
	s_waitcnt lgkmcnt(0)
	v_lshl_add_u64 v[10:11], v[4:5], 2, s[0:1]
	v_pk_mul_f32 v[6:7], s[12:13], v[2:3] op_sel_hi:[0,1]
	v_pk_mul_f32 v[8:9], s[12:13], v[0:1] op_sel_hi:[0,1]
	global_store_dwordx4 v[10:11], v[6:9], off
	s_cbranch_execnz .LBB92_10
	s_branch .LBB92_41
.LBB92_40:
.LBB92_41:
	v_ashrrev_i32_e32 v5, 31, v4
	s_waitcnt lgkmcnt(0)
	v_lshl_add_u64 v[8:9], v[4:5], 2, s[0:1]
	global_load_dwordx4 v[4:7], v[8:9], off
	v_pk_mul_f32 v[2:3], s[12:13], v[2:3] op_sel_hi:[0,1]
	v_pk_mul_f32 v[10:11], s[12:13], v[0:1] op_sel_hi:[0,1]
	s_waitcnt vmcnt(0)
	v_pk_fma_f32 v[0:1], s[14:15], v[4:5], v[2:3] op_sel_hi:[0,1,1]
	v_pk_fma_f32 v[2:3], s[14:15], v[6:7], v[10:11] op_sel_hi:[0,1,1]
	global_store_dwordx4 v[8:9], v[0:3], off
	s_endpgm
	.section	.rodata,"a",@progbits
	.p2align	6, 0x0
	.amdhsa_kernel _ZN9rocsparseL18bsrxmvn_4x4_kernelILj128ELj16EfiiDF16_DF16_fEEvT3_20rocsparse_direction_NS_24const_host_device_scalarIT1_EES1_PKS1_PKT2_SA_S7_PKT4_PKT5_S5_PT6_21rocsparse_index_base_b
		.amdhsa_group_segment_fixed_size 0
		.amdhsa_private_segment_fixed_size 0
		.amdhsa_kernarg_size 96
		.amdhsa_user_sgpr_count 2
		.amdhsa_user_sgpr_dispatch_ptr 0
		.amdhsa_user_sgpr_queue_ptr 0
		.amdhsa_user_sgpr_kernarg_segment_ptr 1
		.amdhsa_user_sgpr_dispatch_id 0
		.amdhsa_user_sgpr_kernarg_preload_length 0
		.amdhsa_user_sgpr_kernarg_preload_offset 0
		.amdhsa_user_sgpr_private_segment_size 0
		.amdhsa_uses_dynamic_stack 0
		.amdhsa_enable_private_segment 0
		.amdhsa_system_sgpr_workgroup_id_x 1
		.amdhsa_system_sgpr_workgroup_id_y 0
		.amdhsa_system_sgpr_workgroup_id_z 0
		.amdhsa_system_sgpr_workgroup_info 0
		.amdhsa_system_vgpr_workitem_id 0
		.amdhsa_next_free_vgpr 100
		.amdhsa_next_free_sgpr 22
		.amdhsa_accum_offset 100
		.amdhsa_reserve_vcc 1
		.amdhsa_float_round_mode_32 0
		.amdhsa_float_round_mode_16_64 0
		.amdhsa_float_denorm_mode_32 3
		.amdhsa_float_denorm_mode_16_64 3
		.amdhsa_dx10_clamp 1
		.amdhsa_ieee_mode 1
		.amdhsa_fp16_overflow 0
		.amdhsa_tg_split 0
		.amdhsa_exception_fp_ieee_invalid_op 0
		.amdhsa_exception_fp_denorm_src 0
		.amdhsa_exception_fp_ieee_div_zero 0
		.amdhsa_exception_fp_ieee_overflow 0
		.amdhsa_exception_fp_ieee_underflow 0
		.amdhsa_exception_fp_ieee_inexact 0
		.amdhsa_exception_int_div_zero 0
	.end_amdhsa_kernel
	.section	.text._ZN9rocsparseL18bsrxmvn_4x4_kernelILj128ELj16EfiiDF16_DF16_fEEvT3_20rocsparse_direction_NS_24const_host_device_scalarIT1_EES1_PKS1_PKT2_SA_S7_PKT4_PKT5_S5_PT6_21rocsparse_index_base_b,"axG",@progbits,_ZN9rocsparseL18bsrxmvn_4x4_kernelILj128ELj16EfiiDF16_DF16_fEEvT3_20rocsparse_direction_NS_24const_host_device_scalarIT1_EES1_PKS1_PKT2_SA_S7_PKT4_PKT5_S5_PT6_21rocsparse_index_base_b,comdat
.Lfunc_end92:
	.size	_ZN9rocsparseL18bsrxmvn_4x4_kernelILj128ELj16EfiiDF16_DF16_fEEvT3_20rocsparse_direction_NS_24const_host_device_scalarIT1_EES1_PKS1_PKT2_SA_S7_PKT4_PKT5_S5_PT6_21rocsparse_index_base_b, .Lfunc_end92-_ZN9rocsparseL18bsrxmvn_4x4_kernelILj128ELj16EfiiDF16_DF16_fEEvT3_20rocsparse_direction_NS_24const_host_device_scalarIT1_EES1_PKS1_PKT2_SA_S7_PKT4_PKT5_S5_PT6_21rocsparse_index_base_b
                                        ; -- End function
	.set _ZN9rocsparseL18bsrxmvn_4x4_kernelILj128ELj16EfiiDF16_DF16_fEEvT3_20rocsparse_direction_NS_24const_host_device_scalarIT1_EES1_PKS1_PKT2_SA_S7_PKT4_PKT5_S5_PT6_21rocsparse_index_base_b.num_vgpr, 100
	.set _ZN9rocsparseL18bsrxmvn_4x4_kernelILj128ELj16EfiiDF16_DF16_fEEvT3_20rocsparse_direction_NS_24const_host_device_scalarIT1_EES1_PKS1_PKT2_SA_S7_PKT4_PKT5_S5_PT6_21rocsparse_index_base_b.num_agpr, 0
	.set _ZN9rocsparseL18bsrxmvn_4x4_kernelILj128ELj16EfiiDF16_DF16_fEEvT3_20rocsparse_direction_NS_24const_host_device_scalarIT1_EES1_PKS1_PKT2_SA_S7_PKT4_PKT5_S5_PT6_21rocsparse_index_base_b.numbered_sgpr, 22
	.set _ZN9rocsparseL18bsrxmvn_4x4_kernelILj128ELj16EfiiDF16_DF16_fEEvT3_20rocsparse_direction_NS_24const_host_device_scalarIT1_EES1_PKS1_PKT2_SA_S7_PKT4_PKT5_S5_PT6_21rocsparse_index_base_b.num_named_barrier, 0
	.set _ZN9rocsparseL18bsrxmvn_4x4_kernelILj128ELj16EfiiDF16_DF16_fEEvT3_20rocsparse_direction_NS_24const_host_device_scalarIT1_EES1_PKS1_PKT2_SA_S7_PKT4_PKT5_S5_PT6_21rocsparse_index_base_b.private_seg_size, 0
	.set _ZN9rocsparseL18bsrxmvn_4x4_kernelILj128ELj16EfiiDF16_DF16_fEEvT3_20rocsparse_direction_NS_24const_host_device_scalarIT1_EES1_PKS1_PKT2_SA_S7_PKT4_PKT5_S5_PT6_21rocsparse_index_base_b.uses_vcc, 1
	.set _ZN9rocsparseL18bsrxmvn_4x4_kernelILj128ELj16EfiiDF16_DF16_fEEvT3_20rocsparse_direction_NS_24const_host_device_scalarIT1_EES1_PKS1_PKT2_SA_S7_PKT4_PKT5_S5_PT6_21rocsparse_index_base_b.uses_flat_scratch, 0
	.set _ZN9rocsparseL18bsrxmvn_4x4_kernelILj128ELj16EfiiDF16_DF16_fEEvT3_20rocsparse_direction_NS_24const_host_device_scalarIT1_EES1_PKS1_PKT2_SA_S7_PKT4_PKT5_S5_PT6_21rocsparse_index_base_b.has_dyn_sized_stack, 0
	.set _ZN9rocsparseL18bsrxmvn_4x4_kernelILj128ELj16EfiiDF16_DF16_fEEvT3_20rocsparse_direction_NS_24const_host_device_scalarIT1_EES1_PKS1_PKT2_SA_S7_PKT4_PKT5_S5_PT6_21rocsparse_index_base_b.has_recursion, 0
	.set _ZN9rocsparseL18bsrxmvn_4x4_kernelILj128ELj16EfiiDF16_DF16_fEEvT3_20rocsparse_direction_NS_24const_host_device_scalarIT1_EES1_PKS1_PKT2_SA_S7_PKT4_PKT5_S5_PT6_21rocsparse_index_base_b.has_indirect_call, 0
	.section	.AMDGPU.csdata,"",@progbits
; Kernel info:
; codeLenInByte = 3792
; TotalNumSgprs: 28
; NumVgprs: 100
; NumAgprs: 0
; TotalNumVgprs: 100
; ScratchSize: 0
; MemoryBound: 0
; FloatMode: 240
; IeeeMode: 1
; LDSByteSize: 0 bytes/workgroup (compile time only)
; SGPRBlocks: 3
; VGPRBlocks: 12
; NumSGPRsForWavesPerEU: 28
; NumVGPRsForWavesPerEU: 100
; AccumOffset: 100
; Occupancy: 4
; WaveLimiterHint : 1
; COMPUTE_PGM_RSRC2:SCRATCH_EN: 0
; COMPUTE_PGM_RSRC2:USER_SGPR: 2
; COMPUTE_PGM_RSRC2:TRAP_HANDLER: 0
; COMPUTE_PGM_RSRC2:TGID_X_EN: 1
; COMPUTE_PGM_RSRC2:TGID_Y_EN: 0
; COMPUTE_PGM_RSRC2:TGID_Z_EN: 0
; COMPUTE_PGM_RSRC2:TIDIG_COMP_CNT: 0
; COMPUTE_PGM_RSRC3_GFX90A:ACCUM_OFFSET: 24
; COMPUTE_PGM_RSRC3_GFX90A:TG_SPLIT: 0
	.section	.text._ZN9rocsparseL18bsrxmvn_4x4_kernelILj128ELj32EfiiDF16_DF16_fEEvT3_20rocsparse_direction_NS_24const_host_device_scalarIT1_EES1_PKS1_PKT2_SA_S7_PKT4_PKT5_S5_PT6_21rocsparse_index_base_b,"axG",@progbits,_ZN9rocsparseL18bsrxmvn_4x4_kernelILj128ELj32EfiiDF16_DF16_fEEvT3_20rocsparse_direction_NS_24const_host_device_scalarIT1_EES1_PKS1_PKT2_SA_S7_PKT4_PKT5_S5_PT6_21rocsparse_index_base_b,comdat
	.globl	_ZN9rocsparseL18bsrxmvn_4x4_kernelILj128ELj32EfiiDF16_DF16_fEEvT3_20rocsparse_direction_NS_24const_host_device_scalarIT1_EES1_PKS1_PKT2_SA_S7_PKT4_PKT5_S5_PT6_21rocsparse_index_base_b ; -- Begin function _ZN9rocsparseL18bsrxmvn_4x4_kernelILj128ELj32EfiiDF16_DF16_fEEvT3_20rocsparse_direction_NS_24const_host_device_scalarIT1_EES1_PKS1_PKT2_SA_S7_PKT4_PKT5_S5_PT6_21rocsparse_index_base_b
	.p2align	8
	.type	_ZN9rocsparseL18bsrxmvn_4x4_kernelILj128ELj32EfiiDF16_DF16_fEEvT3_20rocsparse_direction_NS_24const_host_device_scalarIT1_EES1_PKS1_PKT2_SA_S7_PKT4_PKT5_S5_PT6_21rocsparse_index_base_b,@function
_ZN9rocsparseL18bsrxmvn_4x4_kernelILj128ELj32EfiiDF16_DF16_fEEvT3_20rocsparse_direction_NS_24const_host_device_scalarIT1_EES1_PKS1_PKT2_SA_S7_PKT4_PKT5_S5_PT6_21rocsparse_index_base_b: ; @_ZN9rocsparseL18bsrxmvn_4x4_kernelILj128ELj32EfiiDF16_DF16_fEEvT3_20rocsparse_direction_NS_24const_host_device_scalarIT1_EES1_PKS1_PKT2_SA_S7_PKT4_PKT5_S5_PT6_21rocsparse_index_base_b
; %bb.0:
	s_load_dwordx2 s[16:17], s[0:1], 0x58
	s_load_dwordx2 s[12:13], s[0:1], 0x8
	s_load_dwordx2 s[14:15], s[0:1], 0x48
	s_waitcnt lgkmcnt(0)
	s_bitcmp1_b32 s17, 0
	s_cselect_b64 s[6:7], -1, 0
	s_xor_b64 s[4:5], s[6:7], -1
	s_and_b64 vcc, exec, s[6:7]
	s_cbranch_vccnz .LBB93_2
; %bb.1:
	s_load_dword s12, s[12:13], 0x0
.LBB93_2:
	s_andn2_b64 vcc, exec, s[4:5]
	s_cbranch_vccnz .LBB93_4
; %bb.3:
	s_load_dword s14, s[14:15], 0x0
.LBB93_4:
	s_waitcnt lgkmcnt(0)
	v_cmp_neq_f32_e64 s[4:5], s12, 0
	v_cmp_neq_f32_e64 s[6:7], s14, 1.0
	s_or_b64 s[4:5], s[4:5], s[6:7]
	s_andn2_b64 vcc, exec, s[4:5]
	s_cbranch_vccnz .LBB93_10
; %bb.5:
	s_load_dwordx2 s[4:5], s[0:1], 0x18
	s_load_dwordx2 s[18:19], s[0:1], 0x0
	v_lshrrev_b32_e32 v1, 5, v0
	v_lshl_or_b32 v28, s2, 2, v1
	s_mov_b64 s[2:3], 0
	s_waitcnt lgkmcnt(0)
	s_cmp_lg_u64 s[4:5], 0
	s_cbranch_scc0 .LBB93_11
; %bb.6:
	s_load_dword s6, s[0:1], 0x10
                                        ; implicit-def: $vgpr1
	s_waitcnt lgkmcnt(0)
	v_cmp_gt_i32_e32 vcc, s6, v28
	s_and_saveexec_b64 s[6:7], vcc
	s_xor_b64 s[6:7], exec, s[6:7]
	s_cbranch_execz .LBB93_8
; %bb.7:
	v_ashrrev_i32_e32 v29, 31, v28
	v_lshl_add_u64 v[2:3], v[28:29], 2, s[4:5]
	global_load_dword v1, v[2:3], off
	s_mov_b64 s[2:3], exec
	s_waitcnt vmcnt(0)
	v_subrev_u32_e32 v1, s16, v1
.LBB93_8:
	s_or_b64 exec, exec, s[6:7]
	s_branch .LBB93_12
.LBB93_9:
	v_cmp_gt_i32_e32 vcc, s18, v28
	s_andn2_b64 s[2:3], s[2:3], exec
	s_and_b64 s[4:5], vcc, exec
	s_or_b64 s[2:3], s[2:3], s[4:5]
	s_and_saveexec_b64 s[4:5], s[2:3]
	s_cbranch_execnz .LBB93_13
.LBB93_10:
	s_endpgm
.LBB93_11:
                                        ; implicit-def: $vgpr1
	s_cbranch_execnz .LBB93_9
.LBB93_12:
	v_mov_b32_e32 v28, v1
	s_and_saveexec_b64 s[4:5], s[2:3]
	s_cbranch_execz .LBB93_10
.LBB93_13:
	s_load_dwordx8 s[4:11], s[0:1], 0x20
	v_ashrrev_i32_e32 v29, 31, v28
	v_lshlrev_b64 v[2:3], 2, v[28:29]
	v_and_b32_e32 v29, 31, v0
	s_waitcnt lgkmcnt(0)
	v_lshl_add_u64 v[4:5], s[4:5], 0, v[2:3]
	s_cmp_eq_u64 s[6:7], 0
	global_load_dword v16, v[4:5], off
	v_lshl_add_u64 v[4:5], v[4:5], 0, 4
	v_lshl_add_u64 v[2:3], s[6:7], 0, v[2:3]
	s_cselect_b64 vcc, -1, 0
	v_cndmask_b32_e32 v3, v3, v5, vcc
	v_cndmask_b32_e32 v2, v2, v4, vcc
	global_load_dword v1, v[2:3], off
	s_load_dwordx2 s[4:5], s[0:1], 0x40
	s_cmp_eq_u32 s19, 1
	s_waitcnt vmcnt(1)
	v_subrev_u32_e32 v0, s16, v16
	v_add_u32_e32 v30, v0, v29
	v_ashrrev_i32_e32 v31, 31, v30
	s_waitcnt vmcnt(0)
	v_subrev_u32_e32 v38, s16, v1
	v_lshlrev_b64 v[0:1], 5, v[30:31]
	v_lshl_add_u64 v[32:33], s[10:11], 0, v[0:1]
	v_cmp_lt_i32_e64 s[2:3], v30, v38
	s_cbranch_scc1 .LBB93_25
; %bb.14:
	v_mov_b32_e32 v35, 0
	v_mov_b32_e32 v34, 0
	v_mov_b32_e32 v37, 0
	v_mov_b32_e32 v36, 0
	s_and_saveexec_b64 s[6:7], s[2:3]
	s_cbranch_execz .LBB93_24
; %bb.15:
	v_add_u32_e32 v0, v16, v29
	v_subrev_u32_e32 v0, s16, v0
	v_add_u32_e32 v0, 32, v0
	v_max_i32_e32 v0, v0, v38
	v_not_b32_e32 v1, v16
	v_add3_u32 v0, s16, v0, v1
	v_sub_u32_e32 v0, v0, v29
	s_movk_i32 s10, 0x60
	v_and_b32_e32 v1, 0x60, v0
	v_mov_b32_e32 v36, 0
	v_cmp_ne_u32_e32 vcc, s10, v1
	v_mov_b32_e32 v37, v36
	v_mov_b32_e32 v34, v36
	;; [unrolled: 1-line block ×4, first 2 shown]
	v_mov_b64_e32 v[14:15], v[32:33]
	s_and_saveexec_b64 s[10:11], vcc
	s_cbranch_execz .LBB93_19
; %bb.16:
	v_lshrrev_b32_e32 v1, 5, v0
	v_add_u32_e32 v1, 1, v1
	v_and_b32_e32 v1, 3, v1
	v_mov_b32_e32 v35, 0
	v_sub_u32_e32 v1, 0, v1
	s_mov_b64 s[18:19], 0
	s_mov_b64 s[20:21], 0x400
	v_mov_b64_e32 v[14:15], v[32:33]
	v_mov_b32_e32 v12, v30
	v_mov_b32_e32 v34, v35
	;; [unrolled: 1-line block ×4, first 2 shown]
.LBB93_17:                              ; =>This Inner Loop Header: Depth=1
	v_ashrrev_i32_e32 v13, 31, v12
	v_lshl_add_u64 v[10:11], v[12:13], 2, s[8:9]
	global_load_dword v13, v[10:11], off
	global_load_dwordx4 v[2:5], v[14:15], off
	global_load_dwordx4 v[6:9], v[14:15], off offset:16
	v_add_co_u32_e32 v1, vcc, 1, v1
	v_lshl_add_u64 v[14:15], v[14:15], 0, s[20:21]
	v_add_u32_e32 v12, 32, v12
	s_or_b64 s[18:19], vcc, s[18:19]
	s_waitcnt vmcnt(2)
	v_subrev_u32_e32 v10, s16, v13
	v_lshlrev_b32_e32 v10, 2, v10
	v_ashrrev_i32_e32 v11, 31, v10
	s_waitcnt lgkmcnt(0)
	v_lshl_add_u64 v[10:11], v[10:11], 1, s[4:5]
	global_load_dwordx2 v[10:11], v[10:11], off
	s_waitcnt vmcnt(2)
	v_cvt_f32_f16_sdwa v18, v2 dst_sel:DWORD dst_unused:UNUSED_PAD src0_sel:WORD_1
	v_cvt_f32_f16_sdwa v19, v4 dst_sel:DWORD dst_unused:UNUSED_PAD src0_sel:WORD_1
	s_waitcnt vmcnt(1)
	v_cvt_f32_f16_sdwa v24, v6 dst_sel:DWORD dst_unused:UNUSED_PAD src0_sel:WORD_1
	v_cvt_f32_f16_sdwa v25, v8 dst_sel:DWORD dst_unused:UNUSED_PAD src0_sel:WORD_1
	v_cvt_f32_f16_e32 v21, v5
	v_cvt_f32_f16_e32 v20, v3
	v_cvt_f32_f16_e32 v27, v9
	v_cvt_f32_f16_e32 v26, v7
	v_cvt_f32_f16_sdwa v23, v5 dst_sel:DWORD dst_unused:UNUSED_PAD src0_sel:WORD_1
	v_cvt_f32_f16_sdwa v22, v3 dst_sel:DWORD dst_unused:UNUSED_PAD src0_sel:WORD_1
	;; [unrolled: 1-line block ×4, first 2 shown]
	s_waitcnt vmcnt(0)
	v_fma_mix_f32 v2, v2, v10, v36 op_sel_hi:[1,1,0]
	v_cvt_f32_f16_sdwa v36, v10 dst_sel:DWORD dst_unused:UNUSED_PAD src0_sel:WORD_1
	v_cvt_f32_f16_e32 v42, v11
	v_cvt_f32_f16_sdwa v44, v11 dst_sel:DWORD dst_unused:UNUSED_PAD src0_sel:WORD_1
	v_fma_mix_f32 v3, v4, v10, v37 op_sel_hi:[1,1,0]
	v_fma_mix_f32 v4, v6, v10, v34 op_sel_hi:[1,1,0]
	;; [unrolled: 1-line block ×3, first 2 shown]
	v_pk_fma_f32 v[2:3], v[18:19], v[36:37], v[2:3] op_sel_hi:[1,0,1]
	v_pk_fma_f32 v[4:5], v[24:25], v[36:37], v[4:5] op_sel_hi:[1,0,1]
	;; [unrolled: 1-line block ×6, first 2 shown]
	s_andn2_b64 exec, exec, s[18:19]
	s_cbranch_execnz .LBB93_17
; %bb.18:
	s_or_b64 exec, exec, s[18:19]
.LBB93_19:
	s_or_b64 exec, exec, s[10:11]
	s_movk_i32 s10, 0x5f
	v_cmp_lt_u32_e32 vcc, s10, v0
	s_and_saveexec_b64 s[10:11], vcc
	s_cbranch_execz .LBB93_23
; %bb.20:
	s_mov_b64 s[18:19], 0
	s_mov_b64 s[20:21], 0x1000
.LBB93_21:                              ; =>This Inner Loop Header: Depth=1
	v_ashrrev_i32_e32 v13, 31, v12
	v_lshl_add_u64 v[26:27], v[12:13], 2, s[8:9]
	global_load_dwordx4 v[0:3], v[14:15], off
	global_load_dwordx4 v[4:7], v[14:15], off offset:16
	global_load_dwordx4 v[8:11], v[14:15], off offset:1024
	global_load_dwordx4 v[18:21], v[14:15], off offset:1040
	global_load_dwordx4 v[22:25], v[14:15], off offset:2048
	global_load_dwordx4 v[40:43], v[14:15], off offset:2064
	global_load_dwordx4 v[44:47], v[14:15], off offset:3072
	global_load_dwordx4 v[48:51], v[14:15], off offset:3088
	global_load_dword v13, v[26:27], off
	global_load_dword v17, v[26:27], off offset:128
	global_load_dword v31, v[26:27], off offset:256
	;; [unrolled: 1-line block ×3, first 2 shown]
	v_add_u32_e32 v12, 0x80, v12
	v_cmp_ge_i32_e32 vcc, v12, v38
	v_lshl_add_u64 v[14:15], v[14:15], 0, s[20:21]
	s_or_b64 s[18:19], vcc, s[18:19]
	s_waitcnt vmcnt(9)
	v_cvt_f32_f16_sdwa v62, v8 dst_sel:DWORD dst_unused:UNUSED_PAD src0_sel:WORD_1
	v_cvt_f32_f16_sdwa v63, v10 dst_sel:DWORD dst_unused:UNUSED_PAD src0_sel:WORD_1
	s_waitcnt vmcnt(8)
	v_cvt_f32_f16_sdwa v68, v18 dst_sel:DWORD dst_unused:UNUSED_PAD src0_sel:WORD_1
	v_cvt_f32_f16_e32 v52, v1
	v_cvt_f32_f16_sdwa v54, v1 dst_sel:DWORD dst_unused:UNUSED_PAD src0_sel:WORD_1
	s_waitcnt vmcnt(3)
	v_subrev_u32_e32 v1, s16, v13
	v_cvt_f32_f16_e32 v53, v3
	v_cvt_f32_f16_sdwa v55, v3 dst_sel:DWORD dst_unused:UNUSED_PAD src0_sel:WORD_1
	v_cvt_f32_f16_e32 v59, v7
	v_cvt_f32_f16_e32 v58, v5
	v_cvt_f32_f16_sdwa v61, v7 dst_sel:DWORD dst_unused:UNUSED_PAD src0_sel:WORD_1
	v_cvt_f32_f16_sdwa v60, v5 dst_sel:DWORD dst_unused:UNUSED_PAD src0_sel:WORD_1
	s_waitcnt vmcnt(2)
	v_subrev_u32_e32 v3, s16, v17
	s_waitcnt vmcnt(1)
	v_subrev_u32_e32 v5, s16, v31
	;; [unrolled: 2-line block ×3, first 2 shown]
	v_lshlrev_b32_e32 v70, 2, v1
	v_lshlrev_b32_e32 v72, 2, v3
	;; [unrolled: 1-line block ×4, first 2 shown]
	v_ashrrev_i32_e32 v71, 31, v70
	v_ashrrev_i32_e32 v73, 31, v72
	;; [unrolled: 1-line block ×4, first 2 shown]
	s_waitcnt lgkmcnt(0)
	v_lshl_add_u64 v[70:71], v[70:71], 1, s[4:5]
	v_lshl_add_u64 v[72:73], v[72:73], 1, s[4:5]
	;; [unrolled: 1-line block ×4, first 2 shown]
	global_load_dwordx2 v[78:79], v[70:71], off
	global_load_dwordx2 v[80:81], v[72:73], off
	global_load_dwordx2 v[82:83], v[74:75], off
	global_load_dwordx2 v[84:85], v[76:77], off
	v_cvt_f32_f16_sdwa v26, v0 dst_sel:DWORD dst_unused:UNUSED_PAD src0_sel:WORD_1
	v_cvt_f32_f16_sdwa v27, v2 dst_sel:DWORD dst_unused:UNUSED_PAD src0_sel:WORD_1
	;; [unrolled: 1-line block ×5, first 2 shown]
	v_cvt_f32_f16_e32 v65, v11
	v_cvt_f32_f16_e32 v64, v9
	;; [unrolled: 1-line block ×4, first 2 shown]
	v_cvt_f32_f16_sdwa v67, v11 dst_sel:DWORD dst_unused:UNUSED_PAD src0_sel:WORD_1
	v_cvt_f32_f16_sdwa v66, v9 dst_sel:DWORD dst_unused:UNUSED_PAD src0_sel:WORD_1
	;; [unrolled: 1-line block ×8, first 2 shown]
	v_cvt_f32_f16_e32 v77, v25
	v_cvt_f32_f16_e32 v76, v23
	;; [unrolled: 1-line block ×4, first 2 shown]
	v_cvt_f32_f16_sdwa v87, v25 dst_sel:DWORD dst_unused:UNUSED_PAD src0_sel:WORD_1
	v_cvt_f32_f16_sdwa v86, v23 dst_sel:DWORD dst_unused:UNUSED_PAD src0_sel:WORD_1
	;; [unrolled: 1-line block ×6, first 2 shown]
	v_cvt_f32_f16_e32 v97, v47
	v_cvt_f32_f16_e32 v96, v45
	;; [unrolled: 1-line block ×3, first 2 shown]
	v_cvt_f32_f16_sdwa v3, v47 dst_sel:DWORD dst_unused:UNUSED_PAD src0_sel:WORD_1
	s_waitcnt vmcnt(3)
	v_fma_mix_f32 v0, v0, v78, v36 op_sel_hi:[1,1,0]
	v_fma_mix_f32 v1, v2, v78, v37 op_sel_hi:[1,1,0]
	;; [unrolled: 1-line block ×4, first 2 shown]
	v_cvt_f32_f16_sdwa v78, v78 dst_sel:DWORD dst_unused:UNUSED_PAD src0_sel:WORD_1
	v_cvt_f32_f16_sdwa v98, v79 dst_sel:DWORD dst_unused:UNUSED_PAD src0_sel:WORD_1
	;; [unrolled: 1-line block ×4, first 2 shown]
	v_pk_fma_f32 v[0:1], v[26:27], v[78:79], v[0:1] op_sel_hi:[1,0,1]
	v_cvt_f32_f16_e32 v26, v79
	v_pk_fma_f32 v[4:5], v[56:57], v[78:79], v[4:5] op_sel_hi:[1,0,1]
	s_waitcnt vmcnt(1)
	v_cvt_f32_f16_e32 v56, v83
	v_cvt_f32_f16_sdwa v78, v83 dst_sel:DWORD dst_unused:UNUSED_PAD src0_sel:WORD_1
	v_pk_fma_f32 v[0:1], v[52:53], v[26:27], v[0:1] op_sel_hi:[1,0,1]
	v_cvt_f32_f16_sdwa v52, v80 dst_sel:DWORD dst_unused:UNUSED_PAD src0_sel:WORD_1
	v_pk_fma_f32 v[0:1], v[54:55], v[98:99], v[0:1] op_sel_hi:[1,0,1]
	v_pk_fma_f32 v[4:5], v[58:59], v[26:27], v[4:5] op_sel_hi:[1,0,1]
	v_fma_mix_f32 v0, v8, v80, v0 op_sel_hi:[1,1,0]
	v_cvt_f32_f16_e32 v8, v81
	v_fma_mix_f32 v1, v10, v80, v1 op_sel_hi:[1,1,0]
	v_cvt_f32_f16_sdwa v10, v81 dst_sel:DWORD dst_unused:UNUSED_PAD src0_sel:WORD_1
	v_pk_fma_f32 v[4:5], v[60:61], v[98:99], v[4:5] op_sel_hi:[1,0,1]
	v_cvt_f32_f16_sdwa v54, v82 dst_sel:DWORD dst_unused:UNUSED_PAD src0_sel:WORD_1
	v_fma_mix_f32 v4, v18, v80, v4 op_sel_hi:[1,1,0]
	v_fma_mix_f32 v5, v20, v80, v5 op_sel_hi:[1,1,0]
	v_pk_fma_f32 v[0:1], v[62:63], v[52:53], v[0:1] op_sel_hi:[1,0,1]
	v_pk_fma_f32 v[4:5], v[68:69], v[52:53], v[4:5] op_sel_hi:[1,0,1]
	;; [unrolled: 1-line block ×6, first 2 shown]
	v_fma_mix_f32 v0, v22, v82, v0 op_sel_hi:[1,1,0]
	v_fma_mix_f32 v1, v24, v82, v1 op_sel_hi:[1,1,0]
	;; [unrolled: 1-line block ×4, first 2 shown]
	s_waitcnt vmcnt(0)
	v_cvt_f32_f16_sdwa v26, v84 dst_sel:DWORD dst_unused:UNUSED_PAD src0_sel:WORD_1
	v_pk_fma_f32 v[0:1], v[74:75], v[54:55], v[0:1] op_sel_hi:[1,0,1]
	v_pk_fma_f32 v[4:5], v[88:89], v[54:55], v[4:5] op_sel_hi:[1,0,1]
	v_cvt_f32_f16_e32 v6, v49
	v_cvt_f32_f16_e32 v58, v85
	v_pk_fma_f32 v[0:1], v[76:77], v[56:57], v[0:1] op_sel_hi:[1,0,1]
	v_pk_fma_f32 v[4:5], v[90:91], v[56:57], v[4:5] op_sel_hi:[1,0,1]
	v_cvt_f32_f16_sdwa v2, v45 dst_sel:DWORD dst_unused:UNUSED_PAD src0_sel:WORD_1
	v_cvt_f32_f16_sdwa v35, v51 dst_sel:DWORD dst_unused:UNUSED_PAD src0_sel:WORD_1
	;; [unrolled: 1-line block ×4, first 2 shown]
	v_pk_fma_f32 v[0:1], v[86:87], v[78:79], v[0:1] op_sel_hi:[1,0,1]
	v_pk_fma_f32 v[4:5], v[92:93], v[78:79], v[4:5] op_sel_hi:[1,0,1]
	v_fma_mix_f32 v0, v44, v84, v0 op_sel_hi:[1,1,0]
	v_fma_mix_f32 v1, v46, v84, v1 op_sel_hi:[1,1,0]
	;; [unrolled: 1-line block ×4, first 2 shown]
	v_pk_fma_f32 v[0:1], v[94:95], v[26:27], v[0:1] op_sel_hi:[1,0,1]
	v_pk_fma_f32 v[4:5], v[36:37], v[26:27], v[4:5] op_sel_hi:[1,0,1]
	;; [unrolled: 1-line block ×6, first 2 shown]
	s_andn2_b64 exec, exec, s[18:19]
	s_cbranch_execnz .LBB93_21
; %bb.22:
	s_or_b64 exec, exec, s[18:19]
.LBB93_23:
	s_or_b64 exec, exec, s[10:11]
.LBB93_24:
	s_or_b64 exec, exec, s[6:7]
	s_cbranch_execz .LBB93_26
	s_branch .LBB93_37
.LBB93_25:
                                        ; implicit-def: $vgpr35
                                        ; implicit-def: $vgpr37
.LBB93_26:
	v_mov_b32_e32 v35, 0
	v_mov_b32_e32 v34, 0
	;; [unrolled: 1-line block ×4, first 2 shown]
	s_and_saveexec_b64 s[6:7], s[2:3]
	s_cbranch_execz .LBB93_36
; %bb.27:
	v_add_u32_e32 v0, v16, v29
	v_subrev_u32_e32 v0, s16, v0
	v_add_u32_e32 v0, 32, v0
	v_max_i32_e32 v0, v0, v38
	v_not_b32_e32 v1, v16
	v_add3_u32 v0, s16, v0, v1
	v_sub_u32_e32 v0, v0, v29
	v_mov_b32_e32 v34, 0
	s_movk_i32 s2, 0x60
	v_and_b32_e32 v1, 0x60, v0
	v_mov_b32_e32 v35, v34
	v_cmp_ne_u32_e32 vcc, s2, v1
	v_mov_b64_e32 v[36:37], v[34:35]
	s_and_saveexec_b64 s[2:3], vcc
	s_cbranch_execz .LBB93_31
; %bb.28:
	v_lshrrev_b32_e32 v1, 5, v0
	v_add_u32_e32 v1, 1, v1
	v_and_b32_e32 v1, 3, v1
	v_sub_u32_e32 v1, 0, v1
	s_mov_b64 s[10:11], 0
	s_mov_b64 s[18:19], 0x400
	v_mov_b32_e32 v35, v34
	v_mov_b32_e32 v36, v34
	;; [unrolled: 1-line block ×3, first 2 shown]
.LBB93_29:                              ; =>This Inner Loop Header: Depth=1
	v_ashrrev_i32_e32 v31, 31, v30
	v_lshl_add_u64 v[6:7], v[30:31], 2, s[8:9]
	global_load_dword v8, v[6:7], off
	global_load_dwordx4 v[2:5], v[32:33], off
	v_add_co_u32_e32 v1, vcc, 1, v1
	v_add_u32_e32 v30, 32, v30
	s_or_b64 s[10:11], vcc, s[10:11]
	s_waitcnt vmcnt(1)
	v_subrev_u32_e32 v6, s16, v8
	v_lshlrev_b32_e32 v6, 2, v6
	v_ashrrev_i32_e32 v7, 31, v6
	s_waitcnt lgkmcnt(0)
	v_lshl_add_u64 v[10:11], v[6:7], 1, s[4:5]
	global_load_dwordx2 v[12:13], v[10:11], off
	global_load_dwordx4 v[6:9], v[32:33], off offset:16
	s_waitcnt vmcnt(2)
	v_cvt_f32_f16_sdwa v11, v2 dst_sel:DWORD dst_unused:UNUSED_PAD src0_sel:WORD_1
	v_cvt_f32_f16_e32 v10, v2
	v_cvt_f32_f16_sdwa v15, v3 dst_sel:DWORD dst_unused:UNUSED_PAD src0_sel:WORD_1
	v_cvt_f32_f16_e32 v14, v3
	;; [unrolled: 2-line block ×4, first 2 shown]
	v_lshl_add_u64 v[32:33], v[32:33], 0, s[18:19]
	s_waitcnt vmcnt(1)
	v_cvt_f32_f16_e32 v22, v13
	s_waitcnt vmcnt(0)
	v_cvt_f32_f16_sdwa v19, v8 dst_sel:DWORD dst_unused:UNUSED_PAD src0_sel:WORD_1
	v_cvt_f32_f16_e32 v18, v8
	v_cvt_f32_f16_e32 v8, v12
	v_cvt_f32_f16_sdwa v12, v12 dst_sel:DWORD dst_unused:UNUSED_PAD src0_sel:WORD_1
	v_cvt_f32_f16_sdwa v5, v6 dst_sel:DWORD dst_unused:UNUSED_PAD src0_sel:WORD_1
	v_cvt_f32_f16_e32 v4, v6
	v_cvt_f32_f16_sdwa v21, v7 dst_sel:DWORD dst_unused:UNUSED_PAD src0_sel:WORD_1
	v_cvt_f32_f16_e32 v20, v7
	;; [unrolled: 2-line block ×3, first 2 shown]
	v_cvt_f32_f16_sdwa v24, v13 dst_sel:DWORD dst_unused:UNUSED_PAD src0_sel:WORD_1
	v_pk_fma_f32 v[10:11], v[10:11], v[8:9], v[36:37] op_sel_hi:[1,0,1]
	v_pk_fma_f32 v[8:9], v[14:15], v[8:9], v[34:35] op_sel_hi:[1,0,1]
	;; [unrolled: 1-line block ×8, first 2 shown]
	s_andn2_b64 exec, exec, s[10:11]
	s_cbranch_execnz .LBB93_29
; %bb.30:
	s_or_b64 exec, exec, s[10:11]
.LBB93_31:
	s_or_b64 exec, exec, s[2:3]
	s_movk_i32 s2, 0x5f
	v_cmp_lt_u32_e32 vcc, s2, v0
	s_and_saveexec_b64 s[2:3], vcc
	s_cbranch_execz .LBB93_35
; %bb.32:
	s_mov_b64 s[10:11], 0
	s_mov_b64 s[18:19], 0x1000
.LBB93_33:                              ; =>This Inner Loop Header: Depth=1
	v_ashrrev_i32_e32 v31, 31, v30
	v_lshl_add_u64 v[44:45], v[30:31], 2, s[8:9]
	global_load_dwordx4 v[0:3], v[32:33], off
	global_load_dwordx4 v[4:7], v[32:33], off offset:16
	global_load_dwordx4 v[12:15], v[32:33], off offset:1024
	;; [unrolled: 1-line block ×7, first 2 shown]
	global_load_dword v31, v[44:45], off
	global_load_dword v39, v[44:45], off offset:128
	global_load_dword v58, v[44:45], off offset:256
	;; [unrolled: 1-line block ×3, first 2 shown]
	v_add_u32_e32 v30, 0x80, v30
	v_cmp_ge_i32_e32 vcc, v30, v38
	v_lshl_add_u64 v[32:33], v[32:33], 0, s[18:19]
	s_or_b64 s[10:11], vcc, s[10:11]
	s_waitcnt vmcnt(11)
	v_cvt_f32_f16_sdwa v45, v0 dst_sel:DWORD dst_unused:UNUSED_PAD src0_sel:WORD_1
	v_cvt_f32_f16_e32 v44, v0
	v_cvt_f32_f16_sdwa v47, v1 dst_sel:DWORD dst_unused:UNUSED_PAD src0_sel:WORD_1
	v_cvt_f32_f16_e32 v46, v1
	;; [unrolled: 2-line block ×4, first 2 shown]
	s_waitcnt vmcnt(10)
	v_cvt_f32_f16_sdwa v3, v4 dst_sel:DWORD dst_unused:UNUSED_PAD src0_sel:WORD_1
	v_cvt_f32_f16_e32 v2, v4
	v_cvt_f32_f16_sdwa v51, v6 dst_sel:DWORD dst_unused:UNUSED_PAD src0_sel:WORD_1
	v_cvt_f32_f16_e32 v50, v6
	;; [unrolled: 2-line block ×4, first 2 shown]
	s_waitcnt vmcnt(9)
	v_cvt_f32_f16_sdwa v7, v12 dst_sel:DWORD dst_unused:UNUSED_PAD src0_sel:WORD_1
	v_cvt_f32_f16_e32 v6, v12
	v_cvt_f32_f16_sdwa v55, v13 dst_sel:DWORD dst_unused:UNUSED_PAD src0_sel:WORD_1
	v_cvt_f32_f16_e32 v54, v13
	;; [unrolled: 2-line block ×3, first 2 shown]
	s_waitcnt vmcnt(3)
	v_subrev_u32_e32 v14, s16, v31
	s_waitcnt vmcnt(2)
	v_subrev_u32_e32 v31, s16, v39
	;; [unrolled: 2-line block ×4, first 2 shown]
	v_lshlrev_b32_e32 v58, 2, v14
	v_lshlrev_b32_e32 v60, 2, v31
	;; [unrolled: 1-line block ×4, first 2 shown]
	v_ashrrev_i32_e32 v59, 31, v58
	v_ashrrev_i32_e32 v61, 31, v60
	;; [unrolled: 1-line block ×4, first 2 shown]
	s_waitcnt lgkmcnt(0)
	v_lshl_add_u64 v[58:59], v[58:59], 1, s[4:5]
	v_lshl_add_u64 v[60:61], v[60:61], 1, s[4:5]
	v_lshl_add_u64 v[62:63], v[62:63], 1, s[4:5]
	v_lshl_add_u64 v[64:65], v[64:65], 1, s[4:5]
	global_load_dwordx2 v[66:67], v[58:59], off
	global_load_dwordx2 v[68:69], v[60:61], off
	;; [unrolled: 1-line block ×4, first 2 shown]
	v_cvt_f32_f16_sdwa v83, v42 dst_sel:DWORD dst_unused:UNUSED_PAD src0_sel:WORD_1
	v_cvt_f32_f16_e32 v82, v42
	v_cvt_f32_f16_sdwa v57, v15 dst_sel:DWORD dst_unused:UNUSED_PAD src0_sel:WORD_1
	v_cvt_f32_f16_e32 v56, v15
	;; [unrolled: 2-line block ×21, first 2 shown]
	s_waitcnt vmcnt(3)
	v_cvt_f32_f16_e32 v42, v66
	v_cvt_f32_f16_sdwa v66, v66 dst_sel:DWORD dst_unused:UNUSED_PAD src0_sel:WORD_1
	v_cvt_f32_f16_e32 v86, v67
	v_cvt_f32_f16_sdwa v88, v67 dst_sel:DWORD dst_unused:UNUSED_PAD src0_sel:WORD_1
	s_waitcnt vmcnt(2)
	v_cvt_f32_f16_e32 v90, v68
	v_pk_fma_f32 v[36:37], v[44:45], v[42:43], v[36:37] op_sel_hi:[1,0,1]
	v_pk_fma_f32 v[34:35], v[46:47], v[42:43], v[34:35] op_sel_hi:[1,0,1]
	v_cvt_f32_f16_sdwa v68, v68 dst_sel:DWORD dst_unused:UNUSED_PAD src0_sel:WORD_1
	v_pk_fma_f32 v[0:1], v[0:1], v[66:67], v[36:37] op_sel_hi:[1,0,1]
	v_pk_fma_f32 v[34:35], v[48:49], v[66:67], v[34:35] op_sel_hi:[1,0,1]
	v_cvt_f32_f16_e32 v44, v69
	v_pk_fma_f32 v[0:1], v[2:3], v[86:87], v[0:1] op_sel_hi:[1,0,1]
	v_pk_fma_f32 v[34:35], v[52:53], v[86:87], v[34:35] op_sel_hi:[1,0,1]
	v_cvt_f32_f16_sdwa v92, v69 dst_sel:DWORD dst_unused:UNUSED_PAD src0_sel:WORD_1
	v_pk_fma_f32 v[0:1], v[50:51], v[88:89], v[0:1] op_sel_hi:[1,0,1]
	v_pk_fma_f32 v[4:5], v[4:5], v[88:89], v[34:35] op_sel_hi:[1,0,1]
	s_waitcnt vmcnt(1)
	v_cvt_f32_f16_e32 v42, v70
	v_pk_fma_f32 v[0:1], v[6:7], v[90:91], v[0:1] op_sel_hi:[1,0,1]
	v_pk_fma_f32 v[4:5], v[54:55], v[90:91], v[4:5] op_sel_hi:[1,0,1]
	v_cvt_f32_f16_sdwa v46, v70 dst_sel:DWORD dst_unused:UNUSED_PAD src0_sel:WORD_1
	v_pk_fma_f32 v[0:1], v[12:13], v[68:69], v[0:1] op_sel_hi:[1,0,1]
	v_pk_fma_f32 v[4:5], v[56:57], v[68:69], v[4:5] op_sel_hi:[1,0,1]
	v_cvt_f32_f16_e32 v36, v71
	v_pk_fma_f32 v[0:1], v[14:15], v[44:45], v[0:1] op_sel_hi:[1,0,1]
	v_pk_fma_f32 v[4:5], v[60:61], v[44:45], v[4:5] op_sel_hi:[1,0,1]
	v_cvt_f32_f16_sdwa v70, v71 dst_sel:DWORD dst_unused:UNUSED_PAD src0_sel:WORD_1
	v_pk_fma_f32 v[0:1], v[58:59], v[92:93], v[0:1] op_sel_hi:[1,0,1]
	v_pk_fma_f32 v[4:5], v[8:9], v[92:93], v[4:5] op_sel_hi:[1,0,1]
	;; [unrolled: 13-line block ×3, first 2 shown]
	v_pk_fma_f32 v[0:1], v[22:23], v[48:49], v[0:1] op_sel_hi:[1,0,1]
	v_pk_fma_f32 v[4:5], v[78:79], v[48:49], v[4:5] op_sel_hi:[1,0,1]
	;; [unrolled: 1-line block ×8, first 2 shown]
	s_andn2_b64 exec, exec, s[10:11]
	s_cbranch_execnz .LBB93_33
; %bb.34:
	s_or_b64 exec, exec, s[10:11]
.LBB93_35:
	s_or_b64 exec, exec, s[2:3]
.LBB93_36:
	s_or_b64 exec, exec, s[6:7]
.LBB93_37:
	v_mov_b32_dpp v0, v36 row_shr:1 row_mask:0xf bank_mask:0xf
	v_mov_b32_dpp v1, v37 row_shr:1 row_mask:0xf bank_mask:0xf
	;; [unrolled: 1-line block ×4, first 2 shown]
	v_pk_add_f32 v[0:1], v[36:37], v[0:1]
	v_pk_add_f32 v[4:5], v[34:35], v[4:5]
	v_cmp_eq_u32_e32 vcc, 31, v29
	v_mov_b32_dpp v2, v0 row_shr:2 row_mask:0xf bank_mask:0xf
	v_mov_b32_dpp v3, v1 row_shr:2 row_mask:0xf bank_mask:0xf
	v_mov_b32_dpp v6, v4 row_shr:2 row_mask:0xf bank_mask:0xf
	v_mov_b32_dpp v7, v5 row_shr:2 row_mask:0xf bank_mask:0xf
	v_pk_add_f32 v[0:1], v[0:1], v[2:3]
	v_pk_add_f32 v[4:5], v[4:5], v[6:7]
	s_nop 0
	v_mov_b32_dpp v2, v0 row_shr:4 row_mask:0xf bank_mask:0xe
	v_mov_b32_dpp v3, v1 row_shr:4 row_mask:0xf bank_mask:0xe
	v_mov_b32_dpp v6, v4 row_shr:4 row_mask:0xf bank_mask:0xe
	v_mov_b32_dpp v7, v5 row_shr:4 row_mask:0xf bank_mask:0xe
	v_pk_add_f32 v[0:1], v[0:1], v[2:3]
	v_pk_add_f32 v[4:5], v[4:5], v[6:7]
	s_nop 0
	;; [unrolled: 7-line block ×3, first 2 shown]
	v_mov_b32_dpp v2, v0 row_bcast:15 row_mask:0xa bank_mask:0xf
	v_mov_b32_dpp v3, v1 row_bcast:15 row_mask:0xa bank_mask:0xf
	;; [unrolled: 1-line block ×4, first 2 shown]
	s_and_b64 exec, exec, vcc
	s_cbranch_execz .LBB93_10
; %bb.38:
	s_load_dwordx2 s[0:1], s[0:1], 0x50
	v_cmp_eq_f32_e64 s[2:3], s14, 0
	v_pk_add_f32 v[2:3], v[0:1], v[2:3]
	v_pk_add_f32 v[0:1], v[4:5], v[6:7]
	s_and_b64 vcc, exec, s[2:3]
	v_lshlrev_b32_e32 v4, 2, v28
	s_cbranch_vccz .LBB93_40
; %bb.39:
	v_ashrrev_i32_e32 v5, 31, v4
	s_waitcnt lgkmcnt(0)
	v_lshl_add_u64 v[10:11], v[4:5], 2, s[0:1]
	v_pk_mul_f32 v[6:7], s[12:13], v[2:3] op_sel_hi:[0,1]
	v_pk_mul_f32 v[8:9], s[12:13], v[0:1] op_sel_hi:[0,1]
	global_store_dwordx4 v[10:11], v[6:9], off
	s_cbranch_execnz .LBB93_10
	s_branch .LBB93_41
.LBB93_40:
.LBB93_41:
	v_ashrrev_i32_e32 v5, 31, v4
	s_waitcnt lgkmcnt(0)
	v_lshl_add_u64 v[8:9], v[4:5], 2, s[0:1]
	global_load_dwordx4 v[4:7], v[8:9], off
	v_pk_mul_f32 v[2:3], s[12:13], v[2:3] op_sel_hi:[0,1]
	v_pk_mul_f32 v[10:11], s[12:13], v[0:1] op_sel_hi:[0,1]
	s_waitcnt vmcnt(0)
	v_pk_fma_f32 v[0:1], s[14:15], v[4:5], v[2:3] op_sel_hi:[0,1,1]
	v_pk_fma_f32 v[2:3], s[14:15], v[6:7], v[10:11] op_sel_hi:[0,1,1]
	global_store_dwordx4 v[8:9], v[0:3], off
	s_endpgm
	.section	.rodata,"a",@progbits
	.p2align	6, 0x0
	.amdhsa_kernel _ZN9rocsparseL18bsrxmvn_4x4_kernelILj128ELj32EfiiDF16_DF16_fEEvT3_20rocsparse_direction_NS_24const_host_device_scalarIT1_EES1_PKS1_PKT2_SA_S7_PKT4_PKT5_S5_PT6_21rocsparse_index_base_b
		.amdhsa_group_segment_fixed_size 0
		.amdhsa_private_segment_fixed_size 0
		.amdhsa_kernarg_size 96
		.amdhsa_user_sgpr_count 2
		.amdhsa_user_sgpr_dispatch_ptr 0
		.amdhsa_user_sgpr_queue_ptr 0
		.amdhsa_user_sgpr_kernarg_segment_ptr 1
		.amdhsa_user_sgpr_dispatch_id 0
		.amdhsa_user_sgpr_kernarg_preload_length 0
		.amdhsa_user_sgpr_kernarg_preload_offset 0
		.amdhsa_user_sgpr_private_segment_size 0
		.amdhsa_uses_dynamic_stack 0
		.amdhsa_enable_private_segment 0
		.amdhsa_system_sgpr_workgroup_id_x 1
		.amdhsa_system_sgpr_workgroup_id_y 0
		.amdhsa_system_sgpr_workgroup_id_z 0
		.amdhsa_system_sgpr_workgroup_info 0
		.amdhsa_system_vgpr_workitem_id 0
		.amdhsa_next_free_vgpr 100
		.amdhsa_next_free_sgpr 22
		.amdhsa_accum_offset 100
		.amdhsa_reserve_vcc 1
		.amdhsa_float_round_mode_32 0
		.amdhsa_float_round_mode_16_64 0
		.amdhsa_float_denorm_mode_32 3
		.amdhsa_float_denorm_mode_16_64 3
		.amdhsa_dx10_clamp 1
		.amdhsa_ieee_mode 1
		.amdhsa_fp16_overflow 0
		.amdhsa_tg_split 0
		.amdhsa_exception_fp_ieee_invalid_op 0
		.amdhsa_exception_fp_denorm_src 0
		.amdhsa_exception_fp_ieee_div_zero 0
		.amdhsa_exception_fp_ieee_overflow 0
		.amdhsa_exception_fp_ieee_underflow 0
		.amdhsa_exception_fp_ieee_inexact 0
		.amdhsa_exception_int_div_zero 0
	.end_amdhsa_kernel
	.section	.text._ZN9rocsparseL18bsrxmvn_4x4_kernelILj128ELj32EfiiDF16_DF16_fEEvT3_20rocsparse_direction_NS_24const_host_device_scalarIT1_EES1_PKS1_PKT2_SA_S7_PKT4_PKT5_S5_PT6_21rocsparse_index_base_b,"axG",@progbits,_ZN9rocsparseL18bsrxmvn_4x4_kernelILj128ELj32EfiiDF16_DF16_fEEvT3_20rocsparse_direction_NS_24const_host_device_scalarIT1_EES1_PKS1_PKT2_SA_S7_PKT4_PKT5_S5_PT6_21rocsparse_index_base_b,comdat
.Lfunc_end93:
	.size	_ZN9rocsparseL18bsrxmvn_4x4_kernelILj128ELj32EfiiDF16_DF16_fEEvT3_20rocsparse_direction_NS_24const_host_device_scalarIT1_EES1_PKS1_PKT2_SA_S7_PKT4_PKT5_S5_PT6_21rocsparse_index_base_b, .Lfunc_end93-_ZN9rocsparseL18bsrxmvn_4x4_kernelILj128ELj32EfiiDF16_DF16_fEEvT3_20rocsparse_direction_NS_24const_host_device_scalarIT1_EES1_PKS1_PKT2_SA_S7_PKT4_PKT5_S5_PT6_21rocsparse_index_base_b
                                        ; -- End function
	.set _ZN9rocsparseL18bsrxmvn_4x4_kernelILj128ELj32EfiiDF16_DF16_fEEvT3_20rocsparse_direction_NS_24const_host_device_scalarIT1_EES1_PKS1_PKT2_SA_S7_PKT4_PKT5_S5_PT6_21rocsparse_index_base_b.num_vgpr, 100
	.set _ZN9rocsparseL18bsrxmvn_4x4_kernelILj128ELj32EfiiDF16_DF16_fEEvT3_20rocsparse_direction_NS_24const_host_device_scalarIT1_EES1_PKS1_PKT2_SA_S7_PKT4_PKT5_S5_PT6_21rocsparse_index_base_b.num_agpr, 0
	.set _ZN9rocsparseL18bsrxmvn_4x4_kernelILj128ELj32EfiiDF16_DF16_fEEvT3_20rocsparse_direction_NS_24const_host_device_scalarIT1_EES1_PKS1_PKT2_SA_S7_PKT4_PKT5_S5_PT6_21rocsparse_index_base_b.numbered_sgpr, 22
	.set _ZN9rocsparseL18bsrxmvn_4x4_kernelILj128ELj32EfiiDF16_DF16_fEEvT3_20rocsparse_direction_NS_24const_host_device_scalarIT1_EES1_PKS1_PKT2_SA_S7_PKT4_PKT5_S5_PT6_21rocsparse_index_base_b.num_named_barrier, 0
	.set _ZN9rocsparseL18bsrxmvn_4x4_kernelILj128ELj32EfiiDF16_DF16_fEEvT3_20rocsparse_direction_NS_24const_host_device_scalarIT1_EES1_PKS1_PKT2_SA_S7_PKT4_PKT5_S5_PT6_21rocsparse_index_base_b.private_seg_size, 0
	.set _ZN9rocsparseL18bsrxmvn_4x4_kernelILj128ELj32EfiiDF16_DF16_fEEvT3_20rocsparse_direction_NS_24const_host_device_scalarIT1_EES1_PKS1_PKT2_SA_S7_PKT4_PKT5_S5_PT6_21rocsparse_index_base_b.uses_vcc, 1
	.set _ZN9rocsparseL18bsrxmvn_4x4_kernelILj128ELj32EfiiDF16_DF16_fEEvT3_20rocsparse_direction_NS_24const_host_device_scalarIT1_EES1_PKS1_PKT2_SA_S7_PKT4_PKT5_S5_PT6_21rocsparse_index_base_b.uses_flat_scratch, 0
	.set _ZN9rocsparseL18bsrxmvn_4x4_kernelILj128ELj32EfiiDF16_DF16_fEEvT3_20rocsparse_direction_NS_24const_host_device_scalarIT1_EES1_PKS1_PKT2_SA_S7_PKT4_PKT5_S5_PT6_21rocsparse_index_base_b.has_dyn_sized_stack, 0
	.set _ZN9rocsparseL18bsrxmvn_4x4_kernelILj128ELj32EfiiDF16_DF16_fEEvT3_20rocsparse_direction_NS_24const_host_device_scalarIT1_EES1_PKS1_PKT2_SA_S7_PKT4_PKT5_S5_PT6_21rocsparse_index_base_b.has_recursion, 0
	.set _ZN9rocsparseL18bsrxmvn_4x4_kernelILj128ELj32EfiiDF16_DF16_fEEvT3_20rocsparse_direction_NS_24const_host_device_scalarIT1_EES1_PKS1_PKT2_SA_S7_PKT4_PKT5_S5_PT6_21rocsparse_index_base_b.has_indirect_call, 0
	.section	.AMDGPU.csdata,"",@progbits
; Kernel info:
; codeLenInByte = 3848
; TotalNumSgprs: 28
; NumVgprs: 100
; NumAgprs: 0
; TotalNumVgprs: 100
; ScratchSize: 0
; MemoryBound: 0
; FloatMode: 240
; IeeeMode: 1
; LDSByteSize: 0 bytes/workgroup (compile time only)
; SGPRBlocks: 3
; VGPRBlocks: 12
; NumSGPRsForWavesPerEU: 28
; NumVGPRsForWavesPerEU: 100
; AccumOffset: 100
; Occupancy: 4
; WaveLimiterHint : 1
; COMPUTE_PGM_RSRC2:SCRATCH_EN: 0
; COMPUTE_PGM_RSRC2:USER_SGPR: 2
; COMPUTE_PGM_RSRC2:TRAP_HANDLER: 0
; COMPUTE_PGM_RSRC2:TGID_X_EN: 1
; COMPUTE_PGM_RSRC2:TGID_Y_EN: 0
; COMPUTE_PGM_RSRC2:TGID_Z_EN: 0
; COMPUTE_PGM_RSRC2:TIDIG_COMP_CNT: 0
; COMPUTE_PGM_RSRC3_GFX90A:ACCUM_OFFSET: 24
; COMPUTE_PGM_RSRC3_GFX90A:TG_SPLIT: 0
	.section	.text._ZN9rocsparseL18bsrxmvn_4x4_kernelILj128ELj64EfiiDF16_DF16_fEEvT3_20rocsparse_direction_NS_24const_host_device_scalarIT1_EES1_PKS1_PKT2_SA_S7_PKT4_PKT5_S5_PT6_21rocsparse_index_base_b,"axG",@progbits,_ZN9rocsparseL18bsrxmvn_4x4_kernelILj128ELj64EfiiDF16_DF16_fEEvT3_20rocsparse_direction_NS_24const_host_device_scalarIT1_EES1_PKS1_PKT2_SA_S7_PKT4_PKT5_S5_PT6_21rocsparse_index_base_b,comdat
	.globl	_ZN9rocsparseL18bsrxmvn_4x4_kernelILj128ELj64EfiiDF16_DF16_fEEvT3_20rocsparse_direction_NS_24const_host_device_scalarIT1_EES1_PKS1_PKT2_SA_S7_PKT4_PKT5_S5_PT6_21rocsparse_index_base_b ; -- Begin function _ZN9rocsparseL18bsrxmvn_4x4_kernelILj128ELj64EfiiDF16_DF16_fEEvT3_20rocsparse_direction_NS_24const_host_device_scalarIT1_EES1_PKS1_PKT2_SA_S7_PKT4_PKT5_S5_PT6_21rocsparse_index_base_b
	.p2align	8
	.type	_ZN9rocsparseL18bsrxmvn_4x4_kernelILj128ELj64EfiiDF16_DF16_fEEvT3_20rocsparse_direction_NS_24const_host_device_scalarIT1_EES1_PKS1_PKT2_SA_S7_PKT4_PKT5_S5_PT6_21rocsparse_index_base_b,@function
_ZN9rocsparseL18bsrxmvn_4x4_kernelILj128ELj64EfiiDF16_DF16_fEEvT3_20rocsparse_direction_NS_24const_host_device_scalarIT1_EES1_PKS1_PKT2_SA_S7_PKT4_PKT5_S5_PT6_21rocsparse_index_base_b: ; @_ZN9rocsparseL18bsrxmvn_4x4_kernelILj128ELj64EfiiDF16_DF16_fEEvT3_20rocsparse_direction_NS_24const_host_device_scalarIT1_EES1_PKS1_PKT2_SA_S7_PKT4_PKT5_S5_PT6_21rocsparse_index_base_b
; %bb.0:
	s_load_dwordx2 s[16:17], s[0:1], 0x58
	s_load_dwordx2 s[12:13], s[0:1], 0x8
	;; [unrolled: 1-line block ×3, first 2 shown]
	s_waitcnt lgkmcnt(0)
	s_bitcmp1_b32 s17, 0
	s_cselect_b64 s[6:7], -1, 0
	s_xor_b64 s[4:5], s[6:7], -1
	s_and_b64 vcc, exec, s[6:7]
	s_cbranch_vccnz .LBB94_2
; %bb.1:
	s_load_dword s12, s[12:13], 0x0
.LBB94_2:
	s_andn2_b64 vcc, exec, s[4:5]
	s_cbranch_vccnz .LBB94_4
; %bb.3:
	s_load_dword s14, s[14:15], 0x0
.LBB94_4:
	s_waitcnt lgkmcnt(0)
	v_cmp_neq_f32_e64 s[4:5], s12, 0
	v_cmp_neq_f32_e64 s[6:7], s14, 1.0
	s_or_b64 s[4:5], s[4:5], s[6:7]
	s_andn2_b64 vcc, exec, s[4:5]
	s_cbranch_vccnz .LBB94_10
; %bb.5:
	s_load_dwordx2 s[4:5], s[0:1], 0x18
	s_load_dwordx2 s[18:19], s[0:1], 0x0
	v_lshrrev_b32_e32 v1, 6, v0
	v_lshl_or_b32 v16, s2, 1, v1
	s_mov_b64 s[2:3], 0
	s_waitcnt lgkmcnt(0)
	s_cmp_lg_u64 s[4:5], 0
	s_cbranch_scc0 .LBB94_11
; %bb.6:
	s_load_dword s6, s[0:1], 0x10
                                        ; implicit-def: $vgpr1
	s_waitcnt lgkmcnt(0)
	v_cmp_gt_i32_e32 vcc, s6, v16
	s_and_saveexec_b64 s[6:7], vcc
	s_xor_b64 s[6:7], exec, s[6:7]
	s_cbranch_execz .LBB94_8
; %bb.7:
	v_ashrrev_i32_e32 v17, 31, v16
	v_lshl_add_u64 v[2:3], v[16:17], 2, s[4:5]
	global_load_dword v1, v[2:3], off
	s_mov_b64 s[2:3], exec
	s_waitcnt vmcnt(0)
	v_subrev_u32_e32 v1, s16, v1
.LBB94_8:
	s_or_b64 exec, exec, s[6:7]
	s_branch .LBB94_12
.LBB94_9:
	v_cmp_gt_i32_e32 vcc, s18, v16
	s_andn2_b64 s[2:3], s[2:3], exec
	s_and_b64 s[4:5], vcc, exec
	s_or_b64 s[2:3], s[2:3], s[4:5]
	s_and_saveexec_b64 s[4:5], s[2:3]
	s_cbranch_execnz .LBB94_13
.LBB94_10:
	s_endpgm
.LBB94_11:
                                        ; implicit-def: $vgpr1
	s_cbranch_execnz .LBB94_9
.LBB94_12:
	v_mov_b32_e32 v16, v1
	s_and_saveexec_b64 s[4:5], s[2:3]
	s_cbranch_execz .LBB94_10
.LBB94_13:
	s_load_dwordx8 s[4:11], s[0:1], 0x20
	v_ashrrev_i32_e32 v17, 31, v16
	v_lshlrev_b64 v[2:3], 2, v[16:17]
	v_and_b32_e32 v17, 63, v0
	s_waitcnt lgkmcnt(0)
	v_lshl_add_u64 v[6:7], s[4:5], 0, v[2:3]
	s_cmp_eq_u64 s[6:7], 0
	global_load_dword v4, v[6:7], off
	v_lshl_add_u64 v[6:7], v[6:7], 0, 4
	v_lshl_add_u64 v[2:3], s[6:7], 0, v[2:3]
	s_cselect_b64 vcc, -1, 0
	v_cndmask_b32_e32 v3, v3, v7, vcc
	v_cndmask_b32_e32 v2, v2, v6, vcc
	global_load_dword v1, v[2:3], off
	s_load_dwordx2 s[4:5], s[0:1], 0x40
	s_cmp_eq_u32 s19, 1
	s_waitcnt vmcnt(1)
	v_subrev_u32_e32 v0, s16, v4
	v_add_u32_e32 v18, v0, v17
	v_ashrrev_i32_e32 v19, 31, v18
	s_waitcnt vmcnt(0)
	v_subrev_u32_e32 v28, s16, v1
	v_lshlrev_b64 v[0:1], 5, v[18:19]
	v_lshl_add_u64 v[20:21], s[10:11], 0, v[0:1]
	v_cmp_lt_i32_e64 s[2:3], v18, v28
	s_cbranch_scc1 .LBB94_25
; %bb.14:
	v_mov_b32_e32 v23, 0
	v_mov_b32_e32 v22, 0
	;; [unrolled: 1-line block ×4, first 2 shown]
	s_and_saveexec_b64 s[6:7], s[2:3]
	s_cbranch_execz .LBB94_24
; %bb.15:
	v_add_u32_e32 v0, v4, v17
	v_subrev_u32_e32 v0, s16, v0
	v_add_u32_e32 v0, 64, v0
	v_max_i32_e32 v0, v0, v28
	v_not_b32_e32 v1, v4
	v_add3_u32 v0, s16, v0, v1
	v_sub_u32_e32 v5, v0, v17
	v_mov_b32_e32 v22, 0
	s_movk_i32 s10, 0xc0
	v_and_b32_e32 v0, 0xc0, v5
	v_mov_b32_e32 v23, v22
	v_cmp_ne_u32_e32 vcc, s10, v0
	v_mov_b64_e32 v[24:25], v[22:23]
	v_mov_b32_e32 v0, v18
	v_mov_b64_e32 v[2:3], v[20:21]
	s_and_saveexec_b64 s[10:11], vcc
	s_cbranch_execz .LBB94_19
; %bb.16:
	v_lshrrev_b32_e32 v0, 6, v5
	v_add_u32_e32 v0, 1, v0
	v_and_b32_e32 v0, 3, v0
	v_sub_u32_e32 v6, 0, v0
	s_mov_b64 s[18:19], 0
	s_mov_b64 s[20:21], 0x800
	v_mov_b64_e32 v[2:3], v[20:21]
	v_mov_b32_e32 v0, v18
	v_mov_b32_e32 v23, v22
	;; [unrolled: 1-line block ×4, first 2 shown]
.LBB94_17:                              ; =>This Inner Loop Header: Depth=1
	v_ashrrev_i32_e32 v1, 31, v0
	v_lshl_add_u64 v[26:27], v[0:1], 2, s[8:9]
	global_load_dword v1, v[26:27], off
	global_load_dwordx4 v[8:11], v[2:3], off
	global_load_dwordx4 v[12:15], v[2:3], off offset:16
	v_add_co_u32_e32 v6, vcc, 1, v6
	v_lshl_add_u64 v[2:3], v[2:3], 0, s[20:21]
	v_add_u32_e32 v0, 64, v0
	s_or_b64 s[18:19], vcc, s[18:19]
	s_waitcnt vmcnt(2)
	v_subrev_u32_e32 v1, s16, v1
	v_lshlrev_b32_e32 v26, 2, v1
	v_ashrrev_i32_e32 v27, 31, v26
	s_waitcnt lgkmcnt(0)
	v_lshl_add_u64 v[26:27], v[26:27], 1, s[4:5]
	global_load_dwordx2 v[26:27], v[26:27], off
	s_waitcnt vmcnt(2)
	v_cvt_f32_f16_e32 v33, v10
	v_cvt_f32_f16_e32 v32, v8
	s_waitcnt vmcnt(1)
	v_cvt_f32_f16_e32 v37, v14
	v_cvt_f32_f16_e32 v36, v12
	v_cvt_f32_f16_sdwa v38, v12 dst_sel:DWORD dst_unused:UNUSED_PAD src0_sel:WORD_1
	v_cvt_f32_f16_sdwa v35, v10 dst_sel:DWORD dst_unused:UNUSED_PAD src0_sel:WORD_1
	;; [unrolled: 1-line block ×4, first 2 shown]
	v_cvt_f32_f16_e32 v30, v9
	v_cvt_f32_f16_e32 v31, v11
	v_cvt_f32_f16_sdwa v10, v9 dst_sel:DWORD dst_unused:UNUSED_PAD src0_sel:WORD_1
	v_cvt_f32_f16_e32 v8, v13
	v_cvt_f32_f16_e32 v9, v15
	v_cvt_f32_f16_sdwa v11, v11 dst_sel:DWORD dst_unused:UNUSED_PAD src0_sel:WORD_1
	v_cvt_f32_f16_sdwa v15, v15 dst_sel:DWORD dst_unused:UNUSED_PAD src0_sel:WORD_1
	v_cvt_f32_f16_sdwa v14, v13 dst_sel:DWORD dst_unused:UNUSED_PAD src0_sel:WORD_1
	s_waitcnt vmcnt(0)
	v_cvt_f32_f16_e32 v12, v26
	v_cvt_f32_f16_sdwa v26, v26 dst_sel:DWORD dst_unused:UNUSED_PAD src0_sel:WORD_1
	v_cvt_f32_f16_e32 v40, v27
	v_cvt_f32_f16_sdwa v42, v27 dst_sel:DWORD dst_unused:UNUSED_PAD src0_sel:WORD_1
	v_pk_fma_f32 v[24:25], v[32:33], v[12:13], v[24:25] op_sel_hi:[1,0,1]
	v_pk_fma_f32 v[12:13], v[36:37], v[12:13], v[22:23] op_sel_hi:[1,0,1]
	v_pk_fma_f32 v[22:23], v[34:35], v[26:27], v[24:25] op_sel_hi:[1,0,1]
	v_pk_fma_f32 v[12:13], v[38:39], v[26:27], v[12:13] op_sel_hi:[1,0,1]
	v_pk_fma_f32 v[22:23], v[30:31], v[40:41], v[22:23] op_sel_hi:[1,0,1]
	v_pk_fma_f32 v[8:9], v[8:9], v[40:41], v[12:13] op_sel_hi:[1,0,1]
	v_pk_fma_f32 v[24:25], v[10:11], v[42:43], v[22:23] op_sel_hi:[1,0,1]
	v_pk_fma_f32 v[22:23], v[14:15], v[42:43], v[8:9] op_sel_hi:[1,0,1]
	s_andn2_b64 exec, exec, s[18:19]
	s_cbranch_execnz .LBB94_17
; %bb.18:
	s_or_b64 exec, exec, s[18:19]
.LBB94_19:
	s_or_b64 exec, exec, s[10:11]
	s_movk_i32 s10, 0xbf
	v_cmp_lt_u32_e32 vcc, s10, v5
	s_and_saveexec_b64 s[10:11], vcc
	s_cbranch_execz .LBB94_23
; %bb.20:
	s_mov_b64 s[18:19], 0x181e
	v_lshl_add_u64 v[2:3], v[2:3], 0, s[18:19]
	s_mov_b64 s[18:19], 0
	s_movk_i32 s13, 0xf000
	s_mov_b64 s[20:21], 0x2000
.LBB94_21:                              ; =>This Inner Loop Header: Depth=1
	v_ashrrev_i32_e32 v1, 31, v0
	v_add_co_u32_e32 v14, vcc, s13, v2
	v_lshl_add_u64 v[26:27], v[0:1], 2, s[8:9]
	s_nop 0
	v_addc_co_u32_e32 v15, vcc, -1, v3, vcc
	global_load_dwordx4 v[6:9], v[2:3], off offset:-2078
	global_load_dwordx4 v[10:13], v[2:3], off offset:-2062
	;; [unrolled: 1-line block ×8, first 2 shown]
	global_load_dword v1, v[26:27], off
	global_load_dword v5, v[26:27], off offset:256
	global_load_dword v19, v[26:27], off offset:512
	;; [unrolled: 1-line block ×3, first 2 shown]
	v_add_u32_e32 v0, 0x100, v0
	v_cmp_ge_i32_e32 vcc, v0, v28
	v_lshl_add_u64 v[2:3], v[2:3], 0, s[20:21]
	s_or_b64 s[18:19], vcc, s[18:19]
	s_waitcnt vmcnt(11)
	v_cvt_f32_f16_e32 v27, v8
	s_waitcnt vmcnt(3)
	v_subrev_u32_e32 v1, s16, v1
	s_waitcnt vmcnt(2)
	v_subrev_u32_e32 v5, s16, v5
	;; [unrolled: 2-line block ×4, first 2 shown]
	v_lshlrev_b32_e32 v64, 2, v1
	v_lshlrev_b32_e32 v66, 2, v5
	;; [unrolled: 1-line block ×4, first 2 shown]
	v_ashrrev_i32_e32 v65, 31, v64
	v_ashrrev_i32_e32 v67, 31, v66
	;; [unrolled: 1-line block ×4, first 2 shown]
	s_waitcnt lgkmcnt(0)
	v_lshl_add_u64 v[64:65], v[64:65], 1, s[4:5]
	v_lshl_add_u64 v[66:67], v[66:67], 1, s[4:5]
	;; [unrolled: 1-line block ×4, first 2 shown]
	global_load_dwordx2 v[72:73], v[64:65], off
	global_load_dwordx2 v[74:75], v[66:67], off
	;; [unrolled: 1-line block ×4, first 2 shown]
	v_cvt_f32_f16_e32 v69, v40
	v_cvt_f32_f16_e32 v68, v38
	;; [unrolled: 1-line block ×5, first 2 shown]
	v_cvt_f32_f16_sdwa v90, v50 dst_sel:DWORD dst_unused:UNUSED_PAD src0_sel:WORD_1
	v_cvt_f32_f16_sdwa v71, v40 dst_sel:DWORD dst_unused:UNUSED_PAD src0_sel:WORD_1
	v_cvt_f32_f16_sdwa v70, v38 dst_sel:DWORD dst_unused:UNUSED_PAD src0_sel:WORD_1
	v_cvt_f32_f16_sdwa v83, v44 dst_sel:DWORD dst_unused:UNUSED_PAD src0_sel:WORD_1
	v_cvt_f32_f16_sdwa v82, v42 dst_sel:DWORD dst_unused:UNUSED_PAD src0_sel:WORD_1
	v_cvt_f32_f16_e32 v60, v30
	v_cvt_f32_f16_sdwa v62, v30 dst_sel:DWORD dst_unused:UNUSED_PAD src0_sel:WORD_1
	v_cvt_f32_f16_e32 v30, v35
	v_cvt_f32_f16_e32 v65, v36
	;; [unrolled: 1-line block ×3, first 2 shown]
	v_cvt_f32_f16_sdwa v67, v36 dst_sel:DWORD dst_unused:UNUSED_PAD src0_sel:WORD_1
	v_cvt_f32_f16_sdwa v66, v34 dst_sel:DWORD dst_unused:UNUSED_PAD src0_sel:WORD_1
	;; [unrolled: 1-line block ×3, first 2 shown]
	v_cvt_f32_f16_e32 v34, v39
	v_cvt_f32_f16_e32 v35, v41
	v_cvt_f32_f16_sdwa v40, v39 dst_sel:DWORD dst_unused:UNUSED_PAD src0_sel:WORD_1
	v_cvt_f32_f16_e32 v38, v43
	v_cvt_f32_f16_e32 v39, v45
	v_cvt_f32_f16_sdwa v41, v41 dst_sel:DWORD dst_unused:UNUSED_PAD src0_sel:WORD_1
	v_cvt_f32_f16_sdwa v45, v45 dst_sel:DWORD dst_unused:UNUSED_PAD src0_sel:WORD_1
	;; [unrolled: 1-line block ×3, first 2 shown]
	v_cvt_f32_f16_e32 v85, v48
	v_cvt_f32_f16_e32 v84, v46
	;; [unrolled: 1-line block ×3, first 2 shown]
	v_cvt_f32_f16_sdwa v87, v48 dst_sel:DWORD dst_unused:UNUSED_PAD src0_sel:WORD_1
	v_cvt_f32_f16_sdwa v86, v46 dst_sel:DWORD dst_unused:UNUSED_PAD src0_sel:WORD_1
	;; [unrolled: 1-line block ×3, first 2 shown]
	v_cvt_f32_f16_e32 v42, v47
	v_cvt_f32_f16_e32 v43, v49
	v_cvt_f32_f16_sdwa v48, v47 dst_sel:DWORD dst_unused:UNUSED_PAD src0_sel:WORD_1
	v_cvt_f32_f16_e32 v46, v51
	v_cvt_f32_f16_e32 v47, v53
	v_cvt_f32_f16_sdwa v49, v49 dst_sel:DWORD dst_unused:UNUSED_PAD src0_sel:WORD_1
	v_cvt_f32_f16_sdwa v53, v53 dst_sel:DWORD dst_unused:UNUSED_PAD src0_sel:WORD_1
	v_cvt_f32_f16_sdwa v52, v51 dst_sel:DWORD dst_unused:UNUSED_PAD src0_sel:WORD_1
	v_cvt_f32_f16_e32 v26, v6
	v_cvt_f32_f16_e32 v57, v12
	;; [unrolled: 1-line block ×3, first 2 shown]
	v_cvt_f32_f16_sdwa v55, v8 dst_sel:DWORD dst_unused:UNUSED_PAD src0_sel:WORD_1
	v_cvt_f32_f16_sdwa v54, v6 dst_sel:DWORD dst_unused:UNUSED_PAD src0_sel:WORD_1
	;; [unrolled: 1-line block ×4, first 2 shown]
	v_cvt_f32_f16_e32 v14, v7
	v_cvt_f32_f16_e32 v15, v9
	v_cvt_f32_f16_sdwa v8, v7 dst_sel:DWORD dst_unused:UNUSED_PAD src0_sel:WORD_1
	v_cvt_f32_f16_e32 v6, v11
	v_cvt_f32_f16_e32 v7, v13
	v_cvt_f32_f16_sdwa v9, v9 dst_sel:DWORD dst_unused:UNUSED_PAD src0_sel:WORD_1
	v_cvt_f32_f16_sdwa v13, v13 dst_sel:DWORD dst_unused:UNUSED_PAD src0_sel:WORD_1
	;; [unrolled: 1-line block ×3, first 2 shown]
	v_cvt_f32_f16_e32 v61, v32
	v_cvt_f32_f16_sdwa v63, v32 dst_sel:DWORD dst_unused:UNUSED_PAD src0_sel:WORD_1
	v_cvt_f32_f16_e32 v10, v31
	v_cvt_f32_f16_e32 v11, v33
	v_cvt_f32_f16_sdwa v32, v31 dst_sel:DWORD dst_unused:UNUSED_PAD src0_sel:WORD_1
	v_cvt_f32_f16_e32 v31, v37
	v_cvt_f32_f16_sdwa v33, v33 dst_sel:DWORD dst_unused:UNUSED_PAD src0_sel:WORD_1
	v_cvt_f32_f16_sdwa v37, v37 dst_sel:DWORD dst_unused:UNUSED_PAD src0_sel:WORD_1
	s_waitcnt vmcnt(3)
	v_cvt_f32_f16_e32 v50, v72
	v_cvt_f32_f16_sdwa v72, v72 dst_sel:DWORD dst_unused:UNUSED_PAD src0_sel:WORD_1
	v_cvt_f32_f16_e32 v92, v73
	v_cvt_f32_f16_sdwa v94, v73 dst_sel:DWORD dst_unused:UNUSED_PAD src0_sel:WORD_1
	s_waitcnt vmcnt(2)
	v_cvt_f32_f16_e32 v96, v74
	v_pk_fma_f32 v[24:25], v[68:69], v[50:51], v[24:25] op_sel_hi:[1,0,1]
	v_pk_fma_f32 v[22:23], v[80:81], v[50:51], v[22:23] op_sel_hi:[1,0,1]
	v_cvt_f32_f16_sdwa v74, v74 dst_sel:DWORD dst_unused:UNUSED_PAD src0_sel:WORD_1
	v_pk_fma_f32 v[24:25], v[70:71], v[72:73], v[24:25] op_sel_hi:[1,0,1]
	v_pk_fma_f32 v[22:23], v[82:83], v[72:73], v[22:23] op_sel_hi:[1,0,1]
	v_cvt_f32_f16_e32 v68, v75
	v_pk_fma_f32 v[24:25], v[34:35], v[92:93], v[24:25] op_sel_hi:[1,0,1]
	v_pk_fma_f32 v[22:23], v[38:39], v[92:93], v[22:23] op_sel_hi:[1,0,1]
	v_cvt_f32_f16_sdwa v98, v75 dst_sel:DWORD dst_unused:UNUSED_PAD src0_sel:WORD_1
	v_pk_fma_f32 v[24:25], v[40:41], v[94:95], v[24:25] op_sel_hi:[1,0,1]
	v_pk_fma_f32 v[22:23], v[44:45], v[94:95], v[22:23] op_sel_hi:[1,0,1]
	s_waitcnt vmcnt(1)
	v_cvt_f32_f16_e32 v50, v76
	v_pk_fma_f32 v[24:25], v[84:85], v[96:97], v[24:25] op_sel_hi:[1,0,1]
	v_pk_fma_f32 v[22:23], v[88:89], v[96:97], v[22:23] op_sel_hi:[1,0,1]
	v_cvt_f32_f16_sdwa v76, v76 dst_sel:DWORD dst_unused:UNUSED_PAD src0_sel:WORD_1
	v_pk_fma_f32 v[24:25], v[86:87], v[74:75], v[24:25] op_sel_hi:[1,0,1]
	v_pk_fma_f32 v[22:23], v[90:91], v[74:75], v[22:23] op_sel_hi:[1,0,1]
	v_cvt_f32_f16_e32 v70, v77
	v_pk_fma_f32 v[24:25], v[42:43], v[68:69], v[24:25] op_sel_hi:[1,0,1]
	v_pk_fma_f32 v[22:23], v[46:47], v[68:69], v[22:23] op_sel_hi:[1,0,1]
	v_cvt_f32_f16_sdwa v80, v77 dst_sel:DWORD dst_unused:UNUSED_PAD src0_sel:WORD_1
	v_pk_fma_f32 v[24:25], v[48:49], v[98:99], v[24:25] op_sel_hi:[1,0,1]
	v_pk_fma_f32 v[22:23], v[52:53], v[98:99], v[22:23] op_sel_hi:[1,0,1]
	;; [unrolled: 13-line block ×3, first 2 shown]
	v_pk_fma_f32 v[8:9], v[60:61], v[72:73], v[8:9] op_sel_hi:[1,0,1]
	v_pk_fma_f32 v[6:7], v[64:65], v[72:73], v[6:7] op_sel_hi:[1,0,1]
	;; [unrolled: 1-line block ×8, first 2 shown]
	s_andn2_b64 exec, exec, s[18:19]
	s_cbranch_execnz .LBB94_21
; %bb.22:
	s_or_b64 exec, exec, s[18:19]
.LBB94_23:
	s_or_b64 exec, exec, s[10:11]
.LBB94_24:
	s_or_b64 exec, exec, s[6:7]
	s_cbranch_execz .LBB94_26
	s_branch .LBB94_37
.LBB94_25:
                                        ; implicit-def: $vgpr23
                                        ; implicit-def: $vgpr25
.LBB94_26:
	v_mov_b32_e32 v23, 0
	v_mov_b32_e32 v22, 0
	;; [unrolled: 1-line block ×4, first 2 shown]
	s_and_saveexec_b64 s[6:7], s[2:3]
	s_cbranch_execz .LBB94_36
; %bb.27:
	v_add_u32_e32 v0, v4, v17
	v_subrev_u32_e32 v0, s16, v0
	v_add_u32_e32 v0, 64, v0
	v_max_i32_e32 v0, v0, v28
	v_not_b32_e32 v1, v4
	v_add3_u32 v0, s16, v0, v1
	v_sub_u32_e32 v0, v0, v17
	v_mov_b32_e32 v22, 0
	s_movk_i32 s2, 0xc0
	v_and_b32_e32 v1, 0xc0, v0
	v_mov_b32_e32 v23, v22
	v_cmp_ne_u32_e32 vcc, s2, v1
	v_mov_b64_e32 v[24:25], v[22:23]
	s_and_saveexec_b64 s[2:3], vcc
	s_cbranch_execz .LBB94_31
; %bb.28:
	v_lshrrev_b32_e32 v1, 6, v0
	v_add_u32_e32 v1, 1, v1
	v_and_b32_e32 v1, 3, v1
	v_sub_u32_e32 v1, 0, v1
	s_mov_b64 s[10:11], 0
	s_mov_b64 s[18:19], 0x800
	v_mov_b32_e32 v23, v22
	v_mov_b32_e32 v24, v22
	v_mov_b32_e32 v25, v22
.LBB94_29:                              ; =>This Inner Loop Header: Depth=1
	v_ashrrev_i32_e32 v19, 31, v18
	v_lshl_add_u64 v[6:7], v[18:19], 2, s[8:9]
	global_load_dword v8, v[6:7], off
	global_load_dwordx4 v[2:5], v[20:21], off
	v_add_co_u32_e32 v1, vcc, 1, v1
	v_add_u32_e32 v18, 64, v18
	s_or_b64 s[10:11], vcc, s[10:11]
	s_waitcnt vmcnt(1)
	v_subrev_u32_e32 v6, s16, v8
	v_lshlrev_b32_e32 v6, 2, v6
	v_ashrrev_i32_e32 v7, 31, v6
	s_waitcnt lgkmcnt(0)
	v_lshl_add_u64 v[10:11], v[6:7], 1, s[4:5]
	global_load_dwordx2 v[12:13], v[10:11], off
	global_load_dwordx4 v[6:9], v[20:21], off offset:16
	s_waitcnt vmcnt(2)
	v_cvt_f32_f16_sdwa v11, v2 dst_sel:DWORD dst_unused:UNUSED_PAD src0_sel:WORD_1
	v_cvt_f32_f16_e32 v10, v2
	v_cvt_f32_f16_sdwa v15, v4 dst_sel:DWORD dst_unused:UNUSED_PAD src0_sel:WORD_1
	v_cvt_f32_f16_e32 v14, v4
	;; [unrolled: 2-line block ×4, first 2 shown]
	v_lshl_add_u64 v[20:21], v[20:21], 0, s[18:19]
	s_waitcnt vmcnt(1)
	v_cvt_f32_f16_e32 v34, v13
	s_waitcnt vmcnt(0)
	v_cvt_f32_f16_sdwa v5, v6 dst_sel:DWORD dst_unused:UNUSED_PAD src0_sel:WORD_1
	v_cvt_f32_f16_e32 v4, v6
	v_cvt_f32_f16_sdwa v31, v7 dst_sel:DWORD dst_unused:UNUSED_PAD src0_sel:WORD_1
	v_cvt_f32_f16_e32 v30, v7
	;; [unrolled: 2-line block ×3, first 2 shown]
	v_cvt_f32_f16_e32 v8, v12
	v_cvt_f32_f16_sdwa v12, v12 dst_sel:DWORD dst_unused:UNUSED_PAD src0_sel:WORD_1
	v_cvt_f32_f16_sdwa v33, v9 dst_sel:DWORD dst_unused:UNUSED_PAD src0_sel:WORD_1
	v_cvt_f32_f16_e32 v32, v9
	v_cvt_f32_f16_sdwa v36, v13 dst_sel:DWORD dst_unused:UNUSED_PAD src0_sel:WORD_1
	v_pk_fma_f32 v[10:11], v[10:11], v[8:9], v[24:25] op_sel_hi:[1,0,1]
	v_pk_fma_f32 v[8:9], v[26:27], v[8:9], v[22:23] op_sel_hi:[1,0,1]
	v_pk_fma_f32 v[10:11], v[14:15], v[12:13], v[10:11] op_sel_hi:[1,0,1]
	v_pk_fma_f32 v[2:3], v[2:3], v[12:13], v[8:9] op_sel_hi:[1,0,1]
	v_pk_fma_f32 v[4:5], v[4:5], v[34:35], v[10:11] op_sel_hi:[1,0,1]
	v_pk_fma_f32 v[2:3], v[30:31], v[34:35], v[2:3] op_sel_hi:[1,0,1]
	v_pk_fma_f32 v[24:25], v[6:7], v[36:37], v[4:5] op_sel_hi:[1,0,1]
	v_pk_fma_f32 v[22:23], v[32:33], v[36:37], v[2:3] op_sel_hi:[1,0,1]
	s_andn2_b64 exec, exec, s[10:11]
	s_cbranch_execnz .LBB94_29
; %bb.30:
	s_or_b64 exec, exec, s[10:11]
.LBB94_31:
	s_or_b64 exec, exec, s[2:3]
	s_movk_i32 s2, 0xbf
	v_cmp_lt_u32_e32 vcc, s2, v0
	s_and_saveexec_b64 s[2:3], vcc
	s_cbranch_execz .LBB94_35
; %bb.32:
	s_mov_b64 s[10:11], 0
	s_mov_b64 s[18:19], 0x1000
	s_movk_i32 s13, 0x1000
	s_mov_b64 s[20:21], 0x2000
.LBB94_33:                              ; =>This Inner Loop Header: Depth=1
	v_lshl_add_u64 v[26:27], v[20:21], 0, s[18:19]
	v_add_co_u32_e32 v46, vcc, s13, v20
	v_ashrrev_i32_e32 v19, 31, v18
	global_load_dwordx4 v[0:3], v[20:21], off
	global_load_dwordx4 v[4:7], v[20:21], off offset:16
	global_load_dwordx4 v[12:15], v[20:21], off offset:2048
	;; [unrolled: 1-line block ×3, first 2 shown]
	v_addc_co_u32_e32 v47, vcc, 0, v21, vcc
	global_load_dwordx4 v[30:33], v[26:27], off offset:16
	global_load_dwordx4 v[34:37], v[26:27], off offset:2048
	;; [unrolled: 1-line block ×3, first 2 shown]
	global_load_dwordx4 v[42:45], v[46:47], off
	v_lshl_add_u64 v[26:27], v[18:19], 2, s[8:9]
	global_load_dword v19, v[26:27], off
	global_load_dword v29, v[26:27], off offset:256
	global_load_dword v58, v[26:27], off offset:512
	;; [unrolled: 1-line block ×3, first 2 shown]
	v_add_u32_e32 v18, 0x100, v18
	v_cmp_ge_i32_e32 vcc, v18, v28
	v_lshl_add_u64 v[20:21], v[20:21], 0, s[20:21]
	s_or_b64 s[10:11], vcc, s[10:11]
	s_waitcnt vmcnt(11)
	v_cvt_f32_f16_sdwa v27, v0 dst_sel:DWORD dst_unused:UNUSED_PAD src0_sel:WORD_1
	v_cvt_f32_f16_e32 v26, v0
	s_waitcnt vmcnt(9)
	v_cvt_f32_f16_sdwa v55, v14 dst_sel:DWORD dst_unused:UNUSED_PAD src0_sel:WORD_1
	v_cvt_f32_f16_e32 v54, v14
	v_cvt_f32_f16_sdwa v49, v1 dst_sel:DWORD dst_unused:UNUSED_PAD src0_sel:WORD_1
	s_waitcnt vmcnt(3)
	v_subrev_u32_e32 v14, s16, v19
	s_waitcnt vmcnt(2)
	v_subrev_u32_e32 v19, s16, v29
	;; [unrolled: 2-line block ×4, first 2 shown]
	v_lshlrev_b32_e32 v58, 2, v14
	v_lshlrev_b32_e32 v60, 2, v19
	;; [unrolled: 1-line block ×4, first 2 shown]
	v_ashrrev_i32_e32 v59, 31, v58
	v_ashrrev_i32_e32 v61, 31, v60
	;; [unrolled: 1-line block ×4, first 2 shown]
	s_waitcnt lgkmcnt(0)
	v_lshl_add_u64 v[58:59], v[58:59], 1, s[4:5]
	v_lshl_add_u64 v[60:61], v[60:61], 1, s[4:5]
	;; [unrolled: 1-line block ×4, first 2 shown]
	global_load_dwordx2 v[66:67], v[58:59], off
	global_load_dwordx2 v[68:69], v[60:61], off
	;; [unrolled: 1-line block ×4, first 2 shown]
	v_cvt_f32_f16_e32 v48, v1
	v_cvt_f32_f16_sdwa v47, v2 dst_sel:DWORD dst_unused:UNUSED_PAD src0_sel:WORD_1
	v_cvt_f32_f16_e32 v46, v2
	v_cvt_f32_f16_sdwa v1, v3 dst_sel:DWORD dst_unused:UNUSED_PAD src0_sel:WORD_1
	;; [unrolled: 2-line block ×13, first 2 shown]
	v_cvt_f32_f16_e32 v60, v11
	v_cvt_f32_f16_e32 v80, v42
	v_cvt_f32_f16_sdwa v81, v42 dst_sel:DWORD dst_unused:UNUSED_PAD src0_sel:WORD_1
	v_cvt_f32_f16_e32 v42, v43
	v_cvt_f32_f16_sdwa v43, v43 dst_sel:DWORD dst_unused:UNUSED_PAD src0_sel:WORD_1
	;; [unrolled: 2-line block ×16, first 2 shown]
	s_waitcnt vmcnt(3)
	v_cvt_f32_f16_e32 v84, v66
	v_cvt_f32_f16_sdwa v66, v66 dst_sel:DWORD dst_unused:UNUSED_PAD src0_sel:WORD_1
	v_cvt_f32_f16_e32 v86, v67
	v_cvt_f32_f16_sdwa v88, v67 dst_sel:DWORD dst_unused:UNUSED_PAD src0_sel:WORD_1
	s_waitcnt vmcnt(2)
	v_cvt_f32_f16_e32 v90, v68
	v_pk_fma_f32 v[24:25], v[26:27], v[84:85], v[24:25] op_sel_hi:[1,0,1]
	v_pk_fma_f32 v[22:23], v[48:49], v[84:85], v[22:23] op_sel_hi:[1,0,1]
	v_cvt_f32_f16_sdwa v68, v68 dst_sel:DWORD dst_unused:UNUSED_PAD src0_sel:WORD_1
	v_pk_fma_f32 v[24:25], v[46:47], v[66:67], v[24:25] op_sel_hi:[1,0,1]
	v_pk_fma_f32 v[0:1], v[0:1], v[66:67], v[22:23] op_sel_hi:[1,0,1]
	v_cvt_f32_f16_e32 v26, v69
	v_pk_fma_f32 v[2:3], v[2:3], v[86:87], v[24:25] op_sel_hi:[1,0,1]
	v_pk_fma_f32 v[0:1], v[50:51], v[86:87], v[0:1] op_sel_hi:[1,0,1]
	v_cvt_f32_f16_sdwa v92, v69 dst_sel:DWORD dst_unused:UNUSED_PAD src0_sel:WORD_1
	v_pk_fma_f32 v[2:3], v[4:5], v[88:89], v[2:3] op_sel_hi:[1,0,1]
	v_pk_fma_f32 v[0:1], v[52:53], v[88:89], v[0:1] op_sel_hi:[1,0,1]
	s_waitcnt vmcnt(1)
	v_cvt_f32_f16_e32 v48, v70
	v_pk_fma_f32 v[2:3], v[6:7], v[90:91], v[2:3] op_sel_hi:[1,0,1]
	v_pk_fma_f32 v[0:1], v[56:57], v[90:91], v[0:1] op_sel_hi:[1,0,1]
	v_cvt_f32_f16_sdwa v70, v70 dst_sel:DWORD dst_unused:UNUSED_PAD src0_sel:WORD_1
	v_pk_fma_f32 v[2:3], v[54:55], v[68:69], v[2:3] op_sel_hi:[1,0,1]
	v_pk_fma_f32 v[0:1], v[12:13], v[68:69], v[0:1] op_sel_hi:[1,0,1]
	v_cvt_f32_f16_e32 v46, v71
	v_pk_fma_f32 v[2:3], v[14:15], v[26:27], v[2:3] op_sel_hi:[1,0,1]
	v_pk_fma_f32 v[0:1], v[58:59], v[26:27], v[0:1] op_sel_hi:[1,0,1]
	v_cvt_f32_f16_sdwa v84, v71 dst_sel:DWORD dst_unused:UNUSED_PAD src0_sel:WORD_1
	v_pk_fma_f32 v[2:3], v[8:9], v[92:93], v[2:3] op_sel_hi:[1,0,1]
	v_pk_fma_f32 v[0:1], v[60:61], v[92:93], v[0:1] op_sel_hi:[1,0,1]
	s_waitcnt vmcnt(0)
	v_cvt_f32_f16_e32 v22, v72
	v_pk_fma_f32 v[2:3], v[80:81], v[48:49], v[2:3] op_sel_hi:[1,0,1]
	v_pk_fma_f32 v[0:1], v[42:43], v[48:49], v[0:1] op_sel_hi:[1,0,1]
	v_cvt_f32_f16_sdwa v66, v72 dst_sel:DWORD dst_unused:UNUSED_PAD src0_sel:WORD_1
	v_pk_fma_f32 v[2:3], v[82:83], v[70:71], v[2:3] op_sel_hi:[1,0,1]
	v_pk_fma_f32 v[0:1], v[44:45], v[70:71], v[0:1] op_sel_hi:[1,0,1]
	v_cvt_f32_f16_e32 v24, v73
	v_pk_fma_f32 v[2:3], v[10:11], v[46:47], v[2:3] op_sel_hi:[1,0,1]
	v_pk_fma_f32 v[0:1], v[30:31], v[46:47], v[0:1] op_sel_hi:[1,0,1]
	v_cvt_f32_f16_sdwa v72, v73 dst_sel:DWORD dst_unused:UNUSED_PAD src0_sel:WORD_1
	v_pk_fma_f32 v[2:3], v[62:63], v[84:85], v[2:3] op_sel_hi:[1,0,1]
	v_pk_fma_f32 v[0:1], v[32:33], v[84:85], v[0:1] op_sel_hi:[1,0,1]
	v_pk_fma_f32 v[2:3], v[64:65], v[22:23], v[2:3] op_sel_hi:[1,0,1]
	v_pk_fma_f32 v[0:1], v[34:35], v[22:23], v[0:1] op_sel_hi:[1,0,1]
	;; [unrolled: 1-line block ×8, first 2 shown]
	s_andn2_b64 exec, exec, s[10:11]
	s_cbranch_execnz .LBB94_33
; %bb.34:
	s_or_b64 exec, exec, s[10:11]
.LBB94_35:
	s_or_b64 exec, exec, s[2:3]
.LBB94_36:
	s_or_b64 exec, exec, s[6:7]
.LBB94_37:
	v_mov_b32_dpp v0, v24 row_shr:1 row_mask:0xf bank_mask:0xf
	v_mov_b32_dpp v1, v25 row_shr:1 row_mask:0xf bank_mask:0xf
	;; [unrolled: 1-line block ×4, first 2 shown]
	v_pk_add_f32 v[0:1], v[24:25], v[0:1]
	v_pk_add_f32 v[4:5], v[22:23], v[4:5]
	v_cmp_eq_u32_e32 vcc, 63, v17
	v_mov_b32_dpp v2, v0 row_shr:2 row_mask:0xf bank_mask:0xf
	v_mov_b32_dpp v3, v1 row_shr:2 row_mask:0xf bank_mask:0xf
	v_mov_b32_dpp v6, v4 row_shr:2 row_mask:0xf bank_mask:0xf
	v_mov_b32_dpp v7, v5 row_shr:2 row_mask:0xf bank_mask:0xf
	v_pk_add_f32 v[0:1], v[0:1], v[2:3]
	v_pk_add_f32 v[4:5], v[4:5], v[6:7]
	s_nop 0
	v_mov_b32_dpp v2, v0 row_shr:4 row_mask:0xf bank_mask:0xe
	v_mov_b32_dpp v3, v1 row_shr:4 row_mask:0xf bank_mask:0xe
	v_mov_b32_dpp v6, v4 row_shr:4 row_mask:0xf bank_mask:0xe
	v_mov_b32_dpp v7, v5 row_shr:4 row_mask:0xf bank_mask:0xe
	v_pk_add_f32 v[0:1], v[0:1], v[2:3]
	v_pk_add_f32 v[4:5], v[4:5], v[6:7]
	s_nop 0
	;; [unrolled: 7-line block ×3, first 2 shown]
	v_mov_b32_dpp v2, v0 row_bcast:15 row_mask:0xa bank_mask:0xf
	v_mov_b32_dpp v3, v1 row_bcast:15 row_mask:0xa bank_mask:0xf
	;; [unrolled: 1-line block ×4, first 2 shown]
	v_pk_add_f32 v[0:1], v[0:1], v[2:3]
	v_pk_add_f32 v[4:5], v[4:5], v[6:7]
	s_nop 0
	v_mov_b32_dpp v2, v0 row_bcast:31 row_mask:0xc bank_mask:0xf
	v_mov_b32_dpp v3, v1 row_bcast:31 row_mask:0xc bank_mask:0xf
	;; [unrolled: 1-line block ×4, first 2 shown]
	s_and_b64 exec, exec, vcc
	s_cbranch_execz .LBB94_10
; %bb.38:
	s_load_dwordx2 s[0:1], s[0:1], 0x50
	v_cmp_eq_f32_e64 s[2:3], s14, 0
	v_pk_add_f32 v[2:3], v[0:1], v[2:3]
	v_pk_add_f32 v[0:1], v[4:5], v[6:7]
	s_and_b64 vcc, exec, s[2:3]
	v_lshlrev_b32_e32 v4, 2, v16
	s_cbranch_vccz .LBB94_40
; %bb.39:
	v_ashrrev_i32_e32 v5, 31, v4
	s_waitcnt lgkmcnt(0)
	v_lshl_add_u64 v[10:11], v[4:5], 2, s[0:1]
	v_pk_mul_f32 v[6:7], s[12:13], v[2:3] op_sel_hi:[0,1]
	v_pk_mul_f32 v[8:9], s[12:13], v[0:1] op_sel_hi:[0,1]
	global_store_dwordx4 v[10:11], v[6:9], off
	s_cbranch_execnz .LBB94_10
	s_branch .LBB94_41
.LBB94_40:
.LBB94_41:
	v_ashrrev_i32_e32 v5, 31, v4
	s_waitcnt lgkmcnt(0)
	v_lshl_add_u64 v[8:9], v[4:5], 2, s[0:1]
	global_load_dwordx4 v[4:7], v[8:9], off
	v_pk_mul_f32 v[2:3], s[12:13], v[2:3] op_sel_hi:[0,1]
	v_pk_mul_f32 v[10:11], s[12:13], v[0:1] op_sel_hi:[0,1]
	s_waitcnt vmcnt(0)
	v_pk_fma_f32 v[0:1], s[14:15], v[4:5], v[2:3] op_sel_hi:[0,1,1]
	v_pk_fma_f32 v[2:3], s[14:15], v[6:7], v[10:11] op_sel_hi:[0,1,1]
	global_store_dwordx4 v[8:9], v[0:3], off
	s_endpgm
	.section	.rodata,"a",@progbits
	.p2align	6, 0x0
	.amdhsa_kernel _ZN9rocsparseL18bsrxmvn_4x4_kernelILj128ELj64EfiiDF16_DF16_fEEvT3_20rocsparse_direction_NS_24const_host_device_scalarIT1_EES1_PKS1_PKT2_SA_S7_PKT4_PKT5_S5_PT6_21rocsparse_index_base_b
		.amdhsa_group_segment_fixed_size 0
		.amdhsa_private_segment_fixed_size 0
		.amdhsa_kernarg_size 96
		.amdhsa_user_sgpr_count 2
		.amdhsa_user_sgpr_dispatch_ptr 0
		.amdhsa_user_sgpr_queue_ptr 0
		.amdhsa_user_sgpr_kernarg_segment_ptr 1
		.amdhsa_user_sgpr_dispatch_id 0
		.amdhsa_user_sgpr_kernarg_preload_length 0
		.amdhsa_user_sgpr_kernarg_preload_offset 0
		.amdhsa_user_sgpr_private_segment_size 0
		.amdhsa_uses_dynamic_stack 0
		.amdhsa_enable_private_segment 0
		.amdhsa_system_sgpr_workgroup_id_x 1
		.amdhsa_system_sgpr_workgroup_id_y 0
		.amdhsa_system_sgpr_workgroup_id_z 0
		.amdhsa_system_sgpr_workgroup_info 0
		.amdhsa_system_vgpr_workitem_id 0
		.amdhsa_next_free_vgpr 100
		.amdhsa_next_free_sgpr 22
		.amdhsa_accum_offset 100
		.amdhsa_reserve_vcc 1
		.amdhsa_float_round_mode_32 0
		.amdhsa_float_round_mode_16_64 0
		.amdhsa_float_denorm_mode_32 3
		.amdhsa_float_denorm_mode_16_64 3
		.amdhsa_dx10_clamp 1
		.amdhsa_ieee_mode 1
		.amdhsa_fp16_overflow 0
		.amdhsa_tg_split 0
		.amdhsa_exception_fp_ieee_invalid_op 0
		.amdhsa_exception_fp_denorm_src 0
		.amdhsa_exception_fp_ieee_div_zero 0
		.amdhsa_exception_fp_ieee_overflow 0
		.amdhsa_exception_fp_ieee_underflow 0
		.amdhsa_exception_fp_ieee_inexact 0
		.amdhsa_exception_int_div_zero 0
	.end_amdhsa_kernel
	.section	.text._ZN9rocsparseL18bsrxmvn_4x4_kernelILj128ELj64EfiiDF16_DF16_fEEvT3_20rocsparse_direction_NS_24const_host_device_scalarIT1_EES1_PKS1_PKT2_SA_S7_PKT4_PKT5_S5_PT6_21rocsparse_index_base_b,"axG",@progbits,_ZN9rocsparseL18bsrxmvn_4x4_kernelILj128ELj64EfiiDF16_DF16_fEEvT3_20rocsparse_direction_NS_24const_host_device_scalarIT1_EES1_PKS1_PKT2_SA_S7_PKT4_PKT5_S5_PT6_21rocsparse_index_base_b,comdat
.Lfunc_end94:
	.size	_ZN9rocsparseL18bsrxmvn_4x4_kernelILj128ELj64EfiiDF16_DF16_fEEvT3_20rocsparse_direction_NS_24const_host_device_scalarIT1_EES1_PKS1_PKT2_SA_S7_PKT4_PKT5_S5_PT6_21rocsparse_index_base_b, .Lfunc_end94-_ZN9rocsparseL18bsrxmvn_4x4_kernelILj128ELj64EfiiDF16_DF16_fEEvT3_20rocsparse_direction_NS_24const_host_device_scalarIT1_EES1_PKS1_PKT2_SA_S7_PKT4_PKT5_S5_PT6_21rocsparse_index_base_b
                                        ; -- End function
	.set _ZN9rocsparseL18bsrxmvn_4x4_kernelILj128ELj64EfiiDF16_DF16_fEEvT3_20rocsparse_direction_NS_24const_host_device_scalarIT1_EES1_PKS1_PKT2_SA_S7_PKT4_PKT5_S5_PT6_21rocsparse_index_base_b.num_vgpr, 100
	.set _ZN9rocsparseL18bsrxmvn_4x4_kernelILj128ELj64EfiiDF16_DF16_fEEvT3_20rocsparse_direction_NS_24const_host_device_scalarIT1_EES1_PKS1_PKT2_SA_S7_PKT4_PKT5_S5_PT6_21rocsparse_index_base_b.num_agpr, 0
	.set _ZN9rocsparseL18bsrxmvn_4x4_kernelILj128ELj64EfiiDF16_DF16_fEEvT3_20rocsparse_direction_NS_24const_host_device_scalarIT1_EES1_PKS1_PKT2_SA_S7_PKT4_PKT5_S5_PT6_21rocsparse_index_base_b.numbered_sgpr, 22
	.set _ZN9rocsparseL18bsrxmvn_4x4_kernelILj128ELj64EfiiDF16_DF16_fEEvT3_20rocsparse_direction_NS_24const_host_device_scalarIT1_EES1_PKS1_PKT2_SA_S7_PKT4_PKT5_S5_PT6_21rocsparse_index_base_b.num_named_barrier, 0
	.set _ZN9rocsparseL18bsrxmvn_4x4_kernelILj128ELj64EfiiDF16_DF16_fEEvT3_20rocsparse_direction_NS_24const_host_device_scalarIT1_EES1_PKS1_PKT2_SA_S7_PKT4_PKT5_S5_PT6_21rocsparse_index_base_b.private_seg_size, 0
	.set _ZN9rocsparseL18bsrxmvn_4x4_kernelILj128ELj64EfiiDF16_DF16_fEEvT3_20rocsparse_direction_NS_24const_host_device_scalarIT1_EES1_PKS1_PKT2_SA_S7_PKT4_PKT5_S5_PT6_21rocsparse_index_base_b.uses_vcc, 1
	.set _ZN9rocsparseL18bsrxmvn_4x4_kernelILj128ELj64EfiiDF16_DF16_fEEvT3_20rocsparse_direction_NS_24const_host_device_scalarIT1_EES1_PKS1_PKT2_SA_S7_PKT4_PKT5_S5_PT6_21rocsparse_index_base_b.uses_flat_scratch, 0
	.set _ZN9rocsparseL18bsrxmvn_4x4_kernelILj128ELj64EfiiDF16_DF16_fEEvT3_20rocsparse_direction_NS_24const_host_device_scalarIT1_EES1_PKS1_PKT2_SA_S7_PKT4_PKT5_S5_PT6_21rocsparse_index_base_b.has_dyn_sized_stack, 0
	.set _ZN9rocsparseL18bsrxmvn_4x4_kernelILj128ELj64EfiiDF16_DF16_fEEvT3_20rocsparse_direction_NS_24const_host_device_scalarIT1_EES1_PKS1_PKT2_SA_S7_PKT4_PKT5_S5_PT6_21rocsparse_index_base_b.has_recursion, 0
	.set _ZN9rocsparseL18bsrxmvn_4x4_kernelILj128ELj64EfiiDF16_DF16_fEEvT3_20rocsparse_direction_NS_24const_host_device_scalarIT1_EES1_PKS1_PKT2_SA_S7_PKT4_PKT5_S5_PT6_21rocsparse_index_base_b.has_indirect_call, 0
	.section	.AMDGPU.csdata,"",@progbits
; Kernel info:
; codeLenInByte = 3968
; TotalNumSgprs: 28
; NumVgprs: 100
; NumAgprs: 0
; TotalNumVgprs: 100
; ScratchSize: 0
; MemoryBound: 0
; FloatMode: 240
; IeeeMode: 1
; LDSByteSize: 0 bytes/workgroup (compile time only)
; SGPRBlocks: 3
; VGPRBlocks: 12
; NumSGPRsForWavesPerEU: 28
; NumVGPRsForWavesPerEU: 100
; AccumOffset: 100
; Occupancy: 4
; WaveLimiterHint : 1
; COMPUTE_PGM_RSRC2:SCRATCH_EN: 0
; COMPUTE_PGM_RSRC2:USER_SGPR: 2
; COMPUTE_PGM_RSRC2:TRAP_HANDLER: 0
; COMPUTE_PGM_RSRC2:TGID_X_EN: 1
; COMPUTE_PGM_RSRC2:TGID_Y_EN: 0
; COMPUTE_PGM_RSRC2:TGID_Z_EN: 0
; COMPUTE_PGM_RSRC2:TIDIG_COMP_CNT: 0
; COMPUTE_PGM_RSRC3_GFX90A:ACCUM_OFFSET: 24
; COMPUTE_PGM_RSRC3_GFX90A:TG_SPLIT: 0
	.section	.text._ZN9rocsparseL18bsrxmvn_4x4_kernelILj128ELj4EfliDF16_DF16_fEEvT3_20rocsparse_direction_NS_24const_host_device_scalarIT1_EES1_PKS1_PKT2_SA_S7_PKT4_PKT5_S5_PT6_21rocsparse_index_base_b,"axG",@progbits,_ZN9rocsparseL18bsrxmvn_4x4_kernelILj128ELj4EfliDF16_DF16_fEEvT3_20rocsparse_direction_NS_24const_host_device_scalarIT1_EES1_PKS1_PKT2_SA_S7_PKT4_PKT5_S5_PT6_21rocsparse_index_base_b,comdat
	.globl	_ZN9rocsparseL18bsrxmvn_4x4_kernelILj128ELj4EfliDF16_DF16_fEEvT3_20rocsparse_direction_NS_24const_host_device_scalarIT1_EES1_PKS1_PKT2_SA_S7_PKT4_PKT5_S5_PT6_21rocsparse_index_base_b ; -- Begin function _ZN9rocsparseL18bsrxmvn_4x4_kernelILj128ELj4EfliDF16_DF16_fEEvT3_20rocsparse_direction_NS_24const_host_device_scalarIT1_EES1_PKS1_PKT2_SA_S7_PKT4_PKT5_S5_PT6_21rocsparse_index_base_b
	.p2align	8
	.type	_ZN9rocsparseL18bsrxmvn_4x4_kernelILj128ELj4EfliDF16_DF16_fEEvT3_20rocsparse_direction_NS_24const_host_device_scalarIT1_EES1_PKS1_PKT2_SA_S7_PKT4_PKT5_S5_PT6_21rocsparse_index_base_b,@function
_ZN9rocsparseL18bsrxmvn_4x4_kernelILj128ELj4EfliDF16_DF16_fEEvT3_20rocsparse_direction_NS_24const_host_device_scalarIT1_EES1_PKS1_PKT2_SA_S7_PKT4_PKT5_S5_PT6_21rocsparse_index_base_b: ; @_ZN9rocsparseL18bsrxmvn_4x4_kernelILj128ELj4EfliDF16_DF16_fEEvT3_20rocsparse_direction_NS_24const_host_device_scalarIT1_EES1_PKS1_PKT2_SA_S7_PKT4_PKT5_S5_PT6_21rocsparse_index_base_b
; %bb.0:
	s_load_dwordx2 s[16:17], s[0:1], 0x58
	s_load_dwordx2 s[12:13], s[0:1], 0x8
	;; [unrolled: 1-line block ×3, first 2 shown]
	s_waitcnt lgkmcnt(0)
	s_bitcmp1_b32 s17, 0
	s_cselect_b64 s[6:7], -1, 0
	s_xor_b64 s[4:5], s[6:7], -1
	s_and_b64 vcc, exec, s[6:7]
	s_cbranch_vccnz .LBB95_2
; %bb.1:
	s_load_dword s12, s[12:13], 0x0
.LBB95_2:
	s_andn2_b64 vcc, exec, s[4:5]
	s_cbranch_vccnz .LBB95_4
; %bb.3:
	s_load_dword s14, s[14:15], 0x0
.LBB95_4:
	s_waitcnt lgkmcnt(0)
	v_cmp_neq_f32_e64 s[4:5], s12, 0
	v_cmp_neq_f32_e64 s[6:7], s14, 1.0
	s_or_b64 s[4:5], s[4:5], s[6:7]
	s_andn2_b64 vcc, exec, s[4:5]
	s_cbranch_vccnz .LBB95_10
; %bb.5:
	s_load_dwordx2 s[4:5], s[0:1], 0x18
	s_load_dwordx2 s[18:19], s[0:1], 0x0
	v_lshrrev_b32_e32 v1, 2, v0
	v_lshl_or_b32 v24, s2, 5, v1
	s_mov_b64 s[2:3], 0
	s_waitcnt lgkmcnt(0)
	s_cmp_lg_u64 s[4:5], 0
	s_cbranch_scc0 .LBB95_11
; %bb.6:
	s_load_dword s6, s[0:1], 0x10
                                        ; implicit-def: $vgpr1
	s_waitcnt lgkmcnt(0)
	v_cmp_gt_i32_e32 vcc, s6, v24
	s_and_saveexec_b64 s[6:7], vcc
	s_xor_b64 s[6:7], exec, s[6:7]
	s_cbranch_execz .LBB95_8
; %bb.7:
	v_ashrrev_i32_e32 v25, 31, v24
	v_lshl_add_u64 v[2:3], v[24:25], 2, s[4:5]
	global_load_dword v1, v[2:3], off
	s_mov_b64 s[2:3], exec
	s_waitcnt vmcnt(0)
	v_subrev_u32_e32 v1, s16, v1
.LBB95_8:
	s_or_b64 exec, exec, s[6:7]
	s_branch .LBB95_12
.LBB95_9:
	v_cmp_gt_i32_e32 vcc, s18, v24
	s_andn2_b64 s[2:3], s[2:3], exec
	s_and_b64 s[4:5], vcc, exec
	s_or_b64 s[2:3], s[2:3], s[4:5]
	s_and_saveexec_b64 s[4:5], s[2:3]
	s_cbranch_execnz .LBB95_13
.LBB95_10:
	s_endpgm
.LBB95_11:
                                        ; implicit-def: $vgpr1
	s_cbranch_execnz .LBB95_9
.LBB95_12:
	v_mov_b32_e32 v24, v1
	s_and_saveexec_b64 s[4:5], s[2:3]
	s_cbranch_execz .LBB95_10
.LBB95_13:
	s_load_dwordx8 s[4:11], s[0:1], 0x20
	v_ashrrev_i32_e32 v25, 31, v24
	v_lshlrev_b64 v[2:3], 3, v[24:25]
	v_and_b32_e32 v26, 3, v0
	v_mov_b32_e32 v27, 0
	s_waitcnt lgkmcnt(0)
	v_lshl_add_u64 v[4:5], s[4:5], 0, v[2:3]
	s_cmp_eq_u64 s[6:7], 0
	v_lshl_add_u64 v[2:3], s[6:7], 0, v[2:3]
	global_load_dwordx2 v[38:39], v[4:5], off
	v_lshl_add_u64 v[4:5], v[4:5], 0, 8
	s_cselect_b64 vcc, -1, 0
	v_cndmask_b32_e32 v3, v3, v5, vcc
	v_cndmask_b32_e32 v2, v2, v4, vcc
	global_load_dwordx2 v[2:3], v[2:3], off
	s_load_dwordx2 s[4:5], s[0:1], 0x40
	s_cmp_eq_u32 s19, 1
	s_waitcnt vmcnt(1)
	v_subrev_co_u32_e32 v0, vcc, s16, v38
	s_nop 1
	v_subbrev_co_u32_e32 v1, vcc, 0, v39, vcc
	v_lshl_add_u64 v[28:29], v[0:1], 0, v[26:27]
	s_waitcnt vmcnt(0)
	v_subrev_co_u32_e32 v30, vcc, s16, v2
	v_lshlrev_b64 v[0:1], 5, v[28:29]
	s_nop 0
	v_subbrev_co_u32_e32 v31, vcc, 0, v3, vcc
	v_lshl_add_u64 v[32:33], s[10:11], 0, v[0:1]
	v_cmp_lt_i64_e64 s[2:3], v[28:29], v[30:31]
	s_cbranch_scc1 .LBB95_25
; %bb.14:
	v_mov_b32_e32 v36, v27
	v_mov_b32_e32 v35, v27
	;; [unrolled: 1-line block ×3, first 2 shown]
	s_and_saveexec_b64 s[6:7], s[2:3]
	s_cbranch_execz .LBB95_24
; %bb.15:
	v_or_b32_e32 v0, 4, v26
	v_subrev_co_u32_e32 v0, vcc, s16, v0
	v_not_b32_e32 v3, v39
	s_nop 0
	v_subb_co_u32_e64 v1, s[10:11], 0, 0, vcc
	v_lshl_add_u64 v[0:1], v[0:1], 0, v[38:39]
	v_cmp_gt_i64_e32 vcc, v[0:1], v[30:31]
	v_not_b32_e32 v2, v38
	v_mov_b32_e32 v35, 0
	v_cndmask_b32_e32 v1, v31, v1, vcc
	v_cndmask_b32_e32 v0, v30, v0, vcc
	v_sub_co_u32_e32 v4, vcc, s16, v26
	v_mov_b32_e32 v36, v35
	s_nop 0
	v_subb_co_u32_e64 v5, s[10:11], 0, 0, vcc
	v_lshl_add_u64 v[2:3], v[4:5], 0, v[2:3]
	v_lshl_add_u64 v[0:1], v[2:3], 0, v[0:1]
	v_and_b32_e32 v34, 12, v0
	v_cmp_ne_u64_e32 vcc, 12, v[34:35]
	v_mov_b32_e32 v34, v35
	v_mov_b32_e32 v37, v35
	v_mov_b64_e32 v[40:41], v[28:29]
	v_mov_b64_e32 v[42:43], v[32:33]
	s_and_saveexec_b64 s[10:11], vcc
	s_cbranch_execz .LBB95_19
; %bb.16:
	v_lshrrev_b32_e32 v2, 2, v0
	v_add_u32_e32 v2, 1, v2
	v_and_b32_e32 v4, 3, v2
	v_sub_co_u32_e32 v4, vcc, 0, v4
	v_mov_b32_e32 v34, 0
	s_nop 0
	v_subb_co_u32_e64 v5, s[20:21], 0, 0, vcc
	v_lshl_add_u64 v[2:3], v[28:29], 2, s[8:9]
	s_mov_b64 s[18:19], 0
	s_mov_b64 s[20:21], 0x80
	v_mov_b64_e32 v[42:43], v[32:33]
	v_mov_b64_e32 v[40:41], v[28:29]
	v_mov_b32_e32 v35, v34
	v_mov_b32_e32 v36, v34
	;; [unrolled: 1-line block ×3, first 2 shown]
.LBB95_17:                              ; =>This Inner Loop Header: Depth=1
	global_load_dword v14, v[2:3], off
	global_load_dwordx4 v[6:9], v[42:43], off
	global_load_dwordx4 v[10:13], v[42:43], off offset:16
	v_lshl_add_u64 v[4:5], v[4:5], 0, 1
	v_cmp_eq_u64_e32 vcc, 0, v[4:5]
	v_lshl_add_u64 v[42:43], v[42:43], 0, s[20:21]
	v_lshl_add_u64 v[40:41], v[40:41], 0, 4
	;; [unrolled: 1-line block ×3, first 2 shown]
	s_or_b64 s[18:19], vcc, s[18:19]
	s_waitcnt vmcnt(2)
	v_subrev_u32_e32 v14, s16, v14
	v_lshlrev_b32_e32 v14, 2, v14
	v_ashrrev_i32_e32 v15, 31, v14
	s_waitcnt lgkmcnt(0)
	v_lshl_add_u64 v[14:15], v[14:15], 1, s[4:5]
	global_load_dwordx2 v[14:15], v[14:15], off
	s_waitcnt vmcnt(2)
	v_cvt_f32_f16_e32 v17, v8
	v_cvt_f32_f16_e32 v16, v6
	v_cvt_f32_f16_sdwa v19, v8 dst_sel:DWORD dst_unused:UNUSED_PAD src0_sel:WORD_1
	v_cvt_f32_f16_sdwa v18, v6 dst_sel:DWORD dst_unused:UNUSED_PAD src0_sel:WORD_1
	v_cvt_f32_f16_e32 v20, v7
	v_cvt_f32_f16_sdwa v8, v7 dst_sel:DWORD dst_unused:UNUSED_PAD src0_sel:WORD_1
	s_waitcnt vmcnt(1)
	v_cvt_f32_f16_e32 v7, v12
	v_cvt_f32_f16_e32 v6, v10
	v_cvt_f32_f16_sdwa v22, v10 dst_sel:DWORD dst_unused:UNUSED_PAD src0_sel:WORD_1
	v_cvt_f32_f16_sdwa v23, v12 dst_sel:DWORD dst_unused:UNUSED_PAD src0_sel:WORD_1
	v_cvt_f32_f16_e32 v21, v9
	v_cvt_f32_f16_e32 v45, v13
	;; [unrolled: 1-line block ×3, first 2 shown]
	v_cvt_f32_f16_sdwa v9, v9 dst_sel:DWORD dst_unused:UNUSED_PAD src0_sel:WORD_1
	v_cvt_f32_f16_sdwa v13, v13 dst_sel:DWORD dst_unused:UNUSED_PAD src0_sel:WORD_1
	;; [unrolled: 1-line block ×3, first 2 shown]
	s_waitcnt vmcnt(0)
	v_cvt_f32_f16_e32 v10, v14
	v_cvt_f32_f16_sdwa v14, v14 dst_sel:DWORD dst_unused:UNUSED_PAD src0_sel:WORD_1
	v_cvt_f32_f16_e32 v46, v15
	v_cvt_f32_f16_sdwa v48, v15 dst_sel:DWORD dst_unused:UNUSED_PAD src0_sel:WORD_1
	v_pk_fma_f32 v[16:17], v[16:17], v[10:11], v[34:35] op_sel_hi:[1,0,1]
	v_pk_fma_f32 v[6:7], v[6:7], v[10:11], v[36:37] op_sel_hi:[1,0,1]
	;; [unrolled: 1-line block ×8, first 2 shown]
	s_andn2_b64 exec, exec, s[18:19]
	s_cbranch_execnz .LBB95_17
; %bb.18:
	s_or_b64 exec, exec, s[18:19]
.LBB95_19:
	s_or_b64 exec, exec, s[10:11]
	v_cmp_lt_u64_e32 vcc, 11, v[0:1]
	s_and_saveexec_b64 s[10:11], vcc
	s_cbranch_execz .LBB95_23
; %bb.20:
	v_lshl_add_u64 v[0:1], v[40:41], 2, s[8:9]
	v_lshl_add_u64 v[44:45], v[0:1], 0, 32
	s_mov_b64 s[18:19], 0
	s_mov_b64 s[20:21], 0x200
.LBB95_21:                              ; =>This Inner Loop Header: Depth=1
	global_load_dword v25, v[44:45], off offset:-32
	global_load_dword v27, v[44:45], off offset:-16
	global_load_dword v54, v[44:45], off
	global_load_dwordx4 v[0:3], v[42:43], off offset:256
	global_load_dwordx4 v[8:11], v[42:43], off
	global_load_dwordx4 v[12:15], v[42:43], off offset:128
	global_load_dwordx4 v[4:7], v[42:43], off offset:272
	;; [unrolled: 1-line block ×3, first 2 shown]
	global_load_dword v69, v[44:45], off offset:16
	global_load_dwordx4 v[20:23], v[42:43], off offset:144
	global_load_dwordx4 v[46:49], v[42:43], off offset:384
	;; [unrolled: 1-line block ×3, first 2 shown]
	v_lshl_add_u64 v[40:41], v[40:41], 0, 16
	v_cmp_ge_i64_e32 vcc, v[40:41], v[30:31]
	v_lshl_add_u64 v[42:43], v[42:43], 0, s[20:21]
	v_lshl_add_u64 v[44:45], v[44:45], 0, 64
	s_or_b64 s[18:19], vcc, s[18:19]
	s_waitcnt vmcnt(11)
	v_subrev_u32_e32 v25, s16, v25
	s_waitcnt vmcnt(10)
	v_subrev_u32_e32 v27, s16, v27
	;; [unrolled: 2-line block ×3, first 2 shown]
	s_waitcnt vmcnt(8)
	v_cvt_f32_f16_sdwa v66, v0 dst_sel:DWORD dst_unused:UNUSED_PAD src0_sel:WORD_1
	s_waitcnt vmcnt(7)
	v_cvt_f32_f16_e32 v56, v8
	v_cvt_f32_f16_sdwa v58, v8 dst_sel:DWORD dst_unused:UNUSED_PAD src0_sel:WORD_1
	s_waitcnt vmcnt(6)
	v_cvt_f32_f16_e32 v8, v12
	v_cvt_f32_f16_sdwa v62, v12 dst_sel:DWORD dst_unused:UNUSED_PAD src0_sel:WORD_1
	v_cvt_f32_f16_e32 v12, v0
	s_waitcnt vmcnt(3)
	v_subrev_u32_e32 v0, s16, v69
	v_lshlrev_b32_e32 v72, 2, v25
	v_lshlrev_b32_e32 v74, 2, v27
	;; [unrolled: 1-line block ×4, first 2 shown]
	v_ashrrev_i32_e32 v73, 31, v72
	v_ashrrev_i32_e32 v75, 31, v74
	;; [unrolled: 1-line block ×4, first 2 shown]
	s_waitcnt lgkmcnt(0)
	v_lshl_add_u64 v[72:73], v[72:73], 1, s[4:5]
	v_lshl_add_u64 v[74:75], v[74:75], 1, s[4:5]
	;; [unrolled: 1-line block ×4, first 2 shown]
	global_load_dwordx2 v[80:81], v[72:73], off
	global_load_dwordx2 v[82:83], v[74:75], off
	;; [unrolled: 1-line block ×4, first 2 shown]
	v_cvt_f32_f16_e32 v57, v10
	v_cvt_f32_f16_e32 v71, v18
	;; [unrolled: 1-line block ×3, first 2 shown]
	v_cvt_f32_f16_sdwa v72, v16 dst_sel:DWORD dst_unused:UNUSED_PAD src0_sel:WORD_1
	s_waitcnt vmcnt(6)
	v_cvt_f32_f16_e32 v16, v20
	v_cvt_f32_f16_sdwa v76, v20 dst_sel:DWORD dst_unused:UNUSED_PAD src0_sel:WORD_1
	v_cvt_f32_f16_e32 v20, v4
	v_cvt_f32_f16_sdwa v88, v4 dst_sel:DWORD dst_unused:UNUSED_PAD src0_sel:WORD_1
	s_waitcnt vmcnt(5)
	v_cvt_f32_f16_e32 v0, v46
	v_cvt_f32_f16_sdwa v90, v46 dst_sel:DWORD dst_unused:UNUSED_PAD src0_sel:WORD_1
	s_waitcnt vmcnt(4)
	v_cvt_f32_f16_e32 v4, v50
	v_cvt_f32_f16_sdwa v46, v50 dst_sel:DWORD dst_unused:UNUSED_PAD src0_sel:WORD_1
	v_cvt_f32_f16_sdwa v59, v10 dst_sel:DWORD dst_unused:UNUSED_PAD src0_sel:WORD_1
	;; [unrolled: 1-line block ×3, first 2 shown]
	v_cvt_f32_f16_e32 v61, v11
	v_cvt_f32_f16_e32 v60, v9
	;; [unrolled: 1-line block ×4, first 2 shown]
	v_cvt_f32_f16_sdwa v11, v11 dst_sel:DWORD dst_unused:UNUSED_PAD src0_sel:WORD_1
	v_cvt_f32_f16_sdwa v10, v9 dst_sel:DWORD dst_unused:UNUSED_PAD src0_sel:WORD_1
	v_cvt_f32_f16_sdwa v19, v19 dst_sel:DWORD dst_unused:UNUSED_PAD src0_sel:WORD_1
	v_cvt_f32_f16_sdwa v18, v17 dst_sel:DWORD dst_unused:UNUSED_PAD src0_sel:WORD_1
	v_cvt_f32_f16_e32 v9, v14
	v_cvt_f32_f16_e32 v17, v22
	v_cvt_f32_f16_sdwa v63, v14 dst_sel:DWORD dst_unused:UNUSED_PAD src0_sel:WORD_1
	v_cvt_f32_f16_sdwa v77, v22 dst_sel:DWORD dst_unused:UNUSED_PAD src0_sel:WORD_1
	v_cvt_f32_f16_e32 v65, v15
	v_cvt_f32_f16_e32 v64, v13
	v_cvt_f32_f16_e32 v79, v23
	v_cvt_f32_f16_e32 v78, v21
	v_cvt_f32_f16_sdwa v15, v15 dst_sel:DWORD dst_unused:UNUSED_PAD src0_sel:WORD_1
	v_cvt_f32_f16_sdwa v14, v13 dst_sel:DWORD dst_unused:UNUSED_PAD src0_sel:WORD_1
	;; [unrolled: 1-line block ×4, first 2 shown]
	v_cvt_f32_f16_e32 v13, v2
	v_cvt_f32_f16_e32 v21, v6
	v_cvt_f32_f16_sdwa v67, v2 dst_sel:DWORD dst_unused:UNUSED_PAD src0_sel:WORD_1
	v_cvt_f32_f16_sdwa v89, v6 dst_sel:DWORD dst_unused:UNUSED_PAD src0_sel:WORD_1
	v_cvt_f32_f16_e32 v54, v1
	v_cvt_f32_f16_e32 v55, v3
	v_cvt_f32_f16_e32 v68, v5
	v_cvt_f32_f16_e32 v69, v7
	v_cvt_f32_f16_sdwa v3, v3 dst_sel:DWORD dst_unused:UNUSED_PAD src0_sel:WORD_1
	v_cvt_f32_f16_sdwa v2, v1 dst_sel:DWORD dst_unused:UNUSED_PAD src0_sel:WORD_1
	;; [unrolled: 1-line block ×4, first 2 shown]
	v_cvt_f32_f16_e32 v1, v48
	v_cvt_f32_f16_e32 v5, v52
	v_cvt_f32_f16_sdwa v91, v48 dst_sel:DWORD dst_unused:UNUSED_PAD src0_sel:WORD_1
	v_cvt_f32_f16_e32 v92, v47
	v_cvt_f32_f16_sdwa v48, v47 dst_sel:DWORD dst_unused:UNUSED_PAD src0_sel:WORD_1
	v_cvt_f32_f16_sdwa v47, v52 dst_sel:DWORD dst_unused:UNUSED_PAD src0_sel:WORD_1
	v_cvt_f32_f16_e32 v93, v49
	v_cvt_f32_f16_e32 v95, v53
	v_cvt_f32_f16_e32 v94, v51
	v_cvt_f32_f16_sdwa v49, v49 dst_sel:DWORD dst_unused:UNUSED_PAD src0_sel:WORD_1
	v_cvt_f32_f16_sdwa v53, v53 dst_sel:DWORD dst_unused:UNUSED_PAD src0_sel:WORD_1
	;; [unrolled: 1-line block ×3, first 2 shown]
	s_waitcnt vmcnt(3)
	v_cvt_f32_f16_e32 v50, v80
	v_cvt_f32_f16_sdwa v80, v80 dst_sel:DWORD dst_unused:UNUSED_PAD src0_sel:WORD_1
	v_cvt_f32_f16_e32 v96, v81
	v_cvt_f32_f16_sdwa v98, v81 dst_sel:DWORD dst_unused:UNUSED_PAD src0_sel:WORD_1
	s_waitcnt vmcnt(2)
	v_cvt_f32_f16_e32 v100, v82
	v_pk_fma_f32 v[34:35], v[56:57], v[50:51], v[34:35] op_sel_hi:[1,0,1]
	v_pk_fma_f32 v[36:37], v[70:71], v[50:51], v[36:37] op_sel_hi:[1,0,1]
	v_cvt_f32_f16_sdwa v56, v82 dst_sel:DWORD dst_unused:UNUSED_PAD src0_sel:WORD_1
	v_pk_fma_f32 v[34:35], v[58:59], v[80:81], v[34:35] op_sel_hi:[1,0,1]
	v_pk_fma_f32 v[36:37], v[72:73], v[80:81], v[36:37] op_sel_hi:[1,0,1]
	v_cvt_f32_f16_e32 v50, v83
	v_pk_fma_f32 v[34:35], v[60:61], v[96:97], v[34:35] op_sel_hi:[1,0,1]
	v_pk_fma_f32 v[36:37], v[74:75], v[96:97], v[36:37] op_sel_hi:[1,0,1]
	v_cvt_f32_f16_sdwa v70, v83 dst_sel:DWORD dst_unused:UNUSED_PAD src0_sel:WORD_1
	v_pk_fma_f32 v[10:11], v[10:11], v[98:99], v[34:35] op_sel_hi:[1,0,1]
	v_pk_fma_f32 v[18:19], v[18:19], v[98:99], v[36:37] op_sel_hi:[1,0,1]
	s_waitcnt vmcnt(1)
	v_cvt_f32_f16_e32 v82, v84
	v_pk_fma_f32 v[8:9], v[8:9], v[100:101], v[10:11] op_sel_hi:[1,0,1]
	v_pk_fma_f32 v[10:11], v[16:17], v[100:101], v[18:19] op_sel_hi:[1,0,1]
	v_cvt_f32_f16_sdwa v58, v84 dst_sel:DWORD dst_unused:UNUSED_PAD src0_sel:WORD_1
	v_pk_fma_f32 v[8:9], v[62:63], v[56:57], v[8:9] op_sel_hi:[1,0,1]
	v_pk_fma_f32 v[10:11], v[76:77], v[56:57], v[10:11] op_sel_hi:[1,0,1]
	v_cvt_f32_f16_e32 v72, v85
	v_pk_fma_f32 v[8:9], v[64:65], v[50:51], v[8:9] op_sel_hi:[1,0,1]
	v_pk_fma_f32 v[10:11], v[78:79], v[50:51], v[10:11] op_sel_hi:[1,0,1]
	v_cvt_f32_f16_sdwa v80, v85 dst_sel:DWORD dst_unused:UNUSED_PAD src0_sel:WORD_1
	v_pk_fma_f32 v[8:9], v[14:15], v[70:71], v[8:9] op_sel_hi:[1,0,1]
	v_pk_fma_f32 v[10:11], v[22:23], v[70:71], v[10:11] op_sel_hi:[1,0,1]
	;; [unrolled: 13-line block ×3, first 2 shown]
	v_pk_fma_f32 v[0:1], v[0:1], v[84:85], v[2:3] op_sel_hi:[1,0,1]
	v_pk_fma_f32 v[2:3], v[4:5], v[84:85], v[6:7] op_sel_hi:[1,0,1]
	;; [unrolled: 1-line block ×8, first 2 shown]
	s_andn2_b64 exec, exec, s[18:19]
	s_cbranch_execnz .LBB95_21
; %bb.22:
	s_or_b64 exec, exec, s[18:19]
.LBB95_23:
	s_or_b64 exec, exec, s[10:11]
	v_mov_b32_e32 v27, v37
.LBB95_24:
	s_or_b64 exec, exec, s[6:7]
	v_mov_b32_e32 v37, v27
	s_cbranch_execz .LBB95_26
	s_branch .LBB95_37
.LBB95_25:
                                        ; implicit-def: $vgpr37
                                        ; implicit-def: $vgpr35
.LBB95_26:
	v_mov_b32_e32 v37, 0
	v_mov_b32_e32 v36, 0
	;; [unrolled: 1-line block ×4, first 2 shown]
	s_and_saveexec_b64 s[6:7], s[2:3]
	s_cbranch_execz .LBB95_36
; %bb.27:
	v_or_b32_e32 v0, 4, v26
	v_subrev_co_u32_e32 v0, vcc, s16, v0
	v_not_b32_e32 v3, v39
	s_nop 0
	v_subb_co_u32_e64 v1, s[2:3], 0, 0, vcc
	v_lshl_add_u64 v[0:1], v[0:1], 0, v[38:39]
	v_cmp_gt_i64_e32 vcc, v[0:1], v[30:31]
	v_not_b32_e32 v2, v38
	v_mov_b32_e32 v35, 0
	v_cndmask_b32_e32 v1, v31, v1, vcc
	v_cndmask_b32_e32 v0, v30, v0, vcc
	v_sub_co_u32_e32 v4, vcc, s16, v26
	v_mov_b32_e32 v36, v35
	s_nop 0
	v_subb_co_u32_e64 v5, s[2:3], 0, 0, vcc
	v_lshl_add_u64 v[2:3], v[4:5], 0, v[2:3]
	v_lshl_add_u64 v[0:1], v[2:3], 0, v[0:1]
	v_and_b32_e32 v34, 12, v0
	v_cmp_ne_u64_e32 vcc, 12, v[34:35]
	v_mov_b32_e32 v34, v35
	v_mov_b32_e32 v37, v35
	s_and_saveexec_b64 s[2:3], vcc
	s_cbranch_execz .LBB95_31
; %bb.28:
	v_lshrrev_b32_e32 v2, 2, v0
	v_add_u32_e32 v2, 1, v2
	v_and_b32_e32 v4, 3, v2
	v_sub_co_u32_e32 v4, vcc, 0, v4
	v_mov_b32_e32 v34, 0
	s_nop 0
	v_subb_co_u32_e64 v5, s[18:19], 0, 0, vcc
	v_lshl_add_u64 v[2:3], v[28:29], 2, s[8:9]
	s_mov_b64 s[10:11], 0
	s_mov_b64 s[18:19], 0x80
	v_mov_b32_e32 v35, v34
	v_mov_b32_e32 v36, v34
	v_mov_b32_e32 v37, v34
.LBB95_29:                              ; =>This Inner Loop Header: Depth=1
	global_load_dword v10, v[2:3], off
	global_load_dwordx4 v[6:9], v[32:33], off
	v_lshl_add_u64 v[4:5], v[4:5], 0, 1
	v_cmp_eq_u64_e32 vcc, 0, v[4:5]
	v_lshl_add_u64 v[28:29], v[28:29], 0, 4
	v_lshl_add_u64 v[2:3], v[2:3], 0, 16
	s_or_b64 s[10:11], vcc, s[10:11]
	s_waitcnt vmcnt(1)
	v_subrev_u32_e32 v10, s16, v10
	v_lshlrev_b32_e32 v10, 2, v10
	v_ashrrev_i32_e32 v11, 31, v10
	s_waitcnt lgkmcnt(0)
	v_lshl_add_u64 v[14:15], v[10:11], 1, s[4:5]
	global_load_dwordx2 v[16:17], v[14:15], off
	global_load_dwordx4 v[10:13], v[32:33], off offset:16
	s_waitcnt vmcnt(2)
	v_cvt_f32_f16_sdwa v15, v6 dst_sel:DWORD dst_unused:UNUSED_PAD src0_sel:WORD_1
	v_cvt_f32_f16_e32 v14, v6
	v_cvt_f32_f16_sdwa v39, v7 dst_sel:DWORD dst_unused:UNUSED_PAD src0_sel:WORD_1
	v_cvt_f32_f16_e32 v38, v7
	;; [unrolled: 2-line block ×4, first 2 shown]
	v_lshl_add_u64 v[32:33], v[32:33], 0, s[18:19]
	s_waitcnt vmcnt(1)
	v_cvt_f32_f16_e32 v40, v17
	s_waitcnt vmcnt(0)
	v_cvt_f32_f16_sdwa v23, v12 dst_sel:DWORD dst_unused:UNUSED_PAD src0_sel:WORD_1
	v_cvt_f32_f16_e32 v22, v12
	v_cvt_f32_f16_e32 v12, v16
	v_cvt_f32_f16_sdwa v16, v16 dst_sel:DWORD dst_unused:UNUSED_PAD src0_sel:WORD_1
	v_cvt_f32_f16_sdwa v21, v10 dst_sel:DWORD dst_unused:UNUSED_PAD src0_sel:WORD_1
	v_cvt_f32_f16_e32 v20, v10
	v_cvt_f32_f16_sdwa v9, v11 dst_sel:DWORD dst_unused:UNUSED_PAD src0_sel:WORD_1
	v_cvt_f32_f16_e32 v8, v11
	;; [unrolled: 2-line block ×3, first 2 shown]
	v_cvt_f32_f16_sdwa v42, v17 dst_sel:DWORD dst_unused:UNUSED_PAD src0_sel:WORD_1
	v_pk_fma_f32 v[14:15], v[14:15], v[12:13], v[34:35] op_sel_hi:[1,0,1]
	v_pk_fma_f32 v[12:13], v[38:39], v[12:13], v[36:37] op_sel_hi:[1,0,1]
	;; [unrolled: 1-line block ×8, first 2 shown]
	s_andn2_b64 exec, exec, s[10:11]
	s_cbranch_execnz .LBB95_29
; %bb.30:
	s_or_b64 exec, exec, s[10:11]
.LBB95_31:
	s_or_b64 exec, exec, s[2:3]
	v_cmp_lt_u64_e32 vcc, 11, v[0:1]
	s_and_saveexec_b64 s[2:3], vcc
	s_cbranch_execz .LBB95_35
; %bb.32:
	v_lshl_add_u64 v[0:1], v[28:29], 2, s[8:9]
	v_lshl_add_u64 v[20:21], v[0:1], 0, 32
	s_mov_b64 s[8:9], 0
	s_mov_b64 s[10:11], 0x200
.LBB95_33:                              ; =>This Inner Loop Header: Depth=1
	global_load_dwordx4 v[8:11], v[32:33], off
	global_load_dwordx4 v[0:3], v[32:33], off offset:16
	global_load_dwordx4 v[4:7], v[32:33], off offset:128
	;; [unrolled: 1-line block ×4, first 2 shown]
	global_load_dword v25, v[20:21], off offset:-32
	global_load_dword v27, v[20:21], off offset:-16
	global_load_dword v70, v[20:21], off
	global_load_dword v71, v[20:21], off offset:16
	global_load_dwordx4 v[38:41], v[32:33], off offset:272
	global_load_dwordx4 v[42:45], v[32:33], off offset:384
	;; [unrolled: 1-line block ×3, first 2 shown]
	v_lshl_add_u64 v[28:29], v[28:29], 0, 16
	v_cmp_ge_i64_e32 vcc, v[28:29], v[30:31]
	v_lshl_add_u64 v[20:21], v[20:21], 0, 64
	v_lshl_add_u64 v[32:33], v[32:33], 0, s[10:11]
	s_or_b64 s[8:9], vcc, s[8:9]
	s_waitcnt vmcnt(11)
	v_cvt_f32_f16_sdwa v23, v8 dst_sel:DWORD dst_unused:UNUSED_PAD src0_sel:WORD_1
	s_waitcnt vmcnt(10)
	v_cvt_f32_f16_sdwa v53, v0 dst_sel:DWORD dst_unused:UNUSED_PAD src0_sel:WORD_1
	v_cvt_f32_f16_e32 v52, v0
	v_cvt_f32_f16_sdwa v55, v2 dst_sel:DWORD dst_unused:UNUSED_PAD src0_sel:WORD_1
	v_cvt_f32_f16_e32 v54, v2
	s_waitcnt vmcnt(6)
	v_subrev_u32_e32 v0, s16, v25
	v_cvt_f32_f16_sdwa v57, v4 dst_sel:DWORD dst_unused:UNUSED_PAD src0_sel:WORD_1
	v_cvt_f32_f16_e32 v56, v4
	v_cvt_f32_f16_sdwa v59, v6 dst_sel:DWORD dst_unused:UNUSED_PAD src0_sel:WORD_1
	v_cvt_f32_f16_e32 v58, v6
	s_waitcnt vmcnt(5)
	v_subrev_u32_e32 v2, s16, v27
	s_waitcnt vmcnt(4)
	v_subrev_u32_e32 v4, s16, v70
	;; [unrolled: 2-line block ×3, first 2 shown]
	v_lshlrev_b32_e32 v70, 2, v0
	v_lshlrev_b32_e32 v72, 2, v2
	;; [unrolled: 1-line block ×4, first 2 shown]
	v_ashrrev_i32_e32 v71, 31, v70
	v_ashrrev_i32_e32 v73, 31, v72
	;; [unrolled: 1-line block ×4, first 2 shown]
	s_waitcnt lgkmcnt(0)
	v_lshl_add_u64 v[70:71], v[70:71], 1, s[4:5]
	v_lshl_add_u64 v[72:73], v[72:73], 1, s[4:5]
	;; [unrolled: 1-line block ×4, first 2 shown]
	global_load_dwordx2 v[78:79], v[70:71], off
	global_load_dwordx2 v[80:81], v[72:73], off
	;; [unrolled: 1-line block ×4, first 2 shown]
	v_cvt_f32_f16_e32 v22, v8
	v_cvt_f32_f16_sdwa v69, v9 dst_sel:DWORD dst_unused:UNUSED_PAD src0_sel:WORD_1
	v_cvt_f32_f16_e32 v68, v9
	s_waitcnt vmcnt(4)
	v_cvt_f32_f16_sdwa v87, v48 dst_sel:DWORD dst_unused:UNUSED_PAD src0_sel:WORD_1
	v_cvt_f32_f16_e32 v86, v48
	v_cvt_f32_f16_sdwa v51, v10 dst_sel:DWORD dst_unused:UNUSED_PAD src0_sel:WORD_1
	v_cvt_f32_f16_e32 v50, v10
	v_cvt_f32_f16_sdwa v9, v11 dst_sel:DWORD dst_unused:UNUSED_PAD src0_sel:WORD_1
	v_cvt_f32_f16_e32 v8, v11
	v_cvt_f32_f16_sdwa v11, v1 dst_sel:DWORD dst_unused:UNUSED_PAD src0_sel:WORD_1
	v_cvt_f32_f16_e32 v10, v1
	v_cvt_f32_f16_sdwa v1, v3 dst_sel:DWORD dst_unused:UNUSED_PAD src0_sel:WORD_1
	v_cvt_f32_f16_e32 v0, v3
	v_cvt_f32_f16_sdwa v3, v5 dst_sel:DWORD dst_unused:UNUSED_PAD src0_sel:WORD_1
	v_cvt_f32_f16_e32 v2, v5
	v_cvt_f32_f16_sdwa v5, v7 dst_sel:DWORD dst_unused:UNUSED_PAD src0_sel:WORD_1
	v_cvt_f32_f16_e32 v4, v7
	v_cvt_f32_f16_sdwa v61, v12 dst_sel:DWORD dst_unused:UNUSED_PAD src0_sel:WORD_1
	v_cvt_f32_f16_e32 v60, v12
	v_cvt_f32_f16_sdwa v7, v13 dst_sel:DWORD dst_unused:UNUSED_PAD src0_sel:WORD_1
	v_cvt_f32_f16_e32 v6, v13
	v_cvt_f32_f16_sdwa v63, v14 dst_sel:DWORD dst_unused:UNUSED_PAD src0_sel:WORD_1
	v_cvt_f32_f16_e32 v62, v14
	v_cvt_f32_f16_sdwa v13, v15 dst_sel:DWORD dst_unused:UNUSED_PAD src0_sel:WORD_1
	v_cvt_f32_f16_e32 v12, v15
	v_cvt_f32_f16_sdwa v65, v16 dst_sel:DWORD dst_unused:UNUSED_PAD src0_sel:WORD_1
	v_cvt_f32_f16_e32 v64, v16
	v_cvt_f32_f16_sdwa v15, v17 dst_sel:DWORD dst_unused:UNUSED_PAD src0_sel:WORD_1
	v_cvt_f32_f16_e32 v14, v17
	v_cvt_f32_f16_sdwa v67, v18 dst_sel:DWORD dst_unused:UNUSED_PAD src0_sel:WORD_1
	v_cvt_f32_f16_e32 v66, v18
	v_cvt_f32_f16_sdwa v17, v19 dst_sel:DWORD dst_unused:UNUSED_PAD src0_sel:WORD_1
	v_cvt_f32_f16_e32 v16, v19
	v_cvt_f32_f16_sdwa v19, v38 dst_sel:DWORD dst_unused:UNUSED_PAD src0_sel:WORD_1
	v_cvt_f32_f16_e32 v18, v38
	v_cvt_f32_f16_sdwa v71, v39 dst_sel:DWORD dst_unused:UNUSED_PAD src0_sel:WORD_1
	v_cvt_f32_f16_e32 v70, v39
	v_cvt_f32_f16_sdwa v39, v40 dst_sel:DWORD dst_unused:UNUSED_PAD src0_sel:WORD_1
	v_cvt_f32_f16_e32 v38, v40
	v_cvt_f32_f16_sdwa v73, v41 dst_sel:DWORD dst_unused:UNUSED_PAD src0_sel:WORD_1
	v_cvt_f32_f16_e32 v72, v41
	v_cvt_f32_f16_sdwa v41, v42 dst_sel:DWORD dst_unused:UNUSED_PAD src0_sel:WORD_1
	v_cvt_f32_f16_e32 v40, v42
	v_cvt_f32_f16_sdwa v77, v43 dst_sel:DWORD dst_unused:UNUSED_PAD src0_sel:WORD_1
	v_cvt_f32_f16_e32 v76, v43
	v_cvt_f32_f16_sdwa v75, v44 dst_sel:DWORD dst_unused:UNUSED_PAD src0_sel:WORD_1
	v_cvt_f32_f16_e32 v74, v44
	v_cvt_f32_f16_sdwa v43, v45 dst_sel:DWORD dst_unused:UNUSED_PAD src0_sel:WORD_1
	v_cvt_f32_f16_e32 v42, v45
	v_cvt_f32_f16_sdwa v45, v46 dst_sel:DWORD dst_unused:UNUSED_PAD src0_sel:WORD_1
	v_cvt_f32_f16_e32 v44, v46
	v_cvt_f32_f16_sdwa v89, v47 dst_sel:DWORD dst_unused:UNUSED_PAD src0_sel:WORD_1
	v_cvt_f32_f16_e32 v88, v47
	v_cvt_f32_f16_sdwa v47, v49 dst_sel:DWORD dst_unused:UNUSED_PAD src0_sel:WORD_1
	v_cvt_f32_f16_e32 v46, v49
	s_waitcnt vmcnt(3)
	v_cvt_f32_f16_e32 v48, v78
	v_cvt_f32_f16_sdwa v78, v78 dst_sel:DWORD dst_unused:UNUSED_PAD src0_sel:WORD_1
	v_cvt_f32_f16_e32 v90, v79
	v_cvt_f32_f16_sdwa v92, v79 dst_sel:DWORD dst_unused:UNUSED_PAD src0_sel:WORD_1
	s_waitcnt vmcnt(2)
	v_cvt_f32_f16_e32 v94, v80
	v_pk_fma_f32 v[22:23], v[22:23], v[48:49], v[34:35] op_sel_hi:[1,0,1]
	v_pk_fma_f32 v[36:37], v[68:69], v[48:49], v[36:37] op_sel_hi:[1,0,1]
	v_cvt_f32_f16_sdwa v34, v80 dst_sel:DWORD dst_unused:UNUSED_PAD src0_sel:WORD_1
	v_pk_fma_f32 v[22:23], v[50:51], v[78:79], v[22:23] op_sel_hi:[1,0,1]
	v_pk_fma_f32 v[8:9], v[8:9], v[78:79], v[36:37] op_sel_hi:[1,0,1]
	v_cvt_f32_f16_e32 v48, v81
	v_pk_fma_f32 v[22:23], v[52:53], v[90:91], v[22:23] op_sel_hi:[1,0,1]
	v_pk_fma_f32 v[8:9], v[10:11], v[90:91], v[8:9] op_sel_hi:[1,0,1]
	v_cvt_f32_f16_sdwa v68, v81 dst_sel:DWORD dst_unused:UNUSED_PAD src0_sel:WORD_1
	v_pk_fma_f32 v[22:23], v[54:55], v[92:93], v[22:23] op_sel_hi:[1,0,1]
	v_pk_fma_f32 v[0:1], v[0:1], v[92:93], v[8:9] op_sel_hi:[1,0,1]
	s_waitcnt vmcnt(1)
	v_cvt_f32_f16_e32 v80, v82
	v_pk_fma_f32 v[8:9], v[56:57], v[94:95], v[22:23] op_sel_hi:[1,0,1]
	v_pk_fma_f32 v[0:1], v[2:3], v[94:95], v[0:1] op_sel_hi:[1,0,1]
	v_cvt_f32_f16_sdwa v50, v82 dst_sel:DWORD dst_unused:UNUSED_PAD src0_sel:WORD_1
	v_pk_fma_f32 v[2:3], v[58:59], v[34:35], v[8:9] op_sel_hi:[1,0,1]
	v_pk_fma_f32 v[0:1], v[4:5], v[34:35], v[0:1] op_sel_hi:[1,0,1]
	v_cvt_f32_f16_e32 v36, v83
	v_pk_fma_f32 v[2:3], v[60:61], v[48:49], v[2:3] op_sel_hi:[1,0,1]
	v_pk_fma_f32 v[0:1], v[6:7], v[48:49], v[0:1] op_sel_hi:[1,0,1]
	v_cvt_f32_f16_sdwa v78, v83 dst_sel:DWORD dst_unused:UNUSED_PAD src0_sel:WORD_1
	v_pk_fma_f32 v[2:3], v[62:63], v[68:69], v[2:3] op_sel_hi:[1,0,1]
	v_pk_fma_f32 v[0:1], v[12:13], v[68:69], v[0:1] op_sel_hi:[1,0,1]
	;; [unrolled: 13-line block ×3, first 2 shown]
	v_pk_fma_f32 v[2:3], v[40:41], v[82:83], v[2:3] op_sel_hi:[1,0,1]
	v_pk_fma_f32 v[0:1], v[76:77], v[82:83], v[0:1] op_sel_hi:[1,0,1]
	;; [unrolled: 1-line block ×8, first 2 shown]
	s_andn2_b64 exec, exec, s[8:9]
	s_cbranch_execnz .LBB95_33
; %bb.34:
	s_or_b64 exec, exec, s[8:9]
.LBB95_35:
	s_or_b64 exec, exec, s[2:3]
.LBB95_36:
	s_or_b64 exec, exec, s[6:7]
.LBB95_37:
	v_mov_b32_dpp v0, v34 row_shr:1 row_mask:0xf bank_mask:0xf
	v_mov_b32_dpp v1, v35 row_shr:1 row_mask:0xf bank_mask:0xf
	;; [unrolled: 1-line block ×4, first 2 shown]
	v_pk_add_f32 v[0:1], v[34:35], v[0:1]
	v_pk_add_f32 v[4:5], v[36:37], v[4:5]
	v_cmp_eq_u32_e32 vcc, 3, v26
	v_mov_b32_dpp v2, v0 row_shr:2 row_mask:0xf bank_mask:0xf
	v_mov_b32_dpp v3, v1 row_shr:2 row_mask:0xf bank_mask:0xf
	;; [unrolled: 1-line block ×4, first 2 shown]
	s_and_b64 exec, exec, vcc
	s_cbranch_execz .LBB95_10
; %bb.38:
	s_load_dwordx2 s[0:1], s[0:1], 0x50
	v_cmp_eq_f32_e64 s[2:3], s14, 0
	v_pk_add_f32 v[2:3], v[0:1], v[2:3]
	v_pk_add_f32 v[0:1], v[4:5], v[6:7]
	s_and_b64 vcc, exec, s[2:3]
	v_lshlrev_b32_e32 v4, 2, v24
	s_cbranch_vccz .LBB95_40
; %bb.39:
	v_ashrrev_i32_e32 v5, 31, v4
	s_waitcnt lgkmcnt(0)
	v_lshl_add_u64 v[10:11], v[4:5], 2, s[0:1]
	v_pk_mul_f32 v[6:7], s[12:13], v[2:3] op_sel_hi:[0,1]
	v_pk_mul_f32 v[8:9], s[12:13], v[0:1] op_sel_hi:[0,1]
	global_store_dwordx4 v[10:11], v[6:9], off
	s_cbranch_execnz .LBB95_10
	s_branch .LBB95_41
.LBB95_40:
.LBB95_41:
	v_ashrrev_i32_e32 v5, 31, v4
	s_waitcnt lgkmcnt(0)
	v_lshl_add_u64 v[8:9], v[4:5], 2, s[0:1]
	global_load_dwordx4 v[4:7], v[8:9], off
	v_pk_mul_f32 v[2:3], s[12:13], v[2:3] op_sel_hi:[0,1]
	v_pk_mul_f32 v[10:11], s[12:13], v[0:1] op_sel_hi:[0,1]
	s_waitcnt vmcnt(0)
	v_pk_fma_f32 v[0:1], s[14:15], v[4:5], v[2:3] op_sel_hi:[0,1,1]
	v_pk_fma_f32 v[2:3], s[14:15], v[6:7], v[10:11] op_sel_hi:[0,1,1]
	global_store_dwordx4 v[8:9], v[0:3], off
	s_endpgm
	.section	.rodata,"a",@progbits
	.p2align	6, 0x0
	.amdhsa_kernel _ZN9rocsparseL18bsrxmvn_4x4_kernelILj128ELj4EfliDF16_DF16_fEEvT3_20rocsparse_direction_NS_24const_host_device_scalarIT1_EES1_PKS1_PKT2_SA_S7_PKT4_PKT5_S5_PT6_21rocsparse_index_base_b
		.amdhsa_group_segment_fixed_size 0
		.amdhsa_private_segment_fixed_size 0
		.amdhsa_kernarg_size 96
		.amdhsa_user_sgpr_count 2
		.amdhsa_user_sgpr_dispatch_ptr 0
		.amdhsa_user_sgpr_queue_ptr 0
		.amdhsa_user_sgpr_kernarg_segment_ptr 1
		.amdhsa_user_sgpr_dispatch_id 0
		.amdhsa_user_sgpr_kernarg_preload_length 0
		.amdhsa_user_sgpr_kernarg_preload_offset 0
		.amdhsa_user_sgpr_private_segment_size 0
		.amdhsa_uses_dynamic_stack 0
		.amdhsa_enable_private_segment 0
		.amdhsa_system_sgpr_workgroup_id_x 1
		.amdhsa_system_sgpr_workgroup_id_y 0
		.amdhsa_system_sgpr_workgroup_id_z 0
		.amdhsa_system_sgpr_workgroup_info 0
		.amdhsa_system_vgpr_workitem_id 0
		.amdhsa_next_free_vgpr 102
		.amdhsa_next_free_sgpr 22
		.amdhsa_accum_offset 104
		.amdhsa_reserve_vcc 1
		.amdhsa_float_round_mode_32 0
		.amdhsa_float_round_mode_16_64 0
		.amdhsa_float_denorm_mode_32 3
		.amdhsa_float_denorm_mode_16_64 3
		.amdhsa_dx10_clamp 1
		.amdhsa_ieee_mode 1
		.amdhsa_fp16_overflow 0
		.amdhsa_tg_split 0
		.amdhsa_exception_fp_ieee_invalid_op 0
		.amdhsa_exception_fp_denorm_src 0
		.amdhsa_exception_fp_ieee_div_zero 0
		.amdhsa_exception_fp_ieee_overflow 0
		.amdhsa_exception_fp_ieee_underflow 0
		.amdhsa_exception_fp_ieee_inexact 0
		.amdhsa_exception_int_div_zero 0
	.end_amdhsa_kernel
	.section	.text._ZN9rocsparseL18bsrxmvn_4x4_kernelILj128ELj4EfliDF16_DF16_fEEvT3_20rocsparse_direction_NS_24const_host_device_scalarIT1_EES1_PKS1_PKT2_SA_S7_PKT4_PKT5_S5_PT6_21rocsparse_index_base_b,"axG",@progbits,_ZN9rocsparseL18bsrxmvn_4x4_kernelILj128ELj4EfliDF16_DF16_fEEvT3_20rocsparse_direction_NS_24const_host_device_scalarIT1_EES1_PKS1_PKT2_SA_S7_PKT4_PKT5_S5_PT6_21rocsparse_index_base_b,comdat
.Lfunc_end95:
	.size	_ZN9rocsparseL18bsrxmvn_4x4_kernelILj128ELj4EfliDF16_DF16_fEEvT3_20rocsparse_direction_NS_24const_host_device_scalarIT1_EES1_PKS1_PKT2_SA_S7_PKT4_PKT5_S5_PT6_21rocsparse_index_base_b, .Lfunc_end95-_ZN9rocsparseL18bsrxmvn_4x4_kernelILj128ELj4EfliDF16_DF16_fEEvT3_20rocsparse_direction_NS_24const_host_device_scalarIT1_EES1_PKS1_PKT2_SA_S7_PKT4_PKT5_S5_PT6_21rocsparse_index_base_b
                                        ; -- End function
	.set _ZN9rocsparseL18bsrxmvn_4x4_kernelILj128ELj4EfliDF16_DF16_fEEvT3_20rocsparse_direction_NS_24const_host_device_scalarIT1_EES1_PKS1_PKT2_SA_S7_PKT4_PKT5_S5_PT6_21rocsparse_index_base_b.num_vgpr, 102
	.set _ZN9rocsparseL18bsrxmvn_4x4_kernelILj128ELj4EfliDF16_DF16_fEEvT3_20rocsparse_direction_NS_24const_host_device_scalarIT1_EES1_PKS1_PKT2_SA_S7_PKT4_PKT5_S5_PT6_21rocsparse_index_base_b.num_agpr, 0
	.set _ZN9rocsparseL18bsrxmvn_4x4_kernelILj128ELj4EfliDF16_DF16_fEEvT3_20rocsparse_direction_NS_24const_host_device_scalarIT1_EES1_PKS1_PKT2_SA_S7_PKT4_PKT5_S5_PT6_21rocsparse_index_base_b.numbered_sgpr, 22
	.set _ZN9rocsparseL18bsrxmvn_4x4_kernelILj128ELj4EfliDF16_DF16_fEEvT3_20rocsparse_direction_NS_24const_host_device_scalarIT1_EES1_PKS1_PKT2_SA_S7_PKT4_PKT5_S5_PT6_21rocsparse_index_base_b.num_named_barrier, 0
	.set _ZN9rocsparseL18bsrxmvn_4x4_kernelILj128ELj4EfliDF16_DF16_fEEvT3_20rocsparse_direction_NS_24const_host_device_scalarIT1_EES1_PKS1_PKT2_SA_S7_PKT4_PKT5_S5_PT6_21rocsparse_index_base_b.private_seg_size, 0
	.set _ZN9rocsparseL18bsrxmvn_4x4_kernelILj128ELj4EfliDF16_DF16_fEEvT3_20rocsparse_direction_NS_24const_host_device_scalarIT1_EES1_PKS1_PKT2_SA_S7_PKT4_PKT5_S5_PT6_21rocsparse_index_base_b.uses_vcc, 1
	.set _ZN9rocsparseL18bsrxmvn_4x4_kernelILj128ELj4EfliDF16_DF16_fEEvT3_20rocsparse_direction_NS_24const_host_device_scalarIT1_EES1_PKS1_PKT2_SA_S7_PKT4_PKT5_S5_PT6_21rocsparse_index_base_b.uses_flat_scratch, 0
	.set _ZN9rocsparseL18bsrxmvn_4x4_kernelILj128ELj4EfliDF16_DF16_fEEvT3_20rocsparse_direction_NS_24const_host_device_scalarIT1_EES1_PKS1_PKT2_SA_S7_PKT4_PKT5_S5_PT6_21rocsparse_index_base_b.has_dyn_sized_stack, 0
	.set _ZN9rocsparseL18bsrxmvn_4x4_kernelILj128ELj4EfliDF16_DF16_fEEvT3_20rocsparse_direction_NS_24const_host_device_scalarIT1_EES1_PKS1_PKT2_SA_S7_PKT4_PKT5_S5_PT6_21rocsparse_index_base_b.has_recursion, 0
	.set _ZN9rocsparseL18bsrxmvn_4x4_kernelILj128ELj4EfliDF16_DF16_fEEvT3_20rocsparse_direction_NS_24const_host_device_scalarIT1_EES1_PKS1_PKT2_SA_S7_PKT4_PKT5_S5_PT6_21rocsparse_index_base_b.has_indirect_call, 0
	.section	.AMDGPU.csdata,"",@progbits
; Kernel info:
; codeLenInByte = 3916
; TotalNumSgprs: 28
; NumVgprs: 102
; NumAgprs: 0
; TotalNumVgprs: 102
; ScratchSize: 0
; MemoryBound: 0
; FloatMode: 240
; IeeeMode: 1
; LDSByteSize: 0 bytes/workgroup (compile time only)
; SGPRBlocks: 3
; VGPRBlocks: 12
; NumSGPRsForWavesPerEU: 28
; NumVGPRsForWavesPerEU: 102
; AccumOffset: 104
; Occupancy: 4
; WaveLimiterHint : 1
; COMPUTE_PGM_RSRC2:SCRATCH_EN: 0
; COMPUTE_PGM_RSRC2:USER_SGPR: 2
; COMPUTE_PGM_RSRC2:TRAP_HANDLER: 0
; COMPUTE_PGM_RSRC2:TGID_X_EN: 1
; COMPUTE_PGM_RSRC2:TGID_Y_EN: 0
; COMPUTE_PGM_RSRC2:TGID_Z_EN: 0
; COMPUTE_PGM_RSRC2:TIDIG_COMP_CNT: 0
; COMPUTE_PGM_RSRC3_GFX90A:ACCUM_OFFSET: 25
; COMPUTE_PGM_RSRC3_GFX90A:TG_SPLIT: 0
	.section	.text._ZN9rocsparseL18bsrxmvn_4x4_kernelILj128ELj8EfliDF16_DF16_fEEvT3_20rocsparse_direction_NS_24const_host_device_scalarIT1_EES1_PKS1_PKT2_SA_S7_PKT4_PKT5_S5_PT6_21rocsparse_index_base_b,"axG",@progbits,_ZN9rocsparseL18bsrxmvn_4x4_kernelILj128ELj8EfliDF16_DF16_fEEvT3_20rocsparse_direction_NS_24const_host_device_scalarIT1_EES1_PKS1_PKT2_SA_S7_PKT4_PKT5_S5_PT6_21rocsparse_index_base_b,comdat
	.globl	_ZN9rocsparseL18bsrxmvn_4x4_kernelILj128ELj8EfliDF16_DF16_fEEvT3_20rocsparse_direction_NS_24const_host_device_scalarIT1_EES1_PKS1_PKT2_SA_S7_PKT4_PKT5_S5_PT6_21rocsparse_index_base_b ; -- Begin function _ZN9rocsparseL18bsrxmvn_4x4_kernelILj128ELj8EfliDF16_DF16_fEEvT3_20rocsparse_direction_NS_24const_host_device_scalarIT1_EES1_PKS1_PKT2_SA_S7_PKT4_PKT5_S5_PT6_21rocsparse_index_base_b
	.p2align	8
	.type	_ZN9rocsparseL18bsrxmvn_4x4_kernelILj128ELj8EfliDF16_DF16_fEEvT3_20rocsparse_direction_NS_24const_host_device_scalarIT1_EES1_PKS1_PKT2_SA_S7_PKT4_PKT5_S5_PT6_21rocsparse_index_base_b,@function
_ZN9rocsparseL18bsrxmvn_4x4_kernelILj128ELj8EfliDF16_DF16_fEEvT3_20rocsparse_direction_NS_24const_host_device_scalarIT1_EES1_PKS1_PKT2_SA_S7_PKT4_PKT5_S5_PT6_21rocsparse_index_base_b: ; @_ZN9rocsparseL18bsrxmvn_4x4_kernelILj128ELj8EfliDF16_DF16_fEEvT3_20rocsparse_direction_NS_24const_host_device_scalarIT1_EES1_PKS1_PKT2_SA_S7_PKT4_PKT5_S5_PT6_21rocsparse_index_base_b
; %bb.0:
	s_load_dwordx2 s[16:17], s[0:1], 0x58
	s_load_dwordx2 s[12:13], s[0:1], 0x8
	;; [unrolled: 1-line block ×3, first 2 shown]
	s_waitcnt lgkmcnt(0)
	s_bitcmp1_b32 s17, 0
	s_cselect_b64 s[6:7], -1, 0
	s_xor_b64 s[4:5], s[6:7], -1
	s_and_b64 vcc, exec, s[6:7]
	s_cbranch_vccnz .LBB96_2
; %bb.1:
	s_load_dword s12, s[12:13], 0x0
.LBB96_2:
	s_andn2_b64 vcc, exec, s[4:5]
	s_cbranch_vccnz .LBB96_4
; %bb.3:
	s_load_dword s14, s[14:15], 0x0
.LBB96_4:
	s_waitcnt lgkmcnt(0)
	v_cmp_neq_f32_e64 s[4:5], s12, 0
	v_cmp_neq_f32_e64 s[6:7], s14, 1.0
	s_or_b64 s[4:5], s[4:5], s[6:7]
	s_andn2_b64 vcc, exec, s[4:5]
	s_cbranch_vccnz .LBB96_10
; %bb.5:
	s_load_dwordx2 s[4:5], s[0:1], 0x18
	s_load_dwordx2 s[18:19], s[0:1], 0x0
	v_lshrrev_b32_e32 v1, 3, v0
	v_lshl_or_b32 v20, s2, 4, v1
	s_mov_b64 s[2:3], 0
	s_waitcnt lgkmcnt(0)
	s_cmp_lg_u64 s[4:5], 0
	s_cbranch_scc0 .LBB96_11
; %bb.6:
	s_load_dword s6, s[0:1], 0x10
                                        ; implicit-def: $vgpr1
	s_waitcnt lgkmcnt(0)
	v_cmp_gt_i32_e32 vcc, s6, v20
	s_and_saveexec_b64 s[6:7], vcc
	s_xor_b64 s[6:7], exec, s[6:7]
	s_cbranch_execz .LBB96_8
; %bb.7:
	v_ashrrev_i32_e32 v21, 31, v20
	v_lshl_add_u64 v[2:3], v[20:21], 2, s[4:5]
	global_load_dword v1, v[2:3], off
	s_mov_b64 s[2:3], exec
	s_waitcnt vmcnt(0)
	v_subrev_u32_e32 v1, s16, v1
.LBB96_8:
	s_or_b64 exec, exec, s[6:7]
	s_branch .LBB96_12
.LBB96_9:
	v_cmp_gt_i32_e32 vcc, s18, v20
	s_andn2_b64 s[2:3], s[2:3], exec
	s_and_b64 s[4:5], vcc, exec
	s_or_b64 s[2:3], s[2:3], s[4:5]
	s_and_saveexec_b64 s[4:5], s[2:3]
	s_cbranch_execnz .LBB96_13
.LBB96_10:
	s_endpgm
.LBB96_11:
                                        ; implicit-def: $vgpr1
	s_cbranch_execnz .LBB96_9
.LBB96_12:
	v_mov_b32_e32 v20, v1
	s_and_saveexec_b64 s[4:5], s[2:3]
	s_cbranch_execz .LBB96_10
.LBB96_13:
	s_load_dwordx8 s[4:11], s[0:1], 0x20
	v_ashrrev_i32_e32 v21, 31, v20
	v_lshlrev_b64 v[2:3], 3, v[20:21]
	v_and_b32_e32 v22, 7, v0
	v_mov_b32_e32 v23, 0
	s_waitcnt lgkmcnt(0)
	v_lshl_add_u64 v[4:5], s[4:5], 0, v[2:3]
	s_cmp_eq_u64 s[6:7], 0
	v_lshl_add_u64 v[2:3], s[6:7], 0, v[2:3]
	global_load_dwordx2 v[34:35], v[4:5], off
	v_lshl_add_u64 v[4:5], v[4:5], 0, 8
	s_cselect_b64 vcc, -1, 0
	v_cndmask_b32_e32 v3, v3, v5, vcc
	v_cndmask_b32_e32 v2, v2, v4, vcc
	global_load_dwordx2 v[2:3], v[2:3], off
	s_load_dwordx2 s[4:5], s[0:1], 0x40
	s_cmp_eq_u32 s19, 1
	s_waitcnt vmcnt(1)
	v_subrev_co_u32_e32 v0, vcc, s16, v34
	s_nop 1
	v_subbrev_co_u32_e32 v1, vcc, 0, v35, vcc
	v_lshl_add_u64 v[24:25], v[0:1], 0, v[22:23]
	s_waitcnt vmcnt(0)
	v_subrev_co_u32_e32 v26, vcc, s16, v2
	v_lshlrev_b64 v[0:1], 5, v[24:25]
	s_nop 0
	v_subbrev_co_u32_e32 v27, vcc, 0, v3, vcc
	v_lshl_add_u64 v[28:29], s[10:11], 0, v[0:1]
	v_cmp_lt_i64_e64 s[2:3], v[24:25], v[26:27]
	s_cbranch_scc1 .LBB96_25
; %bb.14:
	v_mov_b32_e32 v30, v23
	v_mov_b32_e32 v33, v23
	;; [unrolled: 1-line block ×3, first 2 shown]
	s_and_saveexec_b64 s[6:7], s[2:3]
	s_cbranch_execz .LBB96_24
; %bb.15:
	v_or_b32_e32 v0, 8, v22
	v_subrev_co_u32_e32 v0, vcc, s16, v0
	v_not_b32_e32 v3, v35
	s_nop 0
	v_subb_co_u32_e64 v1, s[10:11], 0, 0, vcc
	v_lshl_add_u64 v[0:1], v[0:1], 0, v[34:35]
	v_cmp_gt_i64_e32 vcc, v[0:1], v[26:27]
	v_not_b32_e32 v2, v34
	v_mov_b32_e32 v33, 0
	v_cndmask_b32_e32 v1, v27, v1, vcc
	v_cndmask_b32_e32 v0, v26, v0, vcc
	v_sub_co_u32_e32 v4, vcc, s16, v22
	v_mov_b32_e32 v30, v33
	s_nop 0
	v_subb_co_u32_e64 v5, s[10:11], 0, 0, vcc
	v_lshl_add_u64 v[2:3], v[4:5], 0, v[2:3]
	v_lshl_add_u64 v[0:1], v[2:3], 0, v[0:1]
	v_and_b32_e32 v32, 24, v0
	v_cmp_ne_u64_e32 vcc, 24, v[32:33]
	v_mov_b32_e32 v32, v33
	v_mov_b32_e32 v31, v33
	v_mov_b64_e32 v[36:37], v[24:25]
	v_mov_b64_e32 v[38:39], v[28:29]
	s_and_saveexec_b64 s[10:11], vcc
	s_cbranch_execz .LBB96_19
; %bb.16:
	v_lshrrev_b32_e32 v2, 3, v0
	v_add_u32_e32 v2, 1, v2
	v_and_b32_e32 v4, 3, v2
	v_sub_co_u32_e32 v4, vcc, 0, v4
	v_mov_b32_e32 v31, 0
	s_nop 0
	v_subb_co_u32_e64 v5, s[20:21], 0, 0, vcc
	v_lshl_add_u64 v[2:3], v[24:25], 2, s[8:9]
	s_mov_b64 s[18:19], 0
	s_mov_b64 s[20:21], 0x100
	v_mov_b64_e32 v[38:39], v[28:29]
	v_mov_b64_e32 v[36:37], v[24:25]
	v_mov_b32_e32 v30, v31
	v_mov_b32_e32 v33, v31
	v_mov_b32_e32 v32, v31
.LBB96_17:                              ; =>This Inner Loop Header: Depth=1
	global_load_dword v14, v[2:3], off
	global_load_dwordx4 v[6:9], v[38:39], off
	global_load_dwordx4 v[10:13], v[38:39], off offset:16
	v_lshl_add_u64 v[4:5], v[4:5], 0, 1
	v_cmp_eq_u64_e32 vcc, 0, v[4:5]
	v_lshl_add_u64 v[38:39], v[38:39], 0, s[20:21]
	v_lshl_add_u64 v[36:37], v[36:37], 0, 8
	;; [unrolled: 1-line block ×3, first 2 shown]
	s_or_b64 s[18:19], vcc, s[18:19]
	s_waitcnt vmcnt(2)
	v_subrev_u32_e32 v14, s16, v14
	v_lshlrev_b32_e32 v14, 2, v14
	v_ashrrev_i32_e32 v15, 31, v14
	s_waitcnt lgkmcnt(0)
	v_lshl_add_u64 v[14:15], v[14:15], 1, s[4:5]
	global_load_dwordx2 v[14:15], v[14:15], off
	s_waitcnt vmcnt(2)
	v_cvt_f32_f16_e32 v16, v6
	v_cvt_f32_f16_e32 v17, v8
	v_cvt_f32_f16_sdwa v19, v8 dst_sel:DWORD dst_unused:UNUSED_PAD src0_sel:WORD_1
	v_cvt_f32_f16_sdwa v18, v6 dst_sel:DWORD dst_unused:UNUSED_PAD src0_sel:WORD_1
	v_cvt_f32_f16_e32 v40, v7
	v_cvt_f32_f16_sdwa v8, v7 dst_sel:DWORD dst_unused:UNUSED_PAD src0_sel:WORD_1
	s_waitcnt vmcnt(1)
	v_cvt_f32_f16_e32 v6, v10
	v_cvt_f32_f16_e32 v7, v12
	v_cvt_f32_f16_sdwa v42, v10 dst_sel:DWORD dst_unused:UNUSED_PAD src0_sel:WORD_1
	v_cvt_f32_f16_sdwa v43, v12 dst_sel:DWORD dst_unused:UNUSED_PAD src0_sel:WORD_1
	v_cvt_f32_f16_e32 v41, v9
	v_cvt_f32_f16_e32 v45, v13
	;; [unrolled: 1-line block ×3, first 2 shown]
	v_cvt_f32_f16_sdwa v9, v9 dst_sel:DWORD dst_unused:UNUSED_PAD src0_sel:WORD_1
	v_cvt_f32_f16_sdwa v13, v13 dst_sel:DWORD dst_unused:UNUSED_PAD src0_sel:WORD_1
	;; [unrolled: 1-line block ×3, first 2 shown]
	s_waitcnt vmcnt(0)
	v_cvt_f32_f16_e32 v10, v14
	v_cvt_f32_f16_sdwa v14, v14 dst_sel:DWORD dst_unused:UNUSED_PAD src0_sel:WORD_1
	v_cvt_f32_f16_e32 v46, v15
	v_cvt_f32_f16_sdwa v48, v15 dst_sel:DWORD dst_unused:UNUSED_PAD src0_sel:WORD_1
	v_pk_fma_f32 v[16:17], v[16:17], v[10:11], v[32:33] op_sel_hi:[1,0,1]
	v_pk_fma_f32 v[6:7], v[6:7], v[10:11], v[30:31] op_sel_hi:[1,0,1]
	;; [unrolled: 1-line block ×8, first 2 shown]
	s_andn2_b64 exec, exec, s[18:19]
	s_cbranch_execnz .LBB96_17
; %bb.18:
	s_or_b64 exec, exec, s[18:19]
.LBB96_19:
	s_or_b64 exec, exec, s[10:11]
	v_cmp_lt_u64_e32 vcc, 23, v[0:1]
	s_and_saveexec_b64 s[10:11], vcc
	s_cbranch_execz .LBB96_23
; %bb.20:
	v_lshl_add_u64 v[0:1], v[36:37], 2, s[8:9]
	v_lshl_add_u64 v[40:41], v[0:1], 0, 64
	s_mov_b64 s[18:19], 0
	s_mov_b64 s[20:21], 0x80
	;; [unrolled: 1-line block ×3, first 2 shown]
.LBB96_21:                              ; =>This Inner Loop Header: Depth=1
	global_load_dword v21, v[40:41], off offset:-64
	global_load_dwordx4 v[4:7], v[38:39], off
	global_load_dwordx4 v[0:3], v[38:39], off offset:16
	global_load_dword v23, v[40:41], off offset:-32
	global_load_dword v58, v[40:41], off
	global_load_dwordx4 v[8:11], v[38:39], off offset:512
	global_load_dwordx4 v[12:15], v[38:39], off offset:256
	global_load_dword v59, v[40:41], off offset:32
	global_load_dwordx4 v[16:19], v[38:39], off offset:528
	global_load_dwordx4 v[42:45], v[38:39], off offset:272
	;; [unrolled: 1-line block ×4, first 2 shown]
	v_lshl_add_u64 v[36:37], v[36:37], 0, 32
	v_cmp_ge_i64_e32 vcc, v[36:37], v[26:27]
	v_lshl_add_u64 v[40:41], v[40:41], 0, s[20:21]
	v_lshl_add_u64 v[38:39], v[38:39], 0, s[22:23]
	s_or_b64 s[18:19], vcc, s[18:19]
	s_waitcnt vmcnt(11)
	v_subrev_u32_e32 v21, s16, v21
	s_waitcnt vmcnt(10)
	v_cvt_f32_f16_e32 v54, v4
	v_cvt_f32_f16_sdwa v60, v4 dst_sel:DWORD dst_unused:UNUSED_PAD src0_sel:WORD_1
	s_waitcnt vmcnt(8)
	v_subrev_u32_e32 v23, s16, v23
	s_waitcnt vmcnt(7)
	v_subrev_u32_e32 v73, s16, v58
	s_waitcnt vmcnt(6)
	v_cvt_f32_f16_sdwa v58, v9 dst_sel:DWORD dst_unused:UNUSED_PAD src0_sel:WORD_1
	s_waitcnt vmcnt(5)
	v_cvt_f32_f16_e32 v4, v12
	v_cvt_f32_f16_sdwa v64, v12 dst_sel:DWORD dst_unused:UNUSED_PAD src0_sel:WORD_1
	v_cvt_f32_f16_e32 v12, v8
	v_cvt_f32_f16_sdwa v68, v8 dst_sel:DWORD dst_unused:UNUSED_PAD src0_sel:WORD_1
	v_cvt_f32_f16_e32 v70, v9
	s_waitcnt vmcnt(4)
	v_subrev_u32_e32 v9, s16, v59
	v_lshlrev_b32_e32 v8, 2, v21
	v_lshlrev_b32_e32 v72, 2, v23
	;; [unrolled: 1-line block ×4, first 2 shown]
	v_ashrrev_i32_e32 v9, 31, v8
	v_ashrrev_i32_e32 v73, 31, v72
	;; [unrolled: 1-line block ×4, first 2 shown]
	s_waitcnt lgkmcnt(0)
	v_lshl_add_u64 v[8:9], v[8:9], 1, s[4:5]
	v_lshl_add_u64 v[72:73], v[72:73], 1, s[4:5]
	;; [unrolled: 1-line block ×4, first 2 shown]
	global_load_dwordx2 v[78:79], v[8:9], off
	global_load_dwordx2 v[80:81], v[72:73], off
	global_load_dwordx2 v[82:83], v[74:75], off
	global_load_dwordx2 v[84:85], v[76:77], off
	v_cvt_f32_f16_e32 v55, v6
	v_cvt_f32_f16_e32 v56, v0
	;; [unrolled: 1-line block ×3, first 2 shown]
	v_cvt_f32_f16_sdwa v61, v6 dst_sel:DWORD dst_unused:UNUSED_PAD src0_sel:WORD_1
	v_cvt_f32_f16_e32 v62, v5
	v_cvt_f32_f16_sdwa v6, v5 dst_sel:DWORD dst_unused:UNUSED_PAD src0_sel:WORD_1
	v_cvt_f32_f16_e32 v5, v14
	;; [unrolled: 2-line block ×5, first 2 shown]
	v_cvt_f32_f16_sdwa v59, v11 dst_sel:DWORD dst_unused:UNUSED_PAD src0_sel:WORD_1
	v_cvt_f32_f16_sdwa v11, v2 dst_sel:DWORD dst_unused:UNUSED_PAD src0_sel:WORD_1
	;; [unrolled: 1-line block ×3, first 2 shown]
	v_cvt_f32_f16_e32 v72, v1
	v_cvt_f32_f16_sdwa v2, v1 dst_sel:DWORD dst_unused:UNUSED_PAD src0_sel:WORD_1
	s_waitcnt vmcnt(6)
	v_cvt_f32_f16_e32 v1, v44
	v_cvt_f32_f16_e32 v0, v42
	v_cvt_f32_f16_sdwa v75, v44 dst_sel:DWORD dst_unused:UNUSED_PAD src0_sel:WORD_1
	v_cvt_f32_f16_sdwa v74, v42 dst_sel:DWORD dst_unused:UNUSED_PAD src0_sel:WORD_1
	v_cvt_f32_f16_e32 v76, v43
	v_cvt_f32_f16_sdwa v44, v43 dst_sel:DWORD dst_unused:UNUSED_PAD src0_sel:WORD_1
	v_cvt_f32_f16_e32 v43, v18
	v_cvt_f32_f16_e32 v42, v16
	v_cvt_f32_f16_sdwa v87, v18 dst_sel:DWORD dst_unused:UNUSED_PAD src0_sel:WORD_1
	v_cvt_f32_f16_sdwa v86, v16 dst_sel:DWORD dst_unused:UNUSED_PAD src0_sel:WORD_1
	s_waitcnt vmcnt(5)
	v_cvt_f32_f16_e32 v16, v46
	v_cvt_f32_f16_sdwa v18, v46 dst_sel:DWORD dst_unused:UNUSED_PAD src0_sel:WORD_1
	s_waitcnt vmcnt(4)
	v_cvt_f32_f16_e32 v46, v50
	v_cvt_f32_f16_sdwa v92, v50 dst_sel:DWORD dst_unused:UNUSED_PAD src0_sel:WORD_1
	v_cvt_f32_f16_e32 v63, v7
	v_cvt_f32_f16_e32 v73, v3
	v_cvt_f32_f16_sdwa v7, v7 dst_sel:DWORD dst_unused:UNUSED_PAD src0_sel:WORD_1
	v_cvt_f32_f16_sdwa v3, v3 dst_sel:DWORD dst_unused:UNUSED_PAD src0_sel:WORD_1
	v_cvt_f32_f16_e32 v67, v15
	v_cvt_f32_f16_e32 v77, v45
	v_cvt_f32_f16_sdwa v15, v15 dst_sel:DWORD dst_unused:UNUSED_PAD src0_sel:WORD_1
	;; [unrolled: 4-line block ×3, first 2 shown]
	v_cvt_f32_f16_sdwa v9, v19 dst_sel:DWORD dst_unused:UNUSED_PAD src0_sel:WORD_1
	v_cvt_f32_f16_e32 v17, v48
	v_cvt_f32_f16_sdwa v19, v48 dst_sel:DWORD dst_unused:UNUSED_PAD src0_sel:WORD_1
	v_cvt_f32_f16_e32 v90, v47
	;; [unrolled: 2-line block ×4, first 2 shown]
	v_cvt_f32_f16_e32 v95, v53
	v_cvt_f32_f16_e32 v94, v51
	v_cvt_f32_f16_sdwa v49, v49 dst_sel:DWORD dst_unused:UNUSED_PAD src0_sel:WORD_1
	v_cvt_f32_f16_sdwa v53, v53 dst_sel:DWORD dst_unused:UNUSED_PAD src0_sel:WORD_1
	;; [unrolled: 1-line block ×3, first 2 shown]
	s_waitcnt vmcnt(3)
	v_cvt_f32_f16_e32 v50, v78
	v_cvt_f32_f16_sdwa v78, v78 dst_sel:DWORD dst_unused:UNUSED_PAD src0_sel:WORD_1
	v_cvt_f32_f16_e32 v96, v79
	v_cvt_f32_f16_sdwa v98, v79 dst_sel:DWORD dst_unused:UNUSED_PAD src0_sel:WORD_1
	s_waitcnt vmcnt(2)
	v_cvt_f32_f16_e32 v100, v80
	v_pk_fma_f32 v[32:33], v[54:55], v[50:51], v[32:33] op_sel_hi:[1,0,1]
	v_pk_fma_f32 v[30:31], v[56:57], v[50:51], v[30:31] op_sel_hi:[1,0,1]
	v_cvt_f32_f16_sdwa v54, v80 dst_sel:DWORD dst_unused:UNUSED_PAD src0_sel:WORD_1
	v_pk_fma_f32 v[32:33], v[60:61], v[78:79], v[32:33] op_sel_hi:[1,0,1]
	v_pk_fma_f32 v[10:11], v[10:11], v[78:79], v[30:31] op_sel_hi:[1,0,1]
	v_cvt_f32_f16_e32 v50, v81
	v_pk_fma_f32 v[32:33], v[62:63], v[96:97], v[32:33] op_sel_hi:[1,0,1]
	v_pk_fma_f32 v[10:11], v[72:73], v[96:97], v[10:11] op_sel_hi:[1,0,1]
	v_cvt_f32_f16_sdwa v56, v81 dst_sel:DWORD dst_unused:UNUSED_PAD src0_sel:WORD_1
	v_pk_fma_f32 v[6:7], v[6:7], v[98:99], v[32:33] op_sel_hi:[1,0,1]
	v_pk_fma_f32 v[2:3], v[2:3], v[98:99], v[10:11] op_sel_hi:[1,0,1]
	s_waitcnt vmcnt(1)
	v_cvt_f32_f16_e32 v80, v82
	v_pk_fma_f32 v[4:5], v[4:5], v[100:101], v[6:7] op_sel_hi:[1,0,1]
	v_pk_fma_f32 v[0:1], v[0:1], v[100:101], v[2:3] op_sel_hi:[1,0,1]
	v_cvt_f32_f16_sdwa v60, v82 dst_sel:DWORD dst_unused:UNUSED_PAD src0_sel:WORD_1
	v_pk_fma_f32 v[2:3], v[64:65], v[54:55], v[4:5] op_sel_hi:[1,0,1]
	v_pk_fma_f32 v[0:1], v[74:75], v[54:55], v[0:1] op_sel_hi:[1,0,1]
	v_cvt_f32_f16_e32 v30, v83
	v_pk_fma_f32 v[2:3], v[66:67], v[50:51], v[2:3] op_sel_hi:[1,0,1]
	v_pk_fma_f32 v[0:1], v[76:77], v[50:51], v[0:1] op_sel_hi:[1,0,1]
	v_cvt_f32_f16_sdwa v78, v83 dst_sel:DWORD dst_unused:UNUSED_PAD src0_sel:WORD_1
	v_pk_fma_f32 v[2:3], v[14:15], v[56:57], v[2:3] op_sel_hi:[1,0,1]
	v_pk_fma_f32 v[0:1], v[44:45], v[56:57], v[0:1] op_sel_hi:[1,0,1]
	;; [unrolled: 13-line block ×3, first 2 shown]
	v_pk_fma_f32 v[2:3], v[16:17], v[82:83], v[2:3] op_sel_hi:[1,0,1]
	v_pk_fma_f32 v[0:1], v[46:47], v[82:83], v[0:1] op_sel_hi:[1,0,1]
	;; [unrolled: 1-line block ×8, first 2 shown]
	s_andn2_b64 exec, exec, s[18:19]
	s_cbranch_execnz .LBB96_21
; %bb.22:
	s_or_b64 exec, exec, s[18:19]
.LBB96_23:
	s_or_b64 exec, exec, s[10:11]
	v_mov_b32_e32 v23, v31
.LBB96_24:
	s_or_b64 exec, exec, s[6:7]
	v_mov_b32_e32 v31, v23
	s_cbranch_execz .LBB96_26
	s_branch .LBB96_37
.LBB96_25:
                                        ; implicit-def: $vgpr31
                                        ; implicit-def: $vgpr33
.LBB96_26:
	v_mov_b32_e32 v31, 0
	v_mov_b32_e32 v30, 0
	;; [unrolled: 1-line block ×4, first 2 shown]
	s_and_saveexec_b64 s[6:7], s[2:3]
	s_cbranch_execz .LBB96_36
; %bb.27:
	v_or_b32_e32 v0, 8, v22
	v_subrev_co_u32_e32 v0, vcc, s16, v0
	v_not_b32_e32 v3, v35
	s_nop 0
	v_subb_co_u32_e64 v1, s[2:3], 0, 0, vcc
	v_lshl_add_u64 v[0:1], v[0:1], 0, v[34:35]
	v_cmp_gt_i64_e32 vcc, v[0:1], v[26:27]
	v_not_b32_e32 v2, v34
	v_mov_b32_e32 v33, 0
	v_cndmask_b32_e32 v1, v27, v1, vcc
	v_cndmask_b32_e32 v0, v26, v0, vcc
	v_sub_co_u32_e32 v4, vcc, s16, v22
	v_mov_b32_e32 v30, v33
	s_nop 0
	v_subb_co_u32_e64 v5, s[2:3], 0, 0, vcc
	v_lshl_add_u64 v[2:3], v[4:5], 0, v[2:3]
	v_lshl_add_u64 v[0:1], v[2:3], 0, v[0:1]
	v_and_b32_e32 v32, 24, v0
	v_cmp_ne_u64_e32 vcc, 24, v[32:33]
	v_mov_b32_e32 v32, v33
	v_mov_b32_e32 v31, v33
	s_and_saveexec_b64 s[2:3], vcc
	s_cbranch_execz .LBB96_31
; %bb.28:
	v_lshrrev_b32_e32 v2, 3, v0
	v_add_u32_e32 v2, 1, v2
	v_and_b32_e32 v4, 3, v2
	v_sub_co_u32_e32 v4, vcc, 0, v4
	v_mov_b32_e32 v31, 0
	s_nop 0
	v_subb_co_u32_e64 v5, s[18:19], 0, 0, vcc
	v_lshl_add_u64 v[2:3], v[24:25], 2, s[8:9]
	s_mov_b64 s[10:11], 0
	s_mov_b64 s[18:19], 0x100
	v_mov_b32_e32 v30, v31
	v_mov_b32_e32 v33, v31
	;; [unrolled: 1-line block ×3, first 2 shown]
.LBB96_29:                              ; =>This Inner Loop Header: Depth=1
	global_load_dword v10, v[2:3], off
	global_load_dwordx4 v[6:9], v[28:29], off
	v_lshl_add_u64 v[4:5], v[4:5], 0, 1
	v_cmp_eq_u64_e32 vcc, 0, v[4:5]
	v_lshl_add_u64 v[24:25], v[24:25], 0, 8
	v_lshl_add_u64 v[2:3], v[2:3], 0, 32
	s_or_b64 s[10:11], vcc, s[10:11]
	s_waitcnt vmcnt(1)
	v_subrev_u32_e32 v10, s16, v10
	v_lshlrev_b32_e32 v10, 2, v10
	v_ashrrev_i32_e32 v11, 31, v10
	s_waitcnt lgkmcnt(0)
	v_lshl_add_u64 v[14:15], v[10:11], 1, s[4:5]
	global_load_dwordx2 v[16:17], v[14:15], off
	global_load_dwordx4 v[10:13], v[28:29], off offset:16
	s_waitcnt vmcnt(2)
	v_cvt_f32_f16_sdwa v15, v6 dst_sel:DWORD dst_unused:UNUSED_PAD src0_sel:WORD_1
	v_cvt_f32_f16_e32 v14, v6
	v_cvt_f32_f16_sdwa v19, v7 dst_sel:DWORD dst_unused:UNUSED_PAD src0_sel:WORD_1
	v_cvt_f32_f16_e32 v18, v7
	;; [unrolled: 2-line block ×4, first 2 shown]
	v_lshl_add_u64 v[28:29], v[28:29], 0, s[18:19]
	s_waitcnt vmcnt(1)
	v_cvt_f32_f16_e32 v40, v17
	s_waitcnt vmcnt(0)
	v_cvt_f32_f16_sdwa v37, v12 dst_sel:DWORD dst_unused:UNUSED_PAD src0_sel:WORD_1
	v_cvt_f32_f16_e32 v36, v12
	v_cvt_f32_f16_e32 v12, v16
	v_cvt_f32_f16_sdwa v16, v16 dst_sel:DWORD dst_unused:UNUSED_PAD src0_sel:WORD_1
	v_cvt_f32_f16_sdwa v35, v10 dst_sel:DWORD dst_unused:UNUSED_PAD src0_sel:WORD_1
	v_cvt_f32_f16_e32 v34, v10
	v_cvt_f32_f16_sdwa v9, v11 dst_sel:DWORD dst_unused:UNUSED_PAD src0_sel:WORD_1
	v_cvt_f32_f16_e32 v8, v11
	;; [unrolled: 2-line block ×3, first 2 shown]
	v_cvt_f32_f16_sdwa v42, v17 dst_sel:DWORD dst_unused:UNUSED_PAD src0_sel:WORD_1
	v_pk_fma_f32 v[14:15], v[14:15], v[12:13], v[32:33] op_sel_hi:[1,0,1]
	v_pk_fma_f32 v[12:13], v[18:19], v[12:13], v[30:31] op_sel_hi:[1,0,1]
	;; [unrolled: 1-line block ×8, first 2 shown]
	s_andn2_b64 exec, exec, s[10:11]
	s_cbranch_execnz .LBB96_29
; %bb.30:
	s_or_b64 exec, exec, s[10:11]
.LBB96_31:
	s_or_b64 exec, exec, s[2:3]
	v_cmp_lt_u64_e32 vcc, 23, v[0:1]
	s_and_saveexec_b64 s[2:3], vcc
	s_cbranch_execz .LBB96_35
; %bb.32:
	v_lshl_add_u64 v[0:1], v[24:25], 2, s[8:9]
	v_lshl_add_u64 v[34:35], v[0:1], 0, 64
	s_mov_b64 s[8:9], 0
	s_mov_b64 s[10:11], 0x80
	;; [unrolled: 1-line block ×3, first 2 shown]
.LBB96_33:                              ; =>This Inner Loop Header: Depth=1
	global_load_dwordx4 v[0:3], v[28:29], off
	global_load_dwordx4 v[4:7], v[28:29], off offset:16
	global_load_dwordx4 v[8:11], v[28:29], off offset:256
	;; [unrolled: 1-line block ×4, first 2 shown]
	global_load_dword v21, v[34:35], off offset:-64
	global_load_dword v23, v[34:35], off offset:-32
	global_load_dword v70, v[34:35], off
	global_load_dword v71, v[34:35], off offset:32
	global_load_dwordx4 v[36:39], v[28:29], off offset:528
	global_load_dwordx4 v[40:43], v[28:29], off offset:768
	;; [unrolled: 1-line block ×3, first 2 shown]
	v_lshl_add_u64 v[24:25], v[24:25], 0, 32
	v_cmp_ge_i64_e32 vcc, v[24:25], v[26:27]
	v_lshl_add_u64 v[34:35], v[34:35], 0, s[10:11]
	v_lshl_add_u64 v[28:29], v[28:29], 0, s[18:19]
	s_or_b64 s[8:9], vcc, s[8:9]
	s_waitcnt vmcnt(11)
	v_cvt_f32_f16_sdwa v49, v0 dst_sel:DWORD dst_unused:UNUSED_PAD src0_sel:WORD_1
	v_cvt_f32_f16_e32 v48, v0
	v_cvt_f32_f16_sdwa v51, v1 dst_sel:DWORD dst_unused:UNUSED_PAD src0_sel:WORD_1
	v_cvt_f32_f16_e32 v50, v1
	;; [unrolled: 2-line block ×3, first 2 shown]
	s_waitcnt vmcnt(6)
	v_subrev_u32_e32 v2, s16, v21
	v_cvt_f32_f16_sdwa v53, v4 dst_sel:DWORD dst_unused:UNUSED_PAD src0_sel:WORD_1
	v_cvt_f32_f16_e32 v52, v4
	v_cvt_f32_f16_sdwa v55, v6 dst_sel:DWORD dst_unused:UNUSED_PAD src0_sel:WORD_1
	v_cvt_f32_f16_e32 v54, v6
	;; [unrolled: 2-line block ×3, first 2 shown]
	s_waitcnt vmcnt(5)
	v_subrev_u32_e32 v4, s16, v23
	s_waitcnt vmcnt(4)
	v_subrev_u32_e32 v6, s16, v70
	;; [unrolled: 2-line block ×3, first 2 shown]
	v_lshlrev_b32_e32 v70, 2, v2
	v_lshlrev_b32_e32 v72, 2, v4
	;; [unrolled: 1-line block ×4, first 2 shown]
	v_ashrrev_i32_e32 v71, 31, v70
	v_ashrrev_i32_e32 v73, 31, v72
	;; [unrolled: 1-line block ×4, first 2 shown]
	s_waitcnt lgkmcnt(0)
	v_lshl_add_u64 v[70:71], v[70:71], 1, s[4:5]
	v_lshl_add_u64 v[72:73], v[72:73], 1, s[4:5]
	;; [unrolled: 1-line block ×4, first 2 shown]
	global_load_dwordx2 v[78:79], v[70:71], off
	global_load_dwordx2 v[80:81], v[72:73], off
	global_load_dwordx2 v[82:83], v[74:75], off
	global_load_dwordx2 v[84:85], v[76:77], off
	s_waitcnt vmcnt(4)
	v_cvt_f32_f16_sdwa v87, v46 dst_sel:DWORD dst_unused:UNUSED_PAD src0_sel:WORD_1
	v_cvt_f32_f16_e32 v86, v46
	v_cvt_f32_f16_sdwa v69, v3 dst_sel:DWORD dst_unused:UNUSED_PAD src0_sel:WORD_1
	v_cvt_f32_f16_e32 v68, v3
	;; [unrolled: 2-line block ×26, first 2 shown]
	s_waitcnt vmcnt(3)
	v_cvt_f32_f16_e32 v46, v78
	v_cvt_f32_f16_sdwa v78, v78 dst_sel:DWORD dst_unused:UNUSED_PAD src0_sel:WORD_1
	v_cvt_f32_f16_e32 v90, v79
	v_cvt_f32_f16_sdwa v92, v79 dst_sel:DWORD dst_unused:UNUSED_PAD src0_sel:WORD_1
	s_waitcnt vmcnt(2)
	v_cvt_f32_f16_e32 v94, v80
	v_pk_fma_f32 v[32:33], v[48:49], v[46:47], v[32:33] op_sel_hi:[1,0,1]
	v_pk_fma_f32 v[30:31], v[50:51], v[46:47], v[30:31] op_sel_hi:[1,0,1]
	v_cvt_f32_f16_sdwa v48, v80 dst_sel:DWORD dst_unused:UNUSED_PAD src0_sel:WORD_1
	v_pk_fma_f32 v[0:1], v[0:1], v[78:79], v[32:33] op_sel_hi:[1,0,1]
	v_pk_fma_f32 v[30:31], v[68:69], v[78:79], v[30:31] op_sel_hi:[1,0,1]
	v_cvt_f32_f16_e32 v46, v81
	v_pk_fma_f32 v[0:1], v[52:53], v[90:91], v[0:1] op_sel_hi:[1,0,1]
	v_pk_fma_f32 v[2:3], v[2:3], v[90:91], v[30:31] op_sel_hi:[1,0,1]
	v_cvt_f32_f16_sdwa v50, v81 dst_sel:DWORD dst_unused:UNUSED_PAD src0_sel:WORD_1
	v_pk_fma_f32 v[0:1], v[54:55], v[92:93], v[0:1] op_sel_hi:[1,0,1]
	v_pk_fma_f32 v[2:3], v[4:5], v[92:93], v[2:3] op_sel_hi:[1,0,1]
	s_waitcnt vmcnt(1)
	v_cvt_f32_f16_e32 v80, v82
	v_pk_fma_f32 v[0:1], v[56:57], v[94:95], v[0:1] op_sel_hi:[1,0,1]
	v_pk_fma_f32 v[2:3], v[6:7], v[94:95], v[2:3] op_sel_hi:[1,0,1]
	v_cvt_f32_f16_sdwa v32, v82 dst_sel:DWORD dst_unused:UNUSED_PAD src0_sel:WORD_1
	v_pk_fma_f32 v[0:1], v[58:59], v[48:49], v[0:1] op_sel_hi:[1,0,1]
	v_pk_fma_f32 v[2:3], v[8:9], v[48:49], v[2:3] op_sel_hi:[1,0,1]
	v_cvt_f32_f16_e32 v68, v83
	v_pk_fma_f32 v[0:1], v[60:61], v[46:47], v[0:1] op_sel_hi:[1,0,1]
	v_pk_fma_f32 v[2:3], v[10:11], v[46:47], v[2:3] op_sel_hi:[1,0,1]
	v_cvt_f32_f16_sdwa v78, v83 dst_sel:DWORD dst_unused:UNUSED_PAD src0_sel:WORD_1
	v_pk_fma_f32 v[0:1], v[62:63], v[50:51], v[0:1] op_sel_hi:[1,0,1]
	v_pk_fma_f32 v[2:3], v[12:13], v[50:51], v[2:3] op_sel_hi:[1,0,1]
	;; [unrolled: 13-line block ×3, first 2 shown]
	v_pk_fma_f32 v[0:1], v[38:39], v[82:83], v[0:1] op_sel_hi:[1,0,1]
	v_pk_fma_f32 v[2:3], v[76:77], v[82:83], v[2:3] op_sel_hi:[1,0,1]
	;; [unrolled: 1-line block ×8, first 2 shown]
	s_andn2_b64 exec, exec, s[8:9]
	s_cbranch_execnz .LBB96_33
; %bb.34:
	s_or_b64 exec, exec, s[8:9]
.LBB96_35:
	s_or_b64 exec, exec, s[2:3]
.LBB96_36:
	s_or_b64 exec, exec, s[6:7]
.LBB96_37:
	v_mov_b32_dpp v0, v32 row_shr:1 row_mask:0xf bank_mask:0xf
	v_mov_b32_dpp v1, v33 row_shr:1 row_mask:0xf bank_mask:0xf
	;; [unrolled: 1-line block ×4, first 2 shown]
	v_pk_add_f32 v[0:1], v[32:33], v[0:1]
	v_pk_add_f32 v[4:5], v[30:31], v[4:5]
	v_cmp_eq_u32_e32 vcc, 7, v22
	v_mov_b32_dpp v2, v0 row_shr:2 row_mask:0xf bank_mask:0xf
	v_mov_b32_dpp v3, v1 row_shr:2 row_mask:0xf bank_mask:0xf
	;; [unrolled: 1-line block ×4, first 2 shown]
	v_pk_add_f32 v[0:1], v[0:1], v[2:3]
	v_pk_add_f32 v[4:5], v[4:5], v[6:7]
	s_nop 0
	v_mov_b32_dpp v2, v0 row_shr:4 row_mask:0xf bank_mask:0xe
	v_mov_b32_dpp v3, v1 row_shr:4 row_mask:0xf bank_mask:0xe
	;; [unrolled: 1-line block ×4, first 2 shown]
	s_and_b64 exec, exec, vcc
	s_cbranch_execz .LBB96_10
; %bb.38:
	s_load_dwordx2 s[0:1], s[0:1], 0x50
	v_cmp_eq_f32_e64 s[2:3], s14, 0
	v_pk_add_f32 v[2:3], v[0:1], v[2:3]
	v_pk_add_f32 v[0:1], v[4:5], v[6:7]
	s_and_b64 vcc, exec, s[2:3]
	v_lshlrev_b32_e32 v4, 2, v20
	s_cbranch_vccz .LBB96_40
; %bb.39:
	v_ashrrev_i32_e32 v5, 31, v4
	s_waitcnt lgkmcnt(0)
	v_lshl_add_u64 v[10:11], v[4:5], 2, s[0:1]
	v_pk_mul_f32 v[6:7], s[12:13], v[2:3] op_sel_hi:[0,1]
	v_pk_mul_f32 v[8:9], s[12:13], v[0:1] op_sel_hi:[0,1]
	global_store_dwordx4 v[10:11], v[6:9], off
	s_cbranch_execnz .LBB96_10
	s_branch .LBB96_41
.LBB96_40:
.LBB96_41:
	v_ashrrev_i32_e32 v5, 31, v4
	s_waitcnt lgkmcnt(0)
	v_lshl_add_u64 v[8:9], v[4:5], 2, s[0:1]
	global_load_dwordx4 v[4:7], v[8:9], off
	v_pk_mul_f32 v[2:3], s[12:13], v[2:3] op_sel_hi:[0,1]
	v_pk_mul_f32 v[10:11], s[12:13], v[0:1] op_sel_hi:[0,1]
	s_waitcnt vmcnt(0)
	v_pk_fma_f32 v[0:1], s[14:15], v[4:5], v[2:3] op_sel_hi:[0,1,1]
	v_pk_fma_f32 v[2:3], s[14:15], v[6:7], v[10:11] op_sel_hi:[0,1,1]
	global_store_dwordx4 v[8:9], v[0:3], off
	s_endpgm
	.section	.rodata,"a",@progbits
	.p2align	6, 0x0
	.amdhsa_kernel _ZN9rocsparseL18bsrxmvn_4x4_kernelILj128ELj8EfliDF16_DF16_fEEvT3_20rocsparse_direction_NS_24const_host_device_scalarIT1_EES1_PKS1_PKT2_SA_S7_PKT4_PKT5_S5_PT6_21rocsparse_index_base_b
		.amdhsa_group_segment_fixed_size 0
		.amdhsa_private_segment_fixed_size 0
		.amdhsa_kernarg_size 96
		.amdhsa_user_sgpr_count 2
		.amdhsa_user_sgpr_dispatch_ptr 0
		.amdhsa_user_sgpr_queue_ptr 0
		.amdhsa_user_sgpr_kernarg_segment_ptr 1
		.amdhsa_user_sgpr_dispatch_id 0
		.amdhsa_user_sgpr_kernarg_preload_length 0
		.amdhsa_user_sgpr_kernarg_preload_offset 0
		.amdhsa_user_sgpr_private_segment_size 0
		.amdhsa_uses_dynamic_stack 0
		.amdhsa_enable_private_segment 0
		.amdhsa_system_sgpr_workgroup_id_x 1
		.amdhsa_system_sgpr_workgroup_id_y 0
		.amdhsa_system_sgpr_workgroup_id_z 0
		.amdhsa_system_sgpr_workgroup_info 0
		.amdhsa_system_vgpr_workitem_id 0
		.amdhsa_next_free_vgpr 102
		.amdhsa_next_free_sgpr 24
		.amdhsa_accum_offset 104
		.amdhsa_reserve_vcc 1
		.amdhsa_float_round_mode_32 0
		.amdhsa_float_round_mode_16_64 0
		.amdhsa_float_denorm_mode_32 3
		.amdhsa_float_denorm_mode_16_64 3
		.amdhsa_dx10_clamp 1
		.amdhsa_ieee_mode 1
		.amdhsa_fp16_overflow 0
		.amdhsa_tg_split 0
		.amdhsa_exception_fp_ieee_invalid_op 0
		.amdhsa_exception_fp_denorm_src 0
		.amdhsa_exception_fp_ieee_div_zero 0
		.amdhsa_exception_fp_ieee_overflow 0
		.amdhsa_exception_fp_ieee_underflow 0
		.amdhsa_exception_fp_ieee_inexact 0
		.amdhsa_exception_int_div_zero 0
	.end_amdhsa_kernel
	.section	.text._ZN9rocsparseL18bsrxmvn_4x4_kernelILj128ELj8EfliDF16_DF16_fEEvT3_20rocsparse_direction_NS_24const_host_device_scalarIT1_EES1_PKS1_PKT2_SA_S7_PKT4_PKT5_S5_PT6_21rocsparse_index_base_b,"axG",@progbits,_ZN9rocsparseL18bsrxmvn_4x4_kernelILj128ELj8EfliDF16_DF16_fEEvT3_20rocsparse_direction_NS_24const_host_device_scalarIT1_EES1_PKS1_PKT2_SA_S7_PKT4_PKT5_S5_PT6_21rocsparse_index_base_b,comdat
.Lfunc_end96:
	.size	_ZN9rocsparseL18bsrxmvn_4x4_kernelILj128ELj8EfliDF16_DF16_fEEvT3_20rocsparse_direction_NS_24const_host_device_scalarIT1_EES1_PKS1_PKT2_SA_S7_PKT4_PKT5_S5_PT6_21rocsparse_index_base_b, .Lfunc_end96-_ZN9rocsparseL18bsrxmvn_4x4_kernelILj128ELj8EfliDF16_DF16_fEEvT3_20rocsparse_direction_NS_24const_host_device_scalarIT1_EES1_PKS1_PKT2_SA_S7_PKT4_PKT5_S5_PT6_21rocsparse_index_base_b
                                        ; -- End function
	.set _ZN9rocsparseL18bsrxmvn_4x4_kernelILj128ELj8EfliDF16_DF16_fEEvT3_20rocsparse_direction_NS_24const_host_device_scalarIT1_EES1_PKS1_PKT2_SA_S7_PKT4_PKT5_S5_PT6_21rocsparse_index_base_b.num_vgpr, 102
	.set _ZN9rocsparseL18bsrxmvn_4x4_kernelILj128ELj8EfliDF16_DF16_fEEvT3_20rocsparse_direction_NS_24const_host_device_scalarIT1_EES1_PKS1_PKT2_SA_S7_PKT4_PKT5_S5_PT6_21rocsparse_index_base_b.num_agpr, 0
	.set _ZN9rocsparseL18bsrxmvn_4x4_kernelILj128ELj8EfliDF16_DF16_fEEvT3_20rocsparse_direction_NS_24const_host_device_scalarIT1_EES1_PKS1_PKT2_SA_S7_PKT4_PKT5_S5_PT6_21rocsparse_index_base_b.numbered_sgpr, 24
	.set _ZN9rocsparseL18bsrxmvn_4x4_kernelILj128ELj8EfliDF16_DF16_fEEvT3_20rocsparse_direction_NS_24const_host_device_scalarIT1_EES1_PKS1_PKT2_SA_S7_PKT4_PKT5_S5_PT6_21rocsparse_index_base_b.num_named_barrier, 0
	.set _ZN9rocsparseL18bsrxmvn_4x4_kernelILj128ELj8EfliDF16_DF16_fEEvT3_20rocsparse_direction_NS_24const_host_device_scalarIT1_EES1_PKS1_PKT2_SA_S7_PKT4_PKT5_S5_PT6_21rocsparse_index_base_b.private_seg_size, 0
	.set _ZN9rocsparseL18bsrxmvn_4x4_kernelILj128ELj8EfliDF16_DF16_fEEvT3_20rocsparse_direction_NS_24const_host_device_scalarIT1_EES1_PKS1_PKT2_SA_S7_PKT4_PKT5_S5_PT6_21rocsparse_index_base_b.uses_vcc, 1
	.set _ZN9rocsparseL18bsrxmvn_4x4_kernelILj128ELj8EfliDF16_DF16_fEEvT3_20rocsparse_direction_NS_24const_host_device_scalarIT1_EES1_PKS1_PKT2_SA_S7_PKT4_PKT5_S5_PT6_21rocsparse_index_base_b.uses_flat_scratch, 0
	.set _ZN9rocsparseL18bsrxmvn_4x4_kernelILj128ELj8EfliDF16_DF16_fEEvT3_20rocsparse_direction_NS_24const_host_device_scalarIT1_EES1_PKS1_PKT2_SA_S7_PKT4_PKT5_S5_PT6_21rocsparse_index_base_b.has_dyn_sized_stack, 0
	.set _ZN9rocsparseL18bsrxmvn_4x4_kernelILj128ELj8EfliDF16_DF16_fEEvT3_20rocsparse_direction_NS_24const_host_device_scalarIT1_EES1_PKS1_PKT2_SA_S7_PKT4_PKT5_S5_PT6_21rocsparse_index_base_b.has_recursion, 0
	.set _ZN9rocsparseL18bsrxmvn_4x4_kernelILj128ELj8EfliDF16_DF16_fEEvT3_20rocsparse_direction_NS_24const_host_device_scalarIT1_EES1_PKS1_PKT2_SA_S7_PKT4_PKT5_S5_PT6_21rocsparse_index_base_b.has_indirect_call, 0
	.section	.AMDGPU.csdata,"",@progbits
; Kernel info:
; codeLenInByte = 3980
; TotalNumSgprs: 30
; NumVgprs: 102
; NumAgprs: 0
; TotalNumVgprs: 102
; ScratchSize: 0
; MemoryBound: 0
; FloatMode: 240
; IeeeMode: 1
; LDSByteSize: 0 bytes/workgroup (compile time only)
; SGPRBlocks: 3
; VGPRBlocks: 12
; NumSGPRsForWavesPerEU: 30
; NumVGPRsForWavesPerEU: 102
; AccumOffset: 104
; Occupancy: 4
; WaveLimiterHint : 1
; COMPUTE_PGM_RSRC2:SCRATCH_EN: 0
; COMPUTE_PGM_RSRC2:USER_SGPR: 2
; COMPUTE_PGM_RSRC2:TRAP_HANDLER: 0
; COMPUTE_PGM_RSRC2:TGID_X_EN: 1
; COMPUTE_PGM_RSRC2:TGID_Y_EN: 0
; COMPUTE_PGM_RSRC2:TGID_Z_EN: 0
; COMPUTE_PGM_RSRC2:TIDIG_COMP_CNT: 0
; COMPUTE_PGM_RSRC3_GFX90A:ACCUM_OFFSET: 25
; COMPUTE_PGM_RSRC3_GFX90A:TG_SPLIT: 0
	.section	.text._ZN9rocsparseL18bsrxmvn_4x4_kernelILj128ELj16EfliDF16_DF16_fEEvT3_20rocsparse_direction_NS_24const_host_device_scalarIT1_EES1_PKS1_PKT2_SA_S7_PKT4_PKT5_S5_PT6_21rocsparse_index_base_b,"axG",@progbits,_ZN9rocsparseL18bsrxmvn_4x4_kernelILj128ELj16EfliDF16_DF16_fEEvT3_20rocsparse_direction_NS_24const_host_device_scalarIT1_EES1_PKS1_PKT2_SA_S7_PKT4_PKT5_S5_PT6_21rocsparse_index_base_b,comdat
	.globl	_ZN9rocsparseL18bsrxmvn_4x4_kernelILj128ELj16EfliDF16_DF16_fEEvT3_20rocsparse_direction_NS_24const_host_device_scalarIT1_EES1_PKS1_PKT2_SA_S7_PKT4_PKT5_S5_PT6_21rocsparse_index_base_b ; -- Begin function _ZN9rocsparseL18bsrxmvn_4x4_kernelILj128ELj16EfliDF16_DF16_fEEvT3_20rocsparse_direction_NS_24const_host_device_scalarIT1_EES1_PKS1_PKT2_SA_S7_PKT4_PKT5_S5_PT6_21rocsparse_index_base_b
	.p2align	8
	.type	_ZN9rocsparseL18bsrxmvn_4x4_kernelILj128ELj16EfliDF16_DF16_fEEvT3_20rocsparse_direction_NS_24const_host_device_scalarIT1_EES1_PKS1_PKT2_SA_S7_PKT4_PKT5_S5_PT6_21rocsparse_index_base_b,@function
_ZN9rocsparseL18bsrxmvn_4x4_kernelILj128ELj16EfliDF16_DF16_fEEvT3_20rocsparse_direction_NS_24const_host_device_scalarIT1_EES1_PKS1_PKT2_SA_S7_PKT4_PKT5_S5_PT6_21rocsparse_index_base_b: ; @_ZN9rocsparseL18bsrxmvn_4x4_kernelILj128ELj16EfliDF16_DF16_fEEvT3_20rocsparse_direction_NS_24const_host_device_scalarIT1_EES1_PKS1_PKT2_SA_S7_PKT4_PKT5_S5_PT6_21rocsparse_index_base_b
; %bb.0:
	s_load_dwordx2 s[16:17], s[0:1], 0x58
	s_load_dwordx2 s[12:13], s[0:1], 0x8
	;; [unrolled: 1-line block ×3, first 2 shown]
	s_waitcnt lgkmcnt(0)
	s_bitcmp1_b32 s17, 0
	s_cselect_b64 s[6:7], -1, 0
	s_xor_b64 s[4:5], s[6:7], -1
	s_and_b64 vcc, exec, s[6:7]
	s_cbranch_vccnz .LBB97_2
; %bb.1:
	s_load_dword s12, s[12:13], 0x0
.LBB97_2:
	s_andn2_b64 vcc, exec, s[4:5]
	s_cbranch_vccnz .LBB97_4
; %bb.3:
	s_load_dword s14, s[14:15], 0x0
.LBB97_4:
	s_waitcnt lgkmcnt(0)
	v_cmp_neq_f32_e64 s[4:5], s12, 0
	v_cmp_neq_f32_e64 s[6:7], s14, 1.0
	s_or_b64 s[4:5], s[4:5], s[6:7]
	s_andn2_b64 vcc, exec, s[4:5]
	s_cbranch_vccnz .LBB97_10
; %bb.5:
	s_load_dwordx2 s[4:5], s[0:1], 0x18
	s_load_dwordx2 s[18:19], s[0:1], 0x0
	v_lshrrev_b32_e32 v1, 4, v0
	v_lshl_or_b32 v20, s2, 3, v1
	s_mov_b64 s[2:3], 0
	s_waitcnt lgkmcnt(0)
	s_cmp_lg_u64 s[4:5], 0
	s_cbranch_scc0 .LBB97_11
; %bb.6:
	s_load_dword s6, s[0:1], 0x10
                                        ; implicit-def: $vgpr1
	s_waitcnt lgkmcnt(0)
	v_cmp_gt_i32_e32 vcc, s6, v20
	s_and_saveexec_b64 s[6:7], vcc
	s_xor_b64 s[6:7], exec, s[6:7]
	s_cbranch_execz .LBB97_8
; %bb.7:
	v_ashrrev_i32_e32 v21, 31, v20
	v_lshl_add_u64 v[2:3], v[20:21], 2, s[4:5]
	global_load_dword v1, v[2:3], off
	s_mov_b64 s[2:3], exec
	s_waitcnt vmcnt(0)
	v_subrev_u32_e32 v1, s16, v1
.LBB97_8:
	s_or_b64 exec, exec, s[6:7]
	s_branch .LBB97_12
.LBB97_9:
	v_cmp_gt_i32_e32 vcc, s18, v20
	s_andn2_b64 s[2:3], s[2:3], exec
	s_and_b64 s[4:5], vcc, exec
	s_or_b64 s[2:3], s[2:3], s[4:5]
	s_and_saveexec_b64 s[4:5], s[2:3]
	s_cbranch_execnz .LBB97_13
.LBB97_10:
	s_endpgm
.LBB97_11:
                                        ; implicit-def: $vgpr1
	s_cbranch_execnz .LBB97_9
.LBB97_12:
	v_mov_b32_e32 v20, v1
	s_and_saveexec_b64 s[4:5], s[2:3]
	s_cbranch_execz .LBB97_10
.LBB97_13:
	s_load_dwordx8 s[4:11], s[0:1], 0x20
	v_ashrrev_i32_e32 v21, 31, v20
	v_lshlrev_b64 v[2:3], 3, v[20:21]
	v_and_b32_e32 v22, 15, v0
	v_mov_b32_e32 v23, 0
	s_waitcnt lgkmcnt(0)
	v_lshl_add_u64 v[4:5], s[4:5], 0, v[2:3]
	s_cmp_eq_u64 s[6:7], 0
	v_lshl_add_u64 v[2:3], s[6:7], 0, v[2:3]
	global_load_dwordx2 v[8:9], v[4:5], off
	v_lshl_add_u64 v[4:5], v[4:5], 0, 8
	s_cselect_b64 vcc, -1, 0
	v_cndmask_b32_e32 v3, v3, v5, vcc
	v_cndmask_b32_e32 v2, v2, v4, vcc
	global_load_dwordx2 v[2:3], v[2:3], off
	s_load_dwordx2 s[4:5], s[0:1], 0x40
	s_cmp_eq_u32 s19, 1
	s_waitcnt vmcnt(1)
	v_subrev_co_u32_e32 v0, vcc, s16, v8
	s_nop 1
	v_subbrev_co_u32_e32 v1, vcc, 0, v9, vcc
	v_lshl_add_u64 v[24:25], v[0:1], 0, v[22:23]
	s_waitcnt vmcnt(0)
	v_subrev_co_u32_e32 v26, vcc, s16, v2
	v_lshlrev_b64 v[0:1], 5, v[24:25]
	s_nop 0
	v_subbrev_co_u32_e32 v27, vcc, 0, v3, vcc
	v_lshl_add_u64 v[28:29], s[10:11], 0, v[0:1]
	v_cmp_lt_i64_e64 s[2:3], v[24:25], v[26:27]
	s_cbranch_scc1 .LBB97_25
; %bb.14:
	v_mov_b32_e32 v30, v23
	v_mov_b32_e32 v33, v23
	;; [unrolled: 1-line block ×3, first 2 shown]
	s_and_saveexec_b64 s[6:7], s[2:3]
	s_cbranch_execz .LBB97_24
; %bb.15:
	v_or_b32_e32 v0, 16, v22
	v_subrev_co_u32_e32 v0, vcc, s16, v0
	v_not_b32_e32 v3, v9
	s_nop 0
	v_subb_co_u32_e64 v1, s[10:11], 0, 0, vcc
	v_lshl_add_u64 v[0:1], v[0:1], 0, v[8:9]
	v_cmp_gt_i64_e32 vcc, v[0:1], v[26:27]
	v_not_b32_e32 v2, v8
	v_mov_b32_e32 v33, 0
	v_cndmask_b32_e32 v1, v27, v1, vcc
	v_cndmask_b32_e32 v0, v26, v0, vcc
	v_sub_co_u32_e32 v4, vcc, s16, v22
	v_mov_b32_e32 v30, v33
	s_nop 0
	v_subb_co_u32_e64 v5, s[10:11], 0, 0, vcc
	v_lshl_add_u64 v[2:3], v[4:5], 0, v[2:3]
	v_lshl_add_u64 v[0:1], v[2:3], 0, v[0:1]
	v_and_b32_e32 v32, 48, v0
	v_cmp_ne_u64_e32 vcc, 48, v[32:33]
	v_mov_b32_e32 v32, v33
	v_mov_b32_e32 v31, v33
	v_mov_b64_e32 v[10:11], v[24:25]
	v_mov_b64_e32 v[12:13], v[28:29]
	s_and_saveexec_b64 s[10:11], vcc
	s_cbranch_execz .LBB97_19
; %bb.16:
	v_lshrrev_b32_e32 v2, 4, v0
	v_add_u32_e32 v2, 1, v2
	v_and_b32_e32 v4, 3, v2
	v_sub_co_u32_e32 v4, vcc, 0, v4
	v_mov_b32_e32 v31, 0
	s_nop 0
	v_subb_co_u32_e64 v5, s[20:21], 0, 0, vcc
	v_lshl_add_u64 v[2:3], v[24:25], 2, s[8:9]
	s_mov_b64 s[18:19], 0
	s_mov_b64 s[20:21], 0x200
	v_mov_b64_e32 v[12:13], v[28:29]
	v_mov_b64_e32 v[10:11], v[24:25]
	v_mov_b32_e32 v30, v31
	v_mov_b32_e32 v33, v31
	;; [unrolled: 1-line block ×3, first 2 shown]
.LBB97_17:                              ; =>This Inner Loop Header: Depth=1
	global_load_dword v6, v[2:3], off
	global_load_dwordx4 v[14:17], v[12:13], off
	global_load_dwordx4 v[34:37], v[12:13], off offset:16
	v_lshl_add_u64 v[4:5], v[4:5], 0, 1
	v_cmp_eq_u64_e32 vcc, 0, v[4:5]
	v_lshl_add_u64 v[12:13], v[12:13], 0, s[20:21]
	v_lshl_add_u64 v[10:11], v[10:11], 0, 16
	;; [unrolled: 1-line block ×3, first 2 shown]
	s_or_b64 s[18:19], vcc, s[18:19]
	s_waitcnt vmcnt(2)
	v_subrev_u32_e32 v6, s16, v6
	v_lshlrev_b32_e32 v6, 2, v6
	v_ashrrev_i32_e32 v7, 31, v6
	s_waitcnt lgkmcnt(0)
	v_lshl_add_u64 v[6:7], v[6:7], 1, s[4:5]
	global_load_dwordx2 v[6:7], v[6:7], off
	s_waitcnt vmcnt(2)
	v_cvt_f32_f16_sdwa v18, v14 dst_sel:DWORD dst_unused:UNUSED_PAD src0_sel:WORD_1
	v_cvt_f32_f16_sdwa v19, v16 dst_sel:DWORD dst_unused:UNUSED_PAD src0_sel:WORD_1
	s_waitcnt vmcnt(1)
	v_cvt_f32_f16_sdwa v42, v34 dst_sel:DWORD dst_unused:UNUSED_PAD src0_sel:WORD_1
	v_cvt_f32_f16_sdwa v43, v36 dst_sel:DWORD dst_unused:UNUSED_PAD src0_sel:WORD_1
	v_cvt_f32_f16_e32 v39, v17
	v_cvt_f32_f16_e32 v38, v15
	;; [unrolled: 1-line block ×4, first 2 shown]
	v_cvt_f32_f16_sdwa v41, v17 dst_sel:DWORD dst_unused:UNUSED_PAD src0_sel:WORD_1
	v_cvt_f32_f16_sdwa v40, v15 dst_sel:DWORD dst_unused:UNUSED_PAD src0_sel:WORD_1
	;; [unrolled: 1-line block ×4, first 2 shown]
	s_waitcnt vmcnt(0)
	v_fma_mix_f32 v14, v14, v6, v32 op_sel_hi:[1,1,0]
	v_cvt_f32_f16_sdwa v32, v6 dst_sel:DWORD dst_unused:UNUSED_PAD src0_sel:WORD_1
	v_cvt_f32_f16_e32 v48, v7
	v_cvt_f32_f16_sdwa v50, v7 dst_sel:DWORD dst_unused:UNUSED_PAD src0_sel:WORD_1
	v_fma_mix_f32 v15, v16, v6, v33 op_sel_hi:[1,1,0]
	v_fma_mix_f32 v16, v34, v6, v30 op_sel_hi:[1,1,0]
	;; [unrolled: 1-line block ×3, first 2 shown]
	v_pk_fma_f32 v[6:7], v[18:19], v[32:33], v[14:15] op_sel_hi:[1,0,1]
	v_pk_fma_f32 v[14:15], v[42:43], v[32:33], v[16:17] op_sel_hi:[1,0,1]
	v_pk_fma_f32 v[6:7], v[38:39], v[48:49], v[6:7] op_sel_hi:[1,0,1]
	v_pk_fma_f32 v[14:15], v[44:45], v[48:49], v[14:15] op_sel_hi:[1,0,1]
	v_pk_fma_f32 v[32:33], v[40:41], v[50:51], v[6:7] op_sel_hi:[1,0,1]
	v_pk_fma_f32 v[30:31], v[46:47], v[50:51], v[14:15] op_sel_hi:[1,0,1]
	s_andn2_b64 exec, exec, s[18:19]
	s_cbranch_execnz .LBB97_17
; %bb.18:
	s_or_b64 exec, exec, s[18:19]
.LBB97_19:
	s_or_b64 exec, exec, s[10:11]
	v_cmp_lt_u64_e32 vcc, 47, v[0:1]
	s_and_saveexec_b64 s[10:11], vcc
	s_cbranch_execz .LBB97_23
; %bb.20:
	v_lshl_add_u64 v[0:1], v[10:11], 2, s[8:9]
	s_mov_b64 s[18:19], 0x80
	v_lshl_add_u64 v[14:15], v[0:1], 0, s[18:19]
	s_mov_b64 s[18:19], 0
	s_mov_b64 s[20:21], 0x100
	;; [unrolled: 1-line block ×3, first 2 shown]
.LBB97_21:                              ; =>This Inner Loop Header: Depth=1
	global_load_dword v21, v[14:15], off offset:-128
	global_load_dwordx4 v[0:3], v[12:13], off
	global_load_dwordx4 v[4:7], v[12:13], off offset:16
	global_load_dword v23, v[14:15], off offset:-64
	global_load_dword v58, v[14:15], off
	global_load_dwordx4 v[16:19], v[12:13], off offset:512
	global_load_dwordx4 v[34:37], v[12:13], off offset:1024
	global_load_dword v72, v[14:15], off offset:64
	global_load_dwordx4 v[38:41], v[12:13], off offset:528
	global_load_dwordx4 v[42:45], v[12:13], off offset:1040
	;; [unrolled: 1-line block ×4, first 2 shown]
	v_lshl_add_u64 v[10:11], v[10:11], 0, 64
	v_cmp_ge_i64_e32 vcc, v[10:11], v[26:27]
	v_lshl_add_u64 v[14:15], v[14:15], 0, s[20:21]
	v_lshl_add_u64 v[12:13], v[12:13], 0, s[22:23]
	s_or_b64 s[18:19], vcc, s[18:19]
	s_waitcnt vmcnt(11)
	v_subrev_u32_e32 v21, s16, v21
	s_waitcnt vmcnt(10)
	v_cvt_f32_f16_sdwa v60, v1 dst_sel:DWORD dst_unused:UNUSED_PAD src0_sel:WORD_1
	v_cvt_f32_f16_sdwa v54, v0 dst_sel:DWORD dst_unused:UNUSED_PAD src0_sel:WORD_1
	s_waitcnt vmcnt(8)
	v_subrev_u32_e32 v23, s16, v23
	s_waitcnt vmcnt(7)
	v_subrev_u32_e32 v73, s16, v58
	v_cvt_f32_f16_e32 v58, v1
	v_lshlrev_b32_e32 v74, 2, v23
	s_waitcnt vmcnt(4)
	v_subrev_u32_e32 v1, s16, v72
	v_lshlrev_b32_e32 v72, 2, v21
	v_lshlrev_b32_e32 v76, 2, v73
	;; [unrolled: 1-line block ×3, first 2 shown]
	v_ashrrev_i32_e32 v73, 31, v72
	v_ashrrev_i32_e32 v75, 31, v74
	;; [unrolled: 1-line block ×4, first 2 shown]
	s_waitcnt lgkmcnt(0)
	v_lshl_add_u64 v[72:73], v[72:73], 1, s[4:5]
	v_lshl_add_u64 v[74:75], v[74:75], 1, s[4:5]
	;; [unrolled: 1-line block ×4, first 2 shown]
	global_load_dwordx2 v[80:81], v[72:73], off
	global_load_dwordx2 v[82:83], v[74:75], off
	;; [unrolled: 1-line block ×4, first 2 shown]
	v_cvt_f32_f16_sdwa v55, v2 dst_sel:DWORD dst_unused:UNUSED_PAD src0_sel:WORD_1
	v_cvt_f32_f16_sdwa v56, v4 dst_sel:DWORD dst_unused:UNUSED_PAD src0_sel:WORD_1
	;; [unrolled: 1-line block ×3, first 2 shown]
	v_cvt_f32_f16_e32 v59, v3
	v_cvt_f32_f16_e32 v63, v18
	;; [unrolled: 1-line block ×3, first 2 shown]
	v_cvt_f32_f16_sdwa v65, v18 dst_sel:DWORD dst_unused:UNUSED_PAD src0_sel:WORD_1
	v_cvt_f32_f16_sdwa v64, v16 dst_sel:DWORD dst_unused:UNUSED_PAD src0_sel:WORD_1
	v_cvt_f32_f16_e32 v66, v17
	v_cvt_f32_f16_sdwa v18, v17 dst_sel:DWORD dst_unused:UNUSED_PAD src0_sel:WORD_1
	v_cvt_f32_f16_e32 v17, v36
	v_cvt_f32_f16_e32 v16, v34
	v_cvt_f32_f16_sdwa v69, v36 dst_sel:DWORD dst_unused:UNUSED_PAD src0_sel:WORD_1
	v_cvt_f32_f16_sdwa v68, v34 dst_sel:DWORD dst_unused:UNUSED_PAD src0_sel:WORD_1
	v_cvt_f32_f16_e32 v70, v35
	v_cvt_f32_f16_sdwa v36, v35 dst_sel:DWORD dst_unused:UNUSED_PAD src0_sel:WORD_1
	v_cvt_f32_f16_e32 v35, v7
	v_cvt_f32_f16_e32 v34, v5
	v_cvt_f32_f16_sdwa v61, v3 dst_sel:DWORD dst_unused:UNUSED_PAD src0_sel:WORD_1
	v_cvt_f32_f16_sdwa v73, v7 dst_sel:DWORD dst_unused:UNUSED_PAD src0_sel:WORD_1
	;; [unrolled: 1-line block ×3, first 2 shown]
	s_waitcnt vmcnt(7)
	v_cvt_f32_f16_e32 v74, v38
	v_cvt_f32_f16_sdwa v76, v38 dst_sel:DWORD dst_unused:UNUSED_PAD src0_sel:WORD_1
	s_waitcnt vmcnt(6)
	v_cvt_f32_f16_e32 v38, v42
	v_cvt_f32_f16_sdwa v88, v42 dst_sel:DWORD dst_unused:UNUSED_PAD src0_sel:WORD_1
	s_waitcnt vmcnt(5)
	v_cvt_f32_f16_e32 v42, v46
	v_cvt_f32_f16_sdwa v92, v46 dst_sel:DWORD dst_unused:UNUSED_PAD src0_sel:WORD_1
	s_waitcnt vmcnt(4)
	v_cvt_f32_f16_e32 v46, v50
	v_cvt_f32_f16_sdwa v96, v50 dst_sel:DWORD dst_unused:UNUSED_PAD src0_sel:WORD_1
	v_cvt_f32_f16_e32 v75, v40
	v_cvt_f32_f16_sdwa v77, v40 dst_sel:DWORD dst_unused:UNUSED_PAD src0_sel:WORD_1
	v_cvt_f32_f16_e32 v67, v19
	v_cvt_f32_f16_e32 v79, v41
	;; [unrolled: 1-line block ×3, first 2 shown]
	v_cvt_f32_f16_sdwa v19, v19 dst_sel:DWORD dst_unused:UNUSED_PAD src0_sel:WORD_1
	v_cvt_f32_f16_sdwa v41, v41 dst_sel:DWORD dst_unused:UNUSED_PAD src0_sel:WORD_1
	;; [unrolled: 1-line block ×3, first 2 shown]
	v_cvt_f32_f16_e32 v39, v44
	v_cvt_f32_f16_sdwa v89, v44 dst_sel:DWORD dst_unused:UNUSED_PAD src0_sel:WORD_1
	v_cvt_f32_f16_e32 v71, v37
	v_cvt_f32_f16_e32 v91, v45
	;; [unrolled: 1-line block ×3, first 2 shown]
	v_cvt_f32_f16_sdwa v37, v37 dst_sel:DWORD dst_unused:UNUSED_PAD src0_sel:WORD_1
	v_cvt_f32_f16_sdwa v45, v45 dst_sel:DWORD dst_unused:UNUSED_PAD src0_sel:WORD_1
	;; [unrolled: 1-line block ×3, first 2 shown]
	v_cvt_f32_f16_e32 v43, v48
	v_cvt_f32_f16_sdwa v93, v48 dst_sel:DWORD dst_unused:UNUSED_PAD src0_sel:WORD_1
	v_cvt_f32_f16_e32 v94, v47
	v_cvt_f32_f16_sdwa v48, v47 dst_sel:DWORD dst_unused:UNUSED_PAD src0_sel:WORD_1
	;; [unrolled: 2-line block ×3, first 2 shown]
	v_cvt_f32_f16_e32 v95, v49
	v_cvt_f32_f16_e32 v99, v53
	;; [unrolled: 1-line block ×3, first 2 shown]
	v_cvt_f32_f16_sdwa v49, v49 dst_sel:DWORD dst_unused:UNUSED_PAD src0_sel:WORD_1
	v_cvt_f32_f16_sdwa v53, v53 dst_sel:DWORD dst_unused:UNUSED_PAD src0_sel:WORD_1
	;; [unrolled: 1-line block ×3, first 2 shown]
	s_waitcnt vmcnt(3)
	v_fma_mix_f32 v0, v0, v80, v32 op_sel_hi:[1,1,0]
	v_cvt_f32_f16_sdwa v32, v80 dst_sel:DWORD dst_unused:UNUSED_PAD src0_sel:WORD_1
	v_fma_mix_f32 v1, v2, v80, v33 op_sel_hi:[1,1,0]
	v_cvt_f32_f16_e32 v2, v81
	v_cvt_f32_f16_sdwa v50, v81 dst_sel:DWORD dst_unused:UNUSED_PAD src0_sel:WORD_1
	v_fma_mix_f32 v4, v4, v80, v30 op_sel_hi:[1,1,0]
	v_fma_mix_f32 v5, v6, v80, v31 op_sel_hi:[1,1,0]
	s_waitcnt vmcnt(2)
	v_cvt_f32_f16_e32 v6, v82
	v_cvt_f32_f16_sdwa v30, v82 dst_sel:DWORD dst_unused:UNUSED_PAD src0_sel:WORD_1
	v_pk_fma_f32 v[0:1], v[54:55], v[32:33], v[0:1] op_sel_hi:[1,0,1]
	v_pk_fma_f32 v[4:5], v[56:57], v[32:33], v[4:5] op_sel_hi:[1,0,1]
	v_cvt_f32_f16_e32 v80, v83
	v_pk_fma_f32 v[0:1], v[58:59], v[2:3], v[0:1] op_sel_hi:[1,0,1]
	v_pk_fma_f32 v[2:3], v[34:35], v[2:3], v[4:5] op_sel_hi:[1,0,1]
	v_cvt_f32_f16_sdwa v82, v83 dst_sel:DWORD dst_unused:UNUSED_PAD src0_sel:WORD_1
	v_pk_fma_f32 v[0:1], v[60:61], v[50:51], v[0:1] op_sel_hi:[1,0,1]
	v_pk_fma_f32 v[2:3], v[72:73], v[50:51], v[2:3] op_sel_hi:[1,0,1]
	s_waitcnt vmcnt(1)
	v_cvt_f32_f16_e32 v100, v84
	v_pk_fma_f32 v[0:1], v[62:63], v[6:7], v[0:1] op_sel_hi:[1,0,1]
	v_pk_fma_f32 v[2:3], v[74:75], v[6:7], v[2:3] op_sel_hi:[1,0,1]
	v_cvt_f32_f16_sdwa v54, v84 dst_sel:DWORD dst_unused:UNUSED_PAD src0_sel:WORD_1
	v_pk_fma_f32 v[0:1], v[64:65], v[30:31], v[0:1] op_sel_hi:[1,0,1]
	v_pk_fma_f32 v[2:3], v[76:77], v[30:31], v[2:3] op_sel_hi:[1,0,1]
	v_cvt_f32_f16_e32 v32, v85
	v_pk_fma_f32 v[0:1], v[66:67], v[80:81], v[0:1] op_sel_hi:[1,0,1]
	v_pk_fma_f32 v[2:3], v[78:79], v[80:81], v[2:3] op_sel_hi:[1,0,1]
	v_cvt_f32_f16_sdwa v56, v85 dst_sel:DWORD dst_unused:UNUSED_PAD src0_sel:WORD_1
	v_pk_fma_f32 v[0:1], v[18:19], v[82:83], v[0:1] op_sel_hi:[1,0,1]
	v_pk_fma_f32 v[2:3], v[40:41], v[82:83], v[2:3] op_sel_hi:[1,0,1]
	s_waitcnt vmcnt(0)
	v_cvt_f32_f16_e32 v84, v86
	v_pk_fma_f32 v[0:1], v[16:17], v[100:101], v[0:1] op_sel_hi:[1,0,1]
	v_pk_fma_f32 v[2:3], v[38:39], v[100:101], v[2:3] op_sel_hi:[1,0,1]
	v_cvt_f32_f16_sdwa v58, v86 dst_sel:DWORD dst_unused:UNUSED_PAD src0_sel:WORD_1
	v_pk_fma_f32 v[0:1], v[68:69], v[54:55], v[0:1] op_sel_hi:[1,0,1]
	v_pk_fma_f32 v[2:3], v[88:89], v[54:55], v[2:3] op_sel_hi:[1,0,1]
	v_cvt_f32_f16_e32 v4, v87
	v_pk_fma_f32 v[0:1], v[70:71], v[32:33], v[0:1] op_sel_hi:[1,0,1]
	v_pk_fma_f32 v[2:3], v[90:91], v[32:33], v[2:3] op_sel_hi:[1,0,1]
	v_cvt_f32_f16_sdwa v34, v87 dst_sel:DWORD dst_unused:UNUSED_PAD src0_sel:WORD_1
	v_pk_fma_f32 v[0:1], v[36:37], v[56:57], v[0:1] op_sel_hi:[1,0,1]
	v_pk_fma_f32 v[2:3], v[44:45], v[56:57], v[2:3] op_sel_hi:[1,0,1]
	;; [unrolled: 1-line block ×10, first 2 shown]
	s_andn2_b64 exec, exec, s[18:19]
	s_cbranch_execnz .LBB97_21
; %bb.22:
	s_or_b64 exec, exec, s[18:19]
.LBB97_23:
	s_or_b64 exec, exec, s[10:11]
	v_mov_b32_e32 v23, v31
.LBB97_24:
	s_or_b64 exec, exec, s[6:7]
	v_mov_b32_e32 v31, v23
	s_cbranch_execz .LBB97_26
	s_branch .LBB97_37
.LBB97_25:
                                        ; implicit-def: $vgpr31
                                        ; implicit-def: $vgpr33
.LBB97_26:
	v_mov_b32_e32 v31, 0
	v_mov_b32_e32 v30, 0
	;; [unrolled: 1-line block ×4, first 2 shown]
	s_and_saveexec_b64 s[6:7], s[2:3]
	s_cbranch_execz .LBB97_36
; %bb.27:
	v_or_b32_e32 v0, 16, v22
	v_subrev_co_u32_e32 v0, vcc, s16, v0
	v_not_b32_e32 v3, v9
	s_nop 0
	v_subb_co_u32_e64 v1, s[2:3], 0, 0, vcc
	v_lshl_add_u64 v[0:1], v[0:1], 0, v[8:9]
	v_cmp_gt_i64_e32 vcc, v[0:1], v[26:27]
	v_not_b32_e32 v2, v8
	v_mov_b32_e32 v30, 0
	v_cndmask_b32_e32 v1, v27, v1, vcc
	v_cndmask_b32_e32 v0, v26, v0, vcc
	v_sub_co_u32_e32 v4, vcc, s16, v22
	v_mov_b32_e32 v31, v30
	s_nop 0
	v_subb_co_u32_e64 v5, s[2:3], 0, 0, vcc
	v_lshl_add_u64 v[2:3], v[4:5], 0, v[2:3]
	v_lshl_add_u64 v[0:1], v[2:3], 0, v[0:1]
	v_and_b32_e32 v2, 48, v0
	v_mov_b32_e32 v3, v30
	v_cmp_ne_u64_e32 vcc, 48, v[2:3]
	v_mov_b64_e32 v[32:33], v[30:31]
	s_and_saveexec_b64 s[2:3], vcc
	s_cbranch_execz .LBB97_31
; %bb.28:
	v_lshrrev_b32_e32 v2, 4, v0
	v_add_u32_e32 v2, 1, v2
	v_and_b32_e32 v4, 3, v2
	v_sub_co_u32_e32 v4, vcc, 0, v4
	v_lshl_add_u64 v[2:3], v[24:25], 2, s[8:9]
	s_nop 0
	v_subb_co_u32_e64 v5, s[18:19], 0, 0, vcc
	s_mov_b64 s[10:11], 0
	s_mov_b64 s[18:19], 0x200
	v_mov_b32_e32 v31, v30
	v_mov_b32_e32 v32, v30
	;; [unrolled: 1-line block ×3, first 2 shown]
.LBB97_29:                              ; =>This Inner Loop Header: Depth=1
	global_load_dword v10, v[2:3], off
	global_load_dwordx4 v[6:9], v[28:29], off
	v_lshl_add_u64 v[4:5], v[4:5], 0, 1
	v_cmp_eq_u64_e32 vcc, 0, v[4:5]
	v_lshl_add_u64 v[24:25], v[24:25], 0, 16
	v_lshl_add_u64 v[2:3], v[2:3], 0, 64
	s_or_b64 s[10:11], vcc, s[10:11]
	s_waitcnt vmcnt(1)
	v_subrev_u32_e32 v10, s16, v10
	v_lshlrev_b32_e32 v10, 2, v10
	v_ashrrev_i32_e32 v11, 31, v10
	s_waitcnt lgkmcnt(0)
	v_lshl_add_u64 v[14:15], v[10:11], 1, s[4:5]
	global_load_dwordx2 v[16:17], v[14:15], off
	global_load_dwordx4 v[10:13], v[28:29], off offset:16
	s_waitcnt vmcnt(2)
	v_cvt_f32_f16_sdwa v15, v6 dst_sel:DWORD dst_unused:UNUSED_PAD src0_sel:WORD_1
	v_cvt_f32_f16_e32 v14, v6
	v_cvt_f32_f16_sdwa v19, v7 dst_sel:DWORD dst_unused:UNUSED_PAD src0_sel:WORD_1
	v_cvt_f32_f16_e32 v18, v7
	;; [unrolled: 2-line block ×4, first 2 shown]
	v_lshl_add_u64 v[28:29], v[28:29], 0, s[18:19]
	s_waitcnt vmcnt(1)
	v_cvt_f32_f16_e32 v40, v17
	s_waitcnt vmcnt(0)
	v_cvt_f32_f16_sdwa v37, v12 dst_sel:DWORD dst_unused:UNUSED_PAD src0_sel:WORD_1
	v_cvt_f32_f16_e32 v36, v12
	v_cvt_f32_f16_e32 v12, v16
	v_cvt_f32_f16_sdwa v16, v16 dst_sel:DWORD dst_unused:UNUSED_PAD src0_sel:WORD_1
	v_cvt_f32_f16_sdwa v9, v10 dst_sel:DWORD dst_unused:UNUSED_PAD src0_sel:WORD_1
	v_cvt_f32_f16_e32 v8, v10
	v_cvt_f32_f16_sdwa v39, v11 dst_sel:DWORD dst_unused:UNUSED_PAD src0_sel:WORD_1
	v_cvt_f32_f16_e32 v38, v11
	;; [unrolled: 2-line block ×3, first 2 shown]
	v_cvt_f32_f16_sdwa v42, v17 dst_sel:DWORD dst_unused:UNUSED_PAD src0_sel:WORD_1
	v_pk_fma_f32 v[14:15], v[14:15], v[12:13], v[32:33] op_sel_hi:[1,0,1]
	v_pk_fma_f32 v[12:13], v[18:19], v[12:13], v[30:31] op_sel_hi:[1,0,1]
	;; [unrolled: 1-line block ×8, first 2 shown]
	s_andn2_b64 exec, exec, s[10:11]
	s_cbranch_execnz .LBB97_29
; %bb.30:
	s_or_b64 exec, exec, s[10:11]
.LBB97_31:
	s_or_b64 exec, exec, s[2:3]
	v_cmp_lt_u64_e32 vcc, 47, v[0:1]
	s_and_saveexec_b64 s[2:3], vcc
	s_cbranch_execz .LBB97_35
; %bb.32:
	v_lshl_add_u64 v[0:1], v[24:25], 2, s[8:9]
	s_mov_b64 s[8:9], 0x80
	v_lshl_add_u64 v[34:35], v[0:1], 0, s[8:9]
	s_mov_b64 s[8:9], 0
	s_mov_b64 s[10:11], 0x800
	;; [unrolled: 1-line block ×3, first 2 shown]
.LBB97_33:                              ; =>This Inner Loop Header: Depth=1
	global_load_dwordx4 v[0:3], v[28:29], off
	global_load_dwordx4 v[4:7], v[28:29], off offset:16
	global_load_dwordx4 v[8:11], v[28:29], off offset:512
	;; [unrolled: 1-line block ×4, first 2 shown]
	global_load_dword v21, v[34:35], off offset:-128
	global_load_dword v23, v[34:35], off offset:-64
	global_load_dword v68, v[34:35], off
	global_load_dword v70, v[34:35], off offset:64
	global_load_dwordx4 v[36:39], v[28:29], off offset:1040
	global_load_dwordx4 v[40:43], v[28:29], off offset:1536
	global_load_dwordx4 v[44:47], v[28:29], off offset:1552
	v_lshl_add_u64 v[24:25], v[24:25], 0, 64
	v_cmp_ge_i64_e32 vcc, v[24:25], v[26:27]
	v_lshl_add_u64 v[28:29], v[28:29], 0, s[10:11]
	v_lshl_add_u64 v[34:35], v[34:35], 0, s[18:19]
	s_or_b64 s[8:9], vcc, s[8:9]
	s_waitcnt vmcnt(11)
	v_cvt_f32_f16_sdwa v49, v0 dst_sel:DWORD dst_unused:UNUSED_PAD src0_sel:WORD_1
	v_cvt_f32_f16_e32 v48, v0
	v_cvt_f32_f16_sdwa v51, v1 dst_sel:DWORD dst_unused:UNUSED_PAD src0_sel:WORD_1
	v_cvt_f32_f16_e32 v50, v1
	;; [unrolled: 2-line block ×4, first 2 shown]
	s_waitcnt vmcnt(10)
	v_cvt_f32_f16_sdwa v3, v4 dst_sel:DWORD dst_unused:UNUSED_PAD src0_sel:WORD_1
	v_cvt_f32_f16_e32 v2, v4
	s_waitcnt vmcnt(6)
	v_subrev_u32_e32 v4, s16, v21
	v_cvt_f32_f16_sdwa v55, v6 dst_sel:DWORD dst_unused:UNUSED_PAD src0_sel:WORD_1
	v_cvt_f32_f16_e32 v54, v6
	v_cvt_f32_f16_sdwa v57, v8 dst_sel:DWORD dst_unused:UNUSED_PAD src0_sel:WORD_1
	v_cvt_f32_f16_e32 v56, v8
	;; [unrolled: 2-line block ×3, first 2 shown]
	s_waitcnt vmcnt(5)
	v_subrev_u32_e32 v6, s16, v23
	s_waitcnt vmcnt(4)
	v_subrev_u32_e32 v8, s16, v68
	;; [unrolled: 2-line block ×3, first 2 shown]
	v_lshlrev_b32_e32 v70, 2, v4
	v_lshlrev_b32_e32 v72, 2, v6
	;; [unrolled: 1-line block ×4, first 2 shown]
	v_ashrrev_i32_e32 v71, 31, v70
	v_ashrrev_i32_e32 v73, 31, v72
	;; [unrolled: 1-line block ×4, first 2 shown]
	s_waitcnt lgkmcnt(0)
	v_lshl_add_u64 v[70:71], v[70:71], 1, s[4:5]
	v_lshl_add_u64 v[72:73], v[72:73], 1, s[4:5]
	;; [unrolled: 1-line block ×4, first 2 shown]
	global_load_dwordx2 v[78:79], v[70:71], off
	global_load_dwordx2 v[80:81], v[72:73], off
	;; [unrolled: 1-line block ×4, first 2 shown]
	s_waitcnt vmcnt(4)
	v_cvt_f32_f16_sdwa v87, v46 dst_sel:DWORD dst_unused:UNUSED_PAD src0_sel:WORD_1
	v_cvt_f32_f16_e32 v86, v46
	v_cvt_f32_f16_sdwa v69, v5 dst_sel:DWORD dst_unused:UNUSED_PAD src0_sel:WORD_1
	v_cvt_f32_f16_e32 v68, v5
	;; [unrolled: 2-line block ×24, first 2 shown]
	s_waitcnt vmcnt(3)
	v_cvt_f32_f16_e32 v46, v78
	v_cvt_f32_f16_sdwa v78, v78 dst_sel:DWORD dst_unused:UNUSED_PAD src0_sel:WORD_1
	v_cvt_f32_f16_e32 v90, v79
	v_cvt_f32_f16_sdwa v92, v79 dst_sel:DWORD dst_unused:UNUSED_PAD src0_sel:WORD_1
	s_waitcnt vmcnt(2)
	v_cvt_f32_f16_e32 v94, v80
	v_pk_fma_f32 v[32:33], v[48:49], v[46:47], v[32:33] op_sel_hi:[1,0,1]
	v_pk_fma_f32 v[30:31], v[50:51], v[46:47], v[30:31] op_sel_hi:[1,0,1]
	v_cvt_f32_f16_sdwa v48, v80 dst_sel:DWORD dst_unused:UNUSED_PAD src0_sel:WORD_1
	v_pk_fma_f32 v[0:1], v[0:1], v[78:79], v[32:33] op_sel_hi:[1,0,1]
	v_pk_fma_f32 v[30:31], v[52:53], v[78:79], v[30:31] op_sel_hi:[1,0,1]
	v_cvt_f32_f16_e32 v46, v81
	v_pk_fma_f32 v[0:1], v[2:3], v[90:91], v[0:1] op_sel_hi:[1,0,1]
	v_pk_fma_f32 v[30:31], v[68:69], v[90:91], v[30:31] op_sel_hi:[1,0,1]
	v_cvt_f32_f16_sdwa v50, v81 dst_sel:DWORD dst_unused:UNUSED_PAD src0_sel:WORD_1
	v_pk_fma_f32 v[0:1], v[54:55], v[92:93], v[0:1] op_sel_hi:[1,0,1]
	v_pk_fma_f32 v[4:5], v[4:5], v[92:93], v[30:31] op_sel_hi:[1,0,1]
	s_waitcnt vmcnt(1)
	v_cvt_f32_f16_e32 v80, v82
	v_pk_fma_f32 v[0:1], v[56:57], v[94:95], v[0:1] op_sel_hi:[1,0,1]
	v_pk_fma_f32 v[4:5], v[6:7], v[94:95], v[4:5] op_sel_hi:[1,0,1]
	v_cvt_f32_f16_sdwa v32, v82 dst_sel:DWORD dst_unused:UNUSED_PAD src0_sel:WORD_1
	v_pk_fma_f32 v[0:1], v[58:59], v[48:49], v[0:1] op_sel_hi:[1,0,1]
	v_pk_fma_f32 v[4:5], v[8:9], v[48:49], v[4:5] op_sel_hi:[1,0,1]
	v_cvt_f32_f16_e32 v52, v83
	v_pk_fma_f32 v[0:1], v[60:61], v[46:47], v[0:1] op_sel_hi:[1,0,1]
	v_pk_fma_f32 v[4:5], v[10:11], v[46:47], v[4:5] op_sel_hi:[1,0,1]
	v_cvt_f32_f16_sdwa v78, v83 dst_sel:DWORD dst_unused:UNUSED_PAD src0_sel:WORD_1
	v_pk_fma_f32 v[0:1], v[62:63], v[50:51], v[0:1] op_sel_hi:[1,0,1]
	v_pk_fma_f32 v[4:5], v[12:13], v[50:51], v[4:5] op_sel_hi:[1,0,1]
	;; [unrolled: 13-line block ×3, first 2 shown]
	v_pk_fma_f32 v[0:1], v[38:39], v[82:83], v[0:1] op_sel_hi:[1,0,1]
	v_pk_fma_f32 v[4:5], v[74:75], v[82:83], v[4:5] op_sel_hi:[1,0,1]
	;; [unrolled: 1-line block ×8, first 2 shown]
	s_andn2_b64 exec, exec, s[8:9]
	s_cbranch_execnz .LBB97_33
; %bb.34:
	s_or_b64 exec, exec, s[8:9]
.LBB97_35:
	s_or_b64 exec, exec, s[2:3]
.LBB97_36:
	s_or_b64 exec, exec, s[6:7]
.LBB97_37:
	v_mov_b32_dpp v0, v32 row_shr:1 row_mask:0xf bank_mask:0xf
	v_mov_b32_dpp v1, v33 row_shr:1 row_mask:0xf bank_mask:0xf
	;; [unrolled: 1-line block ×4, first 2 shown]
	v_pk_add_f32 v[0:1], v[32:33], v[0:1]
	v_pk_add_f32 v[4:5], v[30:31], v[4:5]
	v_cmp_eq_u32_e32 vcc, 15, v22
	v_mov_b32_dpp v2, v0 row_shr:2 row_mask:0xf bank_mask:0xf
	v_mov_b32_dpp v3, v1 row_shr:2 row_mask:0xf bank_mask:0xf
	;; [unrolled: 1-line block ×4, first 2 shown]
	v_pk_add_f32 v[0:1], v[0:1], v[2:3]
	v_pk_add_f32 v[4:5], v[4:5], v[6:7]
	s_nop 0
	v_mov_b32_dpp v2, v0 row_shr:4 row_mask:0xf bank_mask:0xe
	v_mov_b32_dpp v3, v1 row_shr:4 row_mask:0xf bank_mask:0xe
	v_mov_b32_dpp v6, v4 row_shr:4 row_mask:0xf bank_mask:0xe
	v_mov_b32_dpp v7, v5 row_shr:4 row_mask:0xf bank_mask:0xe
	v_pk_add_f32 v[0:1], v[0:1], v[2:3]
	v_pk_add_f32 v[4:5], v[4:5], v[6:7]
	s_nop 0
	v_mov_b32_dpp v2, v0 row_shr:8 row_mask:0xf bank_mask:0xc
	v_mov_b32_dpp v3, v1 row_shr:8 row_mask:0xf bank_mask:0xc
	v_mov_b32_dpp v6, v4 row_shr:8 row_mask:0xf bank_mask:0xc
	v_mov_b32_dpp v7, v5 row_shr:8 row_mask:0xf bank_mask:0xc
	s_and_b64 exec, exec, vcc
	s_cbranch_execz .LBB97_10
; %bb.38:
	s_load_dwordx2 s[0:1], s[0:1], 0x50
	v_cmp_eq_f32_e64 s[2:3], s14, 0
	v_pk_add_f32 v[2:3], v[0:1], v[2:3]
	v_pk_add_f32 v[0:1], v[4:5], v[6:7]
	s_and_b64 vcc, exec, s[2:3]
	v_lshlrev_b32_e32 v4, 2, v20
	s_cbranch_vccz .LBB97_40
; %bb.39:
	v_ashrrev_i32_e32 v5, 31, v4
	s_waitcnt lgkmcnt(0)
	v_lshl_add_u64 v[10:11], v[4:5], 2, s[0:1]
	v_pk_mul_f32 v[6:7], s[12:13], v[2:3] op_sel_hi:[0,1]
	v_pk_mul_f32 v[8:9], s[12:13], v[0:1] op_sel_hi:[0,1]
	global_store_dwordx4 v[10:11], v[6:9], off
	s_cbranch_execnz .LBB97_10
	s_branch .LBB97_41
.LBB97_40:
.LBB97_41:
	v_ashrrev_i32_e32 v5, 31, v4
	s_waitcnt lgkmcnt(0)
	v_lshl_add_u64 v[8:9], v[4:5], 2, s[0:1]
	global_load_dwordx4 v[4:7], v[8:9], off
	v_pk_mul_f32 v[2:3], s[12:13], v[2:3] op_sel_hi:[0,1]
	v_pk_mul_f32 v[10:11], s[12:13], v[0:1] op_sel_hi:[0,1]
	s_waitcnt vmcnt(0)
	v_pk_fma_f32 v[0:1], s[14:15], v[4:5], v[2:3] op_sel_hi:[0,1,1]
	v_pk_fma_f32 v[2:3], s[14:15], v[6:7], v[10:11] op_sel_hi:[0,1,1]
	global_store_dwordx4 v[8:9], v[0:3], off
	s_endpgm
	.section	.rodata,"a",@progbits
	.p2align	6, 0x0
	.amdhsa_kernel _ZN9rocsparseL18bsrxmvn_4x4_kernelILj128ELj16EfliDF16_DF16_fEEvT3_20rocsparse_direction_NS_24const_host_device_scalarIT1_EES1_PKS1_PKT2_SA_S7_PKT4_PKT5_S5_PT6_21rocsparse_index_base_b
		.amdhsa_group_segment_fixed_size 0
		.amdhsa_private_segment_fixed_size 0
		.amdhsa_kernarg_size 96
		.amdhsa_user_sgpr_count 2
		.amdhsa_user_sgpr_dispatch_ptr 0
		.amdhsa_user_sgpr_queue_ptr 0
		.amdhsa_user_sgpr_kernarg_segment_ptr 1
		.amdhsa_user_sgpr_dispatch_id 0
		.amdhsa_user_sgpr_kernarg_preload_length 0
		.amdhsa_user_sgpr_kernarg_preload_offset 0
		.amdhsa_user_sgpr_private_segment_size 0
		.amdhsa_uses_dynamic_stack 0
		.amdhsa_enable_private_segment 0
		.amdhsa_system_sgpr_workgroup_id_x 1
		.amdhsa_system_sgpr_workgroup_id_y 0
		.amdhsa_system_sgpr_workgroup_id_z 0
		.amdhsa_system_sgpr_workgroup_info 0
		.amdhsa_system_vgpr_workitem_id 0
		.amdhsa_next_free_vgpr 102
		.amdhsa_next_free_sgpr 24
		.amdhsa_accum_offset 104
		.amdhsa_reserve_vcc 1
		.amdhsa_float_round_mode_32 0
		.amdhsa_float_round_mode_16_64 0
		.amdhsa_float_denorm_mode_32 3
		.amdhsa_float_denorm_mode_16_64 3
		.amdhsa_dx10_clamp 1
		.amdhsa_ieee_mode 1
		.amdhsa_fp16_overflow 0
		.amdhsa_tg_split 0
		.amdhsa_exception_fp_ieee_invalid_op 0
		.amdhsa_exception_fp_denorm_src 0
		.amdhsa_exception_fp_ieee_div_zero 0
		.amdhsa_exception_fp_ieee_overflow 0
		.amdhsa_exception_fp_ieee_underflow 0
		.amdhsa_exception_fp_ieee_inexact 0
		.amdhsa_exception_int_div_zero 0
	.end_amdhsa_kernel
	.section	.text._ZN9rocsparseL18bsrxmvn_4x4_kernelILj128ELj16EfliDF16_DF16_fEEvT3_20rocsparse_direction_NS_24const_host_device_scalarIT1_EES1_PKS1_PKT2_SA_S7_PKT4_PKT5_S5_PT6_21rocsparse_index_base_b,"axG",@progbits,_ZN9rocsparseL18bsrxmvn_4x4_kernelILj128ELj16EfliDF16_DF16_fEEvT3_20rocsparse_direction_NS_24const_host_device_scalarIT1_EES1_PKS1_PKT2_SA_S7_PKT4_PKT5_S5_PT6_21rocsparse_index_base_b,comdat
.Lfunc_end97:
	.size	_ZN9rocsparseL18bsrxmvn_4x4_kernelILj128ELj16EfliDF16_DF16_fEEvT3_20rocsparse_direction_NS_24const_host_device_scalarIT1_EES1_PKS1_PKT2_SA_S7_PKT4_PKT5_S5_PT6_21rocsparse_index_base_b, .Lfunc_end97-_ZN9rocsparseL18bsrxmvn_4x4_kernelILj128ELj16EfliDF16_DF16_fEEvT3_20rocsparse_direction_NS_24const_host_device_scalarIT1_EES1_PKS1_PKT2_SA_S7_PKT4_PKT5_S5_PT6_21rocsparse_index_base_b
                                        ; -- End function
	.set _ZN9rocsparseL18bsrxmvn_4x4_kernelILj128ELj16EfliDF16_DF16_fEEvT3_20rocsparse_direction_NS_24const_host_device_scalarIT1_EES1_PKS1_PKT2_SA_S7_PKT4_PKT5_S5_PT6_21rocsparse_index_base_b.num_vgpr, 102
	.set _ZN9rocsparseL18bsrxmvn_4x4_kernelILj128ELj16EfliDF16_DF16_fEEvT3_20rocsparse_direction_NS_24const_host_device_scalarIT1_EES1_PKS1_PKT2_SA_S7_PKT4_PKT5_S5_PT6_21rocsparse_index_base_b.num_agpr, 0
	.set _ZN9rocsparseL18bsrxmvn_4x4_kernelILj128ELj16EfliDF16_DF16_fEEvT3_20rocsparse_direction_NS_24const_host_device_scalarIT1_EES1_PKS1_PKT2_SA_S7_PKT4_PKT5_S5_PT6_21rocsparse_index_base_b.numbered_sgpr, 24
	.set _ZN9rocsparseL18bsrxmvn_4x4_kernelILj128ELj16EfliDF16_DF16_fEEvT3_20rocsparse_direction_NS_24const_host_device_scalarIT1_EES1_PKS1_PKT2_SA_S7_PKT4_PKT5_S5_PT6_21rocsparse_index_base_b.num_named_barrier, 0
	.set _ZN9rocsparseL18bsrxmvn_4x4_kernelILj128ELj16EfliDF16_DF16_fEEvT3_20rocsparse_direction_NS_24const_host_device_scalarIT1_EES1_PKS1_PKT2_SA_S7_PKT4_PKT5_S5_PT6_21rocsparse_index_base_b.private_seg_size, 0
	.set _ZN9rocsparseL18bsrxmvn_4x4_kernelILj128ELj16EfliDF16_DF16_fEEvT3_20rocsparse_direction_NS_24const_host_device_scalarIT1_EES1_PKS1_PKT2_SA_S7_PKT4_PKT5_S5_PT6_21rocsparse_index_base_b.uses_vcc, 1
	.set _ZN9rocsparseL18bsrxmvn_4x4_kernelILj128ELj16EfliDF16_DF16_fEEvT3_20rocsparse_direction_NS_24const_host_device_scalarIT1_EES1_PKS1_PKT2_SA_S7_PKT4_PKT5_S5_PT6_21rocsparse_index_base_b.uses_flat_scratch, 0
	.set _ZN9rocsparseL18bsrxmvn_4x4_kernelILj128ELj16EfliDF16_DF16_fEEvT3_20rocsparse_direction_NS_24const_host_device_scalarIT1_EES1_PKS1_PKT2_SA_S7_PKT4_PKT5_S5_PT6_21rocsparse_index_base_b.has_dyn_sized_stack, 0
	.set _ZN9rocsparseL18bsrxmvn_4x4_kernelILj128ELj16EfliDF16_DF16_fEEvT3_20rocsparse_direction_NS_24const_host_device_scalarIT1_EES1_PKS1_PKT2_SA_S7_PKT4_PKT5_S5_PT6_21rocsparse_index_base_b.has_recursion, 0
	.set _ZN9rocsparseL18bsrxmvn_4x4_kernelILj128ELj16EfliDF16_DF16_fEEvT3_20rocsparse_direction_NS_24const_host_device_scalarIT1_EES1_PKS1_PKT2_SA_S7_PKT4_PKT5_S5_PT6_21rocsparse_index_base_b.has_indirect_call, 0
	.section	.AMDGPU.csdata,"",@progbits
; Kernel info:
; codeLenInByte = 4036
; TotalNumSgprs: 30
; NumVgprs: 102
; NumAgprs: 0
; TotalNumVgprs: 102
; ScratchSize: 0
; MemoryBound: 0
; FloatMode: 240
; IeeeMode: 1
; LDSByteSize: 0 bytes/workgroup (compile time only)
; SGPRBlocks: 3
; VGPRBlocks: 12
; NumSGPRsForWavesPerEU: 30
; NumVGPRsForWavesPerEU: 102
; AccumOffset: 104
; Occupancy: 4
; WaveLimiterHint : 1
; COMPUTE_PGM_RSRC2:SCRATCH_EN: 0
; COMPUTE_PGM_RSRC2:USER_SGPR: 2
; COMPUTE_PGM_RSRC2:TRAP_HANDLER: 0
; COMPUTE_PGM_RSRC2:TGID_X_EN: 1
; COMPUTE_PGM_RSRC2:TGID_Y_EN: 0
; COMPUTE_PGM_RSRC2:TGID_Z_EN: 0
; COMPUTE_PGM_RSRC2:TIDIG_COMP_CNT: 0
; COMPUTE_PGM_RSRC3_GFX90A:ACCUM_OFFSET: 25
; COMPUTE_PGM_RSRC3_GFX90A:TG_SPLIT: 0
	.section	.text._ZN9rocsparseL18bsrxmvn_4x4_kernelILj128ELj32EfliDF16_DF16_fEEvT3_20rocsparse_direction_NS_24const_host_device_scalarIT1_EES1_PKS1_PKT2_SA_S7_PKT4_PKT5_S5_PT6_21rocsparse_index_base_b,"axG",@progbits,_ZN9rocsparseL18bsrxmvn_4x4_kernelILj128ELj32EfliDF16_DF16_fEEvT3_20rocsparse_direction_NS_24const_host_device_scalarIT1_EES1_PKS1_PKT2_SA_S7_PKT4_PKT5_S5_PT6_21rocsparse_index_base_b,comdat
	.globl	_ZN9rocsparseL18bsrxmvn_4x4_kernelILj128ELj32EfliDF16_DF16_fEEvT3_20rocsparse_direction_NS_24const_host_device_scalarIT1_EES1_PKS1_PKT2_SA_S7_PKT4_PKT5_S5_PT6_21rocsparse_index_base_b ; -- Begin function _ZN9rocsparseL18bsrxmvn_4x4_kernelILj128ELj32EfliDF16_DF16_fEEvT3_20rocsparse_direction_NS_24const_host_device_scalarIT1_EES1_PKS1_PKT2_SA_S7_PKT4_PKT5_S5_PT6_21rocsparse_index_base_b
	.p2align	8
	.type	_ZN9rocsparseL18bsrxmvn_4x4_kernelILj128ELj32EfliDF16_DF16_fEEvT3_20rocsparse_direction_NS_24const_host_device_scalarIT1_EES1_PKS1_PKT2_SA_S7_PKT4_PKT5_S5_PT6_21rocsparse_index_base_b,@function
_ZN9rocsparseL18bsrxmvn_4x4_kernelILj128ELj32EfliDF16_DF16_fEEvT3_20rocsparse_direction_NS_24const_host_device_scalarIT1_EES1_PKS1_PKT2_SA_S7_PKT4_PKT5_S5_PT6_21rocsparse_index_base_b: ; @_ZN9rocsparseL18bsrxmvn_4x4_kernelILj128ELj32EfliDF16_DF16_fEEvT3_20rocsparse_direction_NS_24const_host_device_scalarIT1_EES1_PKS1_PKT2_SA_S7_PKT4_PKT5_S5_PT6_21rocsparse_index_base_b
; %bb.0:
	s_load_dwordx2 s[16:17], s[0:1], 0x58
	s_load_dwordx2 s[12:13], s[0:1], 0x8
	;; [unrolled: 1-line block ×3, first 2 shown]
	s_waitcnt lgkmcnt(0)
	s_bitcmp1_b32 s17, 0
	s_cselect_b64 s[6:7], -1, 0
	s_xor_b64 s[4:5], s[6:7], -1
	s_and_b64 vcc, exec, s[6:7]
	s_cbranch_vccnz .LBB98_2
; %bb.1:
	s_load_dword s12, s[12:13], 0x0
.LBB98_2:
	s_andn2_b64 vcc, exec, s[4:5]
	s_cbranch_vccnz .LBB98_4
; %bb.3:
	s_load_dword s14, s[14:15], 0x0
.LBB98_4:
	s_waitcnt lgkmcnt(0)
	v_cmp_neq_f32_e64 s[4:5], s12, 0
	v_cmp_neq_f32_e64 s[6:7], s14, 1.0
	s_or_b64 s[4:5], s[4:5], s[6:7]
	s_andn2_b64 vcc, exec, s[4:5]
	s_cbranch_vccnz .LBB98_10
; %bb.5:
	s_load_dwordx2 s[4:5], s[0:1], 0x18
	s_load_dwordx2 s[18:19], s[0:1], 0x0
	v_lshrrev_b32_e32 v1, 5, v0
	v_lshl_or_b32 v24, s2, 2, v1
	s_mov_b64 s[2:3], 0
	s_waitcnt lgkmcnt(0)
	s_cmp_lg_u64 s[4:5], 0
	s_cbranch_scc0 .LBB98_11
; %bb.6:
	s_load_dword s6, s[0:1], 0x10
                                        ; implicit-def: $vgpr1
	s_waitcnt lgkmcnt(0)
	v_cmp_gt_i32_e32 vcc, s6, v24
	s_and_saveexec_b64 s[6:7], vcc
	s_xor_b64 s[6:7], exec, s[6:7]
	s_cbranch_execz .LBB98_8
; %bb.7:
	v_ashrrev_i32_e32 v25, 31, v24
	v_lshl_add_u64 v[2:3], v[24:25], 2, s[4:5]
	global_load_dword v1, v[2:3], off
	s_mov_b64 s[2:3], exec
	s_waitcnt vmcnt(0)
	v_subrev_u32_e32 v1, s16, v1
.LBB98_8:
	s_or_b64 exec, exec, s[6:7]
	s_branch .LBB98_12
.LBB98_9:
	v_cmp_gt_i32_e32 vcc, s18, v24
	s_andn2_b64 s[2:3], s[2:3], exec
	s_and_b64 s[4:5], vcc, exec
	s_or_b64 s[2:3], s[2:3], s[4:5]
	s_and_saveexec_b64 s[4:5], s[2:3]
	s_cbranch_execnz .LBB98_13
.LBB98_10:
	s_endpgm
.LBB98_11:
                                        ; implicit-def: $vgpr1
	s_cbranch_execnz .LBB98_9
.LBB98_12:
	v_mov_b32_e32 v24, v1
	s_and_saveexec_b64 s[4:5], s[2:3]
	s_cbranch_execz .LBB98_10
.LBB98_13:
	s_load_dwordx8 s[4:11], s[0:1], 0x20
	v_ashrrev_i32_e32 v25, 31, v24
	v_lshlrev_b64 v[2:3], 3, v[24:25]
	v_and_b32_e32 v26, 31, v0
	v_mov_b32_e32 v27, 0
	s_waitcnt lgkmcnt(0)
	v_lshl_add_u64 v[4:5], s[4:5], 0, v[2:3]
	s_cmp_eq_u64 s[6:7], 0
	v_lshl_add_u64 v[2:3], s[6:7], 0, v[2:3]
	global_load_dwordx2 v[38:39], v[4:5], off
	v_lshl_add_u64 v[4:5], v[4:5], 0, 8
	s_cselect_b64 vcc, -1, 0
	v_cndmask_b32_e32 v3, v3, v5, vcc
	v_cndmask_b32_e32 v2, v2, v4, vcc
	global_load_dwordx2 v[2:3], v[2:3], off
	s_load_dwordx2 s[4:5], s[0:1], 0x40
	s_cmp_eq_u32 s19, 1
	s_waitcnt vmcnt(1)
	v_subrev_co_u32_e32 v0, vcc, s16, v38
	s_nop 1
	v_subbrev_co_u32_e32 v1, vcc, 0, v39, vcc
	v_lshl_add_u64 v[28:29], v[0:1], 0, v[26:27]
	s_waitcnt vmcnt(0)
	v_subrev_co_u32_e32 v30, vcc, s16, v2
	v_lshlrev_b64 v[0:1], 5, v[28:29]
	s_nop 0
	v_subbrev_co_u32_e32 v31, vcc, 0, v3, vcc
	v_lshl_add_u64 v[32:33], s[10:11], 0, v[0:1]
	v_cmp_lt_i64_e64 s[2:3], v[28:29], v[30:31]
	s_cbranch_scc1 .LBB98_25
; %bb.14:
	v_mov_b32_e32 v34, v27
	v_mov_b32_e32 v37, v27
	v_mov_b32_e32 v36, v27
	s_and_saveexec_b64 s[6:7], s[2:3]
	s_cbranch_execz .LBB98_24
; %bb.15:
	v_or_b32_e32 v0, 32, v26
	v_subrev_co_u32_e32 v0, vcc, s16, v0
	v_not_b32_e32 v3, v39
	s_nop 0
	v_subb_co_u32_e64 v1, s[10:11], 0, 0, vcc
	v_lshl_add_u64 v[0:1], v[0:1], 0, v[38:39]
	v_cmp_gt_i64_e32 vcc, v[0:1], v[30:31]
	v_not_b32_e32 v2, v38
	v_mov_b32_e32 v34, 0
	v_cndmask_b32_e32 v1, v31, v1, vcc
	v_cndmask_b32_e32 v0, v30, v0, vcc
	v_sub_co_u32_e32 v4, vcc, s16, v26
	v_mov_b32_e32 v35, v34
	s_nop 0
	v_subb_co_u32_e64 v5, s[10:11], 0, 0, vcc
	v_lshl_add_u64 v[2:3], v[4:5], 0, v[2:3]
	v_lshl_add_u64 v[0:1], v[2:3], 0, v[0:1]
	v_and_b32_e32 v2, 0x60, v0
	v_mov_b32_e32 v3, v34
	s_mov_b64 s[10:11], 0x60
	v_cmp_ne_u64_e32 vcc, s[10:11], v[2:3]
	v_mov_b64_e32 v[36:37], v[34:35]
	v_mov_b64_e32 v[40:41], v[28:29]
	;; [unrolled: 1-line block ×3, first 2 shown]
	s_and_saveexec_b64 s[10:11], vcc
	s_cbranch_execz .LBB98_19
; %bb.16:
	v_lshrrev_b32_e32 v2, 5, v0
	v_add_u32_e32 v2, 1, v2
	v_and_b32_e32 v2, 3, v2
	v_sub_co_u32_e32 v2, vcc, 0, v2
	s_mov_b64 s[18:19], 0
	s_nop 0
	v_subb_co_u32_e64 v3, s[20:21], 0, 0, vcc
	v_lshl_add_u64 v[4:5], v[28:29], 2, s[8:9]
	s_mov_b64 s[20:21], 0x400
	s_mov_b64 s[22:23], 0x80
	v_mov_b64_e32 v[42:43], v[32:33]
	v_mov_b64_e32 v[40:41], v[28:29]
	v_mov_b32_e32 v35, v34
	v_mov_b32_e32 v36, v34
	;; [unrolled: 1-line block ×3, first 2 shown]
.LBB98_17:                              ; =>This Inner Loop Header: Depth=1
	global_load_dword v14, v[4:5], off
	global_load_dwordx4 v[6:9], v[42:43], off
	global_load_dwordx4 v[10:13], v[42:43], off offset:16
	v_lshl_add_u64 v[2:3], v[2:3], 0, 1
	v_cmp_eq_u64_e32 vcc, 0, v[2:3]
	v_lshl_add_u64 v[42:43], v[42:43], 0, s[20:21]
	v_lshl_add_u64 v[40:41], v[40:41], 0, 32
	v_lshl_add_u64 v[4:5], v[4:5], 0, s[22:23]
	s_or_b64 s[18:19], vcc, s[18:19]
	s_waitcnt vmcnt(2)
	v_subrev_u32_e32 v14, s16, v14
	v_lshlrev_b32_e32 v14, 2, v14
	v_ashrrev_i32_e32 v15, 31, v14
	s_waitcnt lgkmcnt(0)
	v_lshl_add_u64 v[14:15], v[14:15], 1, s[4:5]
	global_load_dwordx2 v[14:15], v[14:15], off
	s_waitcnt vmcnt(2)
	v_cvt_f32_f16_e32 v19, v8
	v_cvt_f32_f16_e32 v18, v6
	s_waitcnt vmcnt(1)
	v_cvt_f32_f16_e32 v23, v12
	v_cvt_f32_f16_e32 v22, v10
	v_cvt_f32_f16_sdwa v44, v10 dst_sel:DWORD dst_unused:UNUSED_PAD src0_sel:WORD_1
	v_cvt_f32_f16_sdwa v21, v8 dst_sel:DWORD dst_unused:UNUSED_PAD src0_sel:WORD_1
	;; [unrolled: 1-line block ×4, first 2 shown]
	v_cvt_f32_f16_e32 v16, v7
	v_cvt_f32_f16_e32 v17, v9
	v_cvt_f32_f16_sdwa v8, v7 dst_sel:DWORD dst_unused:UNUSED_PAD src0_sel:WORD_1
	v_cvt_f32_f16_e32 v6, v11
	v_cvt_f32_f16_e32 v7, v13
	v_cvt_f32_f16_sdwa v9, v9 dst_sel:DWORD dst_unused:UNUSED_PAD src0_sel:WORD_1
	v_cvt_f32_f16_sdwa v13, v13 dst_sel:DWORD dst_unused:UNUSED_PAD src0_sel:WORD_1
	;; [unrolled: 1-line block ×3, first 2 shown]
	s_waitcnt vmcnt(0)
	v_cvt_f32_f16_e32 v10, v14
	v_cvt_f32_f16_sdwa v14, v14 dst_sel:DWORD dst_unused:UNUSED_PAD src0_sel:WORD_1
	v_cvt_f32_f16_e32 v46, v15
	v_cvt_f32_f16_sdwa v48, v15 dst_sel:DWORD dst_unused:UNUSED_PAD src0_sel:WORD_1
	v_pk_fma_f32 v[18:19], v[18:19], v[10:11], v[36:37] op_sel_hi:[1,0,1]
	v_pk_fma_f32 v[10:11], v[22:23], v[10:11], v[34:35] op_sel_hi:[1,0,1]
	;; [unrolled: 1-line block ×8, first 2 shown]
	s_andn2_b64 exec, exec, s[18:19]
	s_cbranch_execnz .LBB98_17
; %bb.18:
	s_or_b64 exec, exec, s[18:19]
.LBB98_19:
	s_or_b64 exec, exec, s[10:11]
	s_mov_b64 s[10:11], 0x5f
	v_cmp_lt_u64_e32 vcc, s[10:11], v[0:1]
	s_and_saveexec_b64 s[10:11], vcc
	s_cbranch_execz .LBB98_23
; %bb.20:
	v_lshl_add_u64 v[0:1], v[40:41], 2, s[8:9]
	s_mov_b64 s[18:19], 0x100
	v_lshl_add_u64 v[44:45], v[0:1], 0, s[18:19]
	s_mov_b64 s[18:19], 0
	s_mov_b64 s[20:21], 0x1000
	;; [unrolled: 1-line block ×4, first 2 shown]
.LBB98_21:                              ; =>This Inner Loop Header: Depth=1
	global_load_dword v25, v[44:45], off offset:-256
	global_load_dwordx4 v[4:7], v[42:43], off
	global_load_dwordx4 v[0:3], v[42:43], off offset:16
	global_load_dword v27, v[44:45], off offset:-128
	global_load_dword v66, v[44:45], off
	global_load_dword v67, v[44:45], off offset:128
	global_load_dwordx4 v[8:11], v[42:43], off offset:3072
	global_load_dwordx4 v[16:19], v[42:43], off offset:1024
	;; [unrolled: 1-line block ×6, first 2 shown]
	v_lshl_add_u64 v[40:41], v[40:41], 0, s[22:23]
	v_cmp_ge_i64_e32 vcc, v[40:41], v[30:31]
	v_lshl_add_u64 v[42:43], v[42:43], 0, s[20:21]
	v_lshl_add_u64 v[44:45], v[44:45], 0, s[24:25]
	s_or_b64 s[18:19], vcc, s[18:19]
	s_waitcnt vmcnt(11)
	v_subrev_u32_e32 v25, s16, v25
	v_lshlrev_b32_e32 v72, 2, v25
	s_waitcnt vmcnt(9)
	v_cvt_f32_f16_e32 v63, v2
	v_cvt_f32_f16_e32 v62, v0
	v_cvt_f32_f16_sdwa v65, v2 dst_sel:DWORD dst_unused:UNUSED_PAD src0_sel:WORD_1
	v_cvt_f32_f16_sdwa v64, v0 dst_sel:DWORD dst_unused:UNUSED_PAD src0_sel:WORD_1
	s_waitcnt vmcnt(8)
	v_subrev_u32_e32 v0, s16, v27
	s_waitcnt vmcnt(7)
	v_subrev_u32_e32 v2, s16, v66
	;; [unrolled: 2-line block ×3, first 2 shown]
	v_lshlrev_b32_e32 v74, 2, v0
	v_lshlrev_b32_e32 v76, 2, v2
	;; [unrolled: 1-line block ×3, first 2 shown]
	v_ashrrev_i32_e32 v73, 31, v72
	v_ashrrev_i32_e32 v75, 31, v74
	;; [unrolled: 1-line block ×4, first 2 shown]
	s_waitcnt lgkmcnt(0)
	v_lshl_add_u64 v[72:73], v[72:73], 1, s[4:5]
	v_lshl_add_u64 v[74:75], v[74:75], 1, s[4:5]
	;; [unrolled: 1-line block ×4, first 2 shown]
	global_load_dwordx2 v[80:81], v[72:73], off
	global_load_dwordx2 v[82:83], v[74:75], off
	;; [unrolled: 1-line block ×4, first 2 shown]
	v_cvt_f32_f16_e32 v57, v6
	v_cvt_f32_f16_e32 v56, v4
	v_cvt_f32_f16_sdwa v58, v4 dst_sel:DWORD dst_unused:UNUSED_PAD src0_sel:WORD_1
	s_waitcnt vmcnt(9)
	v_cvt_f32_f16_sdwa v4, v8 dst_sel:DWORD dst_unused:UNUSED_PAD src0_sel:WORD_1
	s_waitcnt vmcnt(8)
	v_cvt_f32_f16_e32 v66, v16
	v_cvt_f32_f16_sdwa v68, v16 dst_sel:DWORD dst_unused:UNUSED_PAD src0_sel:WORD_1
	s_waitcnt vmcnt(7)
	v_cvt_f32_f16_e32 v16, v12
	v_cvt_f32_f16_sdwa v72, v12 dst_sel:DWORD dst_unused:UNUSED_PAD src0_sel:WORD_1
	v_cvt_f32_f16_e32 v12, v8
	s_waitcnt vmcnt(6)
	v_cvt_f32_f16_sdwa v0, v20 dst_sel:DWORD dst_unused:UNUSED_PAD src0_sel:WORD_1
	s_waitcnt vmcnt(5)
	v_cvt_f32_f16_e32 v8, v46
	v_cvt_f32_f16_sdwa v78, v46 dst_sel:DWORD dst_unused:UNUSED_PAD src0_sel:WORD_1
	s_waitcnt vmcnt(4)
	v_cvt_f32_f16_e32 v46, v50
	v_cvt_f32_f16_sdwa v90, v50 dst_sel:DWORD dst_unused:UNUSED_PAD src0_sel:WORD_1
	v_cvt_f32_f16_e32 v50, v20
	v_cvt_f32_f16_sdwa v59, v6 dst_sel:DWORD dst_unused:UNUSED_PAD src0_sel:WORD_1
	v_cvt_f32_f16_e32 v54, v5
	v_cvt_f32_f16_e32 v55, v7
	;; [unrolled: 1-line block ×4, first 2 shown]
	v_cvt_f32_f16_sdwa v7, v7 dst_sel:DWORD dst_unused:UNUSED_PAD src0_sel:WORD_1
	v_cvt_f32_f16_sdwa v6, v5 dst_sel:DWORD dst_unused:UNUSED_PAD src0_sel:WORD_1
	;; [unrolled: 1-line block ×4, first 2 shown]
	v_cvt_f32_f16_e32 v67, v18
	v_cvt_f32_f16_sdwa v69, v18 dst_sel:DWORD dst_unused:UNUSED_PAD src0_sel:WORD_1
	v_cvt_f32_f16_e32 v70, v17
	v_cvt_f32_f16_sdwa v18, v17 dst_sel:DWORD dst_unused:UNUSED_PAD src0_sel:WORD_1
	;; [unrolled: 2-line block ×12, first 2 shown]
	v_cvt_f32_f16_e32 v71, v19
	v_cvt_f32_f16_e32 v89, v49
	v_cvt_f32_f16_sdwa v19, v19 dst_sel:DWORD dst_unused:UNUSED_PAD src0_sel:WORD_1
	v_cvt_f32_f16_sdwa v49, v49 dst_sel:DWORD dst_unused:UNUSED_PAD src0_sel:WORD_1
	v_cvt_f32_f16_e32 v75, v15
	v_cvt_f32_f16_e32 v93, v53
	v_cvt_f32_f16_sdwa v15, v15 dst_sel:DWORD dst_unused:UNUSED_PAD src0_sel:WORD_1
	v_cvt_f32_f16_sdwa v53, v53 dst_sel:DWORD dst_unused:UNUSED_PAD src0_sel:WORD_1
	;; [unrolled: 4-line block ×3, first 2 shown]
	s_waitcnt vmcnt(3)
	v_cvt_f32_f16_e32 v20, v80
	v_cvt_f32_f16_sdwa v80, v80 dst_sel:DWORD dst_unused:UNUSED_PAD src0_sel:WORD_1
	v_cvt_f32_f16_e32 v96, v81
	v_cvt_f32_f16_sdwa v98, v81 dst_sel:DWORD dst_unused:UNUSED_PAD src0_sel:WORD_1
	s_waitcnt vmcnt(2)
	v_cvt_f32_f16_e32 v100, v82
	v_pk_fma_f32 v[36:37], v[56:57], v[20:21], v[36:37] op_sel_hi:[1,0,1]
	v_pk_fma_f32 v[20:21], v[62:63], v[20:21], v[34:35] op_sel_hi:[1,0,1]
	v_cvt_f32_f16_sdwa v56, v82 dst_sel:DWORD dst_unused:UNUSED_PAD src0_sel:WORD_1
	v_pk_fma_f32 v[36:37], v[58:59], v[80:81], v[36:37] op_sel_hi:[1,0,1]
	v_pk_fma_f32 v[20:21], v[64:65], v[80:81], v[20:21] op_sel_hi:[1,0,1]
	v_cvt_f32_f16_e32 v34, v83
	v_pk_fma_f32 v[36:37], v[54:55], v[96:97], v[36:37] op_sel_hi:[1,0,1]
	v_pk_fma_f32 v[20:21], v[60:61], v[96:97], v[20:21] op_sel_hi:[1,0,1]
	v_cvt_f32_f16_sdwa v62, v83 dst_sel:DWORD dst_unused:UNUSED_PAD src0_sel:WORD_1
	v_pk_fma_f32 v[6:7], v[6:7], v[98:99], v[36:37] op_sel_hi:[1,0,1]
	v_pk_fma_f32 v[2:3], v[2:3], v[98:99], v[20:21] op_sel_hi:[1,0,1]
	s_waitcnt vmcnt(1)
	v_cvt_f32_f16_e32 v82, v84
	v_pk_fma_f32 v[6:7], v[66:67], v[100:101], v[6:7] op_sel_hi:[1,0,1]
	v_pk_fma_f32 v[2:3], v[8:9], v[100:101], v[2:3] op_sel_hi:[1,0,1]
	v_cvt_f32_f16_sdwa v58, v84 dst_sel:DWORD dst_unused:UNUSED_PAD src0_sel:WORD_1
	v_pk_fma_f32 v[6:7], v[68:69], v[56:57], v[6:7] op_sel_hi:[1,0,1]
	v_pk_fma_f32 v[2:3], v[78:79], v[56:57], v[2:3] op_sel_hi:[1,0,1]
	v_cvt_f32_f16_e32 v64, v85
	v_pk_fma_f32 v[6:7], v[70:71], v[34:35], v[6:7] op_sel_hi:[1,0,1]
	v_pk_fma_f32 v[2:3], v[88:89], v[34:35], v[2:3] op_sel_hi:[1,0,1]
	v_cvt_f32_f16_sdwa v80, v85 dst_sel:DWORD dst_unused:UNUSED_PAD src0_sel:WORD_1
	v_pk_fma_f32 v[6:7], v[18:19], v[62:63], v[6:7] op_sel_hi:[1,0,1]
	v_pk_fma_f32 v[2:3], v[48:49], v[62:63], v[2:3] op_sel_hi:[1,0,1]
	;; [unrolled: 13-line block ×3, first 2 shown]
	v_pk_fma_f32 v[6:7], v[12:13], v[84:85], v[6:7] op_sel_hi:[1,0,1]
	v_pk_fma_f32 v[2:3], v[50:51], v[84:85], v[2:3] op_sel_hi:[1,0,1]
	v_pk_fma_f32 v[4:5], v[4:5], v[54:55], v[6:7] op_sel_hi:[1,0,1]
	v_pk_fma_f32 v[0:1], v[0:1], v[54:55], v[2:3] op_sel_hi:[1,0,1]
	v_pk_fma_f32 v[2:3], v[76:77], v[60:61], v[4:5] op_sel_hi:[1,0,1]
	v_pk_fma_f32 v[0:1], v[94:95], v[60:61], v[0:1] op_sel_hi:[1,0,1]
	v_pk_fma_f32 v[36:37], v[10:11], v[86:87], v[2:3] op_sel_hi:[1,0,1]
	v_pk_fma_f32 v[34:35], v[22:23], v[86:87], v[0:1] op_sel_hi:[1,0,1]
	s_andn2_b64 exec, exec, s[18:19]
	s_cbranch_execnz .LBB98_21
; %bb.22:
	s_or_b64 exec, exec, s[18:19]
.LBB98_23:
	s_or_b64 exec, exec, s[10:11]
	v_mov_b32_e32 v27, v35
.LBB98_24:
	s_or_b64 exec, exec, s[6:7]
	v_mov_b32_e32 v35, v27
	s_cbranch_execz .LBB98_26
	s_branch .LBB98_37
.LBB98_25:
                                        ; implicit-def: $vgpr35
                                        ; implicit-def: $vgpr37
.LBB98_26:
	v_mov_b32_e32 v35, 0
	v_mov_b32_e32 v34, 0
	;; [unrolled: 1-line block ×4, first 2 shown]
	s_and_saveexec_b64 s[6:7], s[2:3]
	s_cbranch_execz .LBB98_36
; %bb.27:
	v_or_b32_e32 v0, 32, v26
	v_subrev_co_u32_e32 v0, vcc, s16, v0
	v_not_b32_e32 v3, v39
	s_nop 0
	v_subb_co_u32_e64 v1, s[2:3], 0, 0, vcc
	v_lshl_add_u64 v[0:1], v[0:1], 0, v[38:39]
	v_cmp_gt_i64_e32 vcc, v[0:1], v[30:31]
	v_not_b32_e32 v2, v38
	v_mov_b32_e32 v34, 0
	v_cndmask_b32_e32 v1, v31, v1, vcc
	v_cndmask_b32_e32 v0, v30, v0, vcc
	v_sub_co_u32_e32 v4, vcc, s16, v26
	v_mov_b32_e32 v35, v34
	s_nop 0
	v_subb_co_u32_e64 v5, s[2:3], 0, 0, vcc
	v_lshl_add_u64 v[2:3], v[4:5], 0, v[2:3]
	v_lshl_add_u64 v[0:1], v[2:3], 0, v[0:1]
	v_and_b32_e32 v2, 0x60, v0
	v_mov_b32_e32 v3, v34
	s_mov_b64 s[2:3], 0x60
	v_cmp_ne_u64_e32 vcc, s[2:3], v[2:3]
	v_mov_b64_e32 v[36:37], v[34:35]
	s_and_saveexec_b64 s[2:3], vcc
	s_cbranch_execz .LBB98_31
; %bb.28:
	v_lshrrev_b32_e32 v2, 5, v0
	v_add_u32_e32 v2, 1, v2
	v_and_b32_e32 v4, 3, v2
	v_sub_co_u32_e32 v4, vcc, 0, v4
	v_lshl_add_u64 v[2:3], v[28:29], 2, s[8:9]
	s_nop 0
	v_subb_co_u32_e64 v5, s[18:19], 0, 0, vcc
	s_mov_b64 s[10:11], 0
	s_mov_b64 s[18:19], 0x400
	;; [unrolled: 1-line block ×3, first 2 shown]
	v_mov_b32_e32 v35, v34
	v_mov_b32_e32 v36, v34
	;; [unrolled: 1-line block ×3, first 2 shown]
.LBB98_29:                              ; =>This Inner Loop Header: Depth=1
	global_load_dword v10, v[2:3], off
	global_load_dwordx4 v[6:9], v[32:33], off
	v_lshl_add_u64 v[4:5], v[4:5], 0, 1
	v_cmp_eq_u64_e32 vcc, 0, v[4:5]
	v_lshl_add_u64 v[28:29], v[28:29], 0, 32
	v_lshl_add_u64 v[2:3], v[2:3], 0, s[20:21]
	s_or_b64 s[10:11], vcc, s[10:11]
	s_waitcnt vmcnt(1)
	v_subrev_u32_e32 v10, s16, v10
	v_lshlrev_b32_e32 v10, 2, v10
	v_ashrrev_i32_e32 v11, 31, v10
	s_waitcnt lgkmcnt(0)
	v_lshl_add_u64 v[14:15], v[10:11], 1, s[4:5]
	global_load_dwordx2 v[16:17], v[14:15], off
	global_load_dwordx4 v[10:13], v[32:33], off offset:16
	s_waitcnt vmcnt(2)
	v_cvt_f32_f16_sdwa v15, v6 dst_sel:DWORD dst_unused:UNUSED_PAD src0_sel:WORD_1
	v_cvt_f32_f16_e32 v14, v6
	v_cvt_f32_f16_sdwa v19, v8 dst_sel:DWORD dst_unused:UNUSED_PAD src0_sel:WORD_1
	v_cvt_f32_f16_e32 v18, v8
	;; [unrolled: 2-line block ×4, first 2 shown]
	v_lshl_add_u64 v[32:33], v[32:33], 0, s[18:19]
	s_waitcnt vmcnt(1)
	v_cvt_f32_f16_e32 v40, v17
	s_waitcnt vmcnt(0)
	v_cvt_f32_f16_sdwa v9, v10 dst_sel:DWORD dst_unused:UNUSED_PAD src0_sel:WORD_1
	v_cvt_f32_f16_e32 v8, v10
	v_cvt_f32_f16_sdwa v23, v11 dst_sel:DWORD dst_unused:UNUSED_PAD src0_sel:WORD_1
	v_cvt_f32_f16_e32 v22, v11
	;; [unrolled: 2-line block ×3, first 2 shown]
	v_cvt_f32_f16_e32 v12, v16
	v_cvt_f32_f16_sdwa v16, v16 dst_sel:DWORD dst_unused:UNUSED_PAD src0_sel:WORD_1
	v_cvt_f32_f16_sdwa v39, v13 dst_sel:DWORD dst_unused:UNUSED_PAD src0_sel:WORD_1
	v_cvt_f32_f16_e32 v38, v13
	v_cvt_f32_f16_sdwa v42, v17 dst_sel:DWORD dst_unused:UNUSED_PAD src0_sel:WORD_1
	v_pk_fma_f32 v[14:15], v[14:15], v[12:13], v[36:37] op_sel_hi:[1,0,1]
	v_pk_fma_f32 v[12:13], v[20:21], v[12:13], v[34:35] op_sel_hi:[1,0,1]
	;; [unrolled: 1-line block ×8, first 2 shown]
	s_andn2_b64 exec, exec, s[10:11]
	s_cbranch_execnz .LBB98_29
; %bb.30:
	s_or_b64 exec, exec, s[10:11]
.LBB98_31:
	s_or_b64 exec, exec, s[2:3]
	s_mov_b64 s[2:3], 0x5f
	v_cmp_lt_u64_e32 vcc, s[2:3], v[0:1]
	s_and_saveexec_b64 s[2:3], vcc
	s_cbranch_execz .LBB98_35
; %bb.32:
	v_lshl_add_u64 v[0:1], v[28:29], 2, s[8:9]
	s_mov_b64 s[8:9], 0x100
	v_lshl_add_u64 v[20:21], v[0:1], 0, s[8:9]
	s_mov_b64 s[8:9], 0
	s_mov_b64 s[10:11], 0x1000
	;; [unrolled: 1-line block ×4, first 2 shown]
.LBB98_33:                              ; =>This Inner Loop Header: Depth=1
	global_load_dwordx4 v[4:7], v[32:33], off
	global_load_dwordx4 v[0:3], v[32:33], off offset:16
	global_load_dwordx4 v[8:11], v[32:33], off offset:1024
	;; [unrolled: 1-line block ×4, first 2 shown]
	global_load_dword v25, v[20:21], off offset:-256
	global_load_dword v27, v[20:21], off offset:-128
	global_load_dword v66, v[20:21], off
	global_load_dword v68, v[20:21], off offset:128
	global_load_dwordx4 v[38:41], v[32:33], off offset:2064
	global_load_dwordx4 v[42:45], v[32:33], off offset:3072
	;; [unrolled: 1-line block ×3, first 2 shown]
	v_lshl_add_u64 v[28:29], v[28:29], 0, s[18:19]
	v_cmp_ge_i64_e32 vcc, v[28:29], v[30:31]
	v_lshl_add_u64 v[32:33], v[32:33], 0, s[10:11]
	v_lshl_add_u64 v[20:21], v[20:21], 0, s[20:21]
	s_or_b64 s[8:9], vcc, s[8:9]
	s_waitcnt vmcnt(11)
	v_cvt_f32_f16_sdwa v23, v4 dst_sel:DWORD dst_unused:UNUSED_PAD src0_sel:WORD_1
	v_cvt_f32_f16_e32 v22, v4
	v_cvt_f32_f16_sdwa v51, v6 dst_sel:DWORD dst_unused:UNUSED_PAD src0_sel:WORD_1
	v_cvt_f32_f16_e32 v50, v6
	;; [unrolled: 2-line block ×4, first 2 shown]
	s_waitcnt vmcnt(10)
	v_cvt_f32_f16_sdwa v7, v0 dst_sel:DWORD dst_unused:UNUSED_PAD src0_sel:WORD_1
	v_cvt_f32_f16_e32 v6, v0
	v_cvt_f32_f16_sdwa v55, v1 dst_sel:DWORD dst_unused:UNUSED_PAD src0_sel:WORD_1
	v_cvt_f32_f16_e32 v54, v1
	;; [unrolled: 2-line block ×3, first 2 shown]
	s_waitcnt vmcnt(6)
	v_subrev_u32_e32 v2, s16, v25
	v_cvt_f32_f16_sdwa v57, v8 dst_sel:DWORD dst_unused:UNUSED_PAD src0_sel:WORD_1
	v_cvt_f32_f16_e32 v56, v8
	v_cvt_f32_f16_sdwa v59, v10 dst_sel:DWORD dst_unused:UNUSED_PAD src0_sel:WORD_1
	v_cvt_f32_f16_e32 v58, v10
	;; [unrolled: 2-line block ×3, first 2 shown]
	s_waitcnt vmcnt(5)
	v_subrev_u32_e32 v8, s16, v27
	s_waitcnt vmcnt(4)
	v_subrev_u32_e32 v10, s16, v66
	;; [unrolled: 2-line block ×3, first 2 shown]
	v_lshlrev_b32_e32 v68, 2, v2
	v_lshlrev_b32_e32 v70, 2, v8
	;; [unrolled: 1-line block ×4, first 2 shown]
	v_ashrrev_i32_e32 v69, 31, v68
	v_ashrrev_i32_e32 v71, 31, v70
	;; [unrolled: 1-line block ×4, first 2 shown]
	s_waitcnt lgkmcnt(0)
	v_lshl_add_u64 v[68:69], v[68:69], 1, s[4:5]
	v_lshl_add_u64 v[70:71], v[70:71], 1, s[4:5]
	;; [unrolled: 1-line block ×4, first 2 shown]
	global_load_dwordx2 v[76:77], v[68:69], off
	global_load_dwordx2 v[78:79], v[70:71], off
	;; [unrolled: 1-line block ×4, first 2 shown]
	s_waitcnt vmcnt(4)
	v_cvt_f32_f16_sdwa v87, v48 dst_sel:DWORD dst_unused:UNUSED_PAD src0_sel:WORD_1
	v_cvt_f32_f16_e32 v86, v48
	v_cvt_f32_f16_sdwa v69, v3 dst_sel:DWORD dst_unused:UNUSED_PAD src0_sel:WORD_1
	v_cvt_f32_f16_e32 v68, v3
	;; [unrolled: 2-line block ×22, first 2 shown]
	s_waitcnt vmcnt(3)
	v_cvt_f32_f16_e32 v48, v76
	v_cvt_f32_f16_sdwa v76, v76 dst_sel:DWORD dst_unused:UNUSED_PAD src0_sel:WORD_1
	v_cvt_f32_f16_e32 v90, v77
	v_cvt_f32_f16_sdwa v92, v77 dst_sel:DWORD dst_unused:UNUSED_PAD src0_sel:WORD_1
	s_waitcnt vmcnt(2)
	v_cvt_f32_f16_e32 v94, v78
	v_pk_fma_f32 v[22:23], v[22:23], v[48:49], v[36:37] op_sel_hi:[1,0,1]
	v_pk_fma_f32 v[34:35], v[52:53], v[48:49], v[34:35] op_sel_hi:[1,0,1]
	v_cvt_f32_f16_sdwa v36, v78 dst_sel:DWORD dst_unused:UNUSED_PAD src0_sel:WORD_1
	v_pk_fma_f32 v[22:23], v[50:51], v[76:77], v[22:23] op_sel_hi:[1,0,1]
	v_pk_fma_f32 v[4:5], v[4:5], v[76:77], v[34:35] op_sel_hi:[1,0,1]
	v_cvt_f32_f16_e32 v48, v79
	v_pk_fma_f32 v[6:7], v[6:7], v[90:91], v[22:23] op_sel_hi:[1,0,1]
	v_pk_fma_f32 v[4:5], v[54:55], v[90:91], v[4:5] op_sel_hi:[1,0,1]
	v_cvt_f32_f16_sdwa v52, v79 dst_sel:DWORD dst_unused:UNUSED_PAD src0_sel:WORD_1
	v_pk_fma_f32 v[0:1], v[0:1], v[92:93], v[6:7] op_sel_hi:[1,0,1]
	v_pk_fma_f32 v[4:5], v[68:69], v[92:93], v[4:5] op_sel_hi:[1,0,1]
	s_waitcnt vmcnt(1)
	v_cvt_f32_f16_e32 v78, v80
	v_pk_fma_f32 v[0:1], v[56:57], v[94:95], v[0:1] op_sel_hi:[1,0,1]
	v_pk_fma_f32 v[2:3], v[2:3], v[94:95], v[4:5] op_sel_hi:[1,0,1]
	v_cvt_f32_f16_sdwa v50, v80 dst_sel:DWORD dst_unused:UNUSED_PAD src0_sel:WORD_1
	v_pk_fma_f32 v[0:1], v[58:59], v[36:37], v[0:1] op_sel_hi:[1,0,1]
	v_pk_fma_f32 v[2:3], v[8:9], v[36:37], v[2:3] op_sel_hi:[1,0,1]
	v_cvt_f32_f16_e32 v34, v81
	v_pk_fma_f32 v[0:1], v[60:61], v[48:49], v[0:1] op_sel_hi:[1,0,1]
	v_pk_fma_f32 v[2:3], v[10:11], v[48:49], v[2:3] op_sel_hi:[1,0,1]
	v_cvt_f32_f16_sdwa v76, v81 dst_sel:DWORD dst_unused:UNUSED_PAD src0_sel:WORD_1
	v_pk_fma_f32 v[0:1], v[62:63], v[52:53], v[0:1] op_sel_hi:[1,0,1]
	v_pk_fma_f32 v[2:3], v[12:13], v[52:53], v[2:3] op_sel_hi:[1,0,1]
	s_waitcnt vmcnt(0)
	v_cvt_f32_f16_e32 v80, v82
	v_pk_fma_f32 v[0:1], v[64:65], v[78:79], v[0:1] op_sel_hi:[1,0,1]
	v_pk_fma_f32 v[2:3], v[14:15], v[78:79], v[2:3] op_sel_hi:[1,0,1]
	v_cvt_f32_f16_sdwa v22, v82 dst_sel:DWORD dst_unused:UNUSED_PAD src0_sel:WORD_1
	v_pk_fma_f32 v[0:1], v[66:67], v[50:51], v[0:1] op_sel_hi:[1,0,1]
	v_pk_fma_f32 v[2:3], v[16:17], v[50:51], v[2:3] op_sel_hi:[1,0,1]
	v_cvt_f32_f16_e32 v54, v83
	v_pk_fma_f32 v[0:1], v[18:19], v[34:35], v[0:1] op_sel_hi:[1,0,1]
	v_pk_fma_f32 v[2:3], v[72:73], v[34:35], v[2:3] op_sel_hi:[1,0,1]
	v_cvt_f32_f16_sdwa v82, v83 dst_sel:DWORD dst_unused:UNUSED_PAD src0_sel:WORD_1
	v_pk_fma_f32 v[0:1], v[70:71], v[76:77], v[0:1] op_sel_hi:[1,0,1]
	v_pk_fma_f32 v[2:3], v[38:39], v[76:77], v[2:3] op_sel_hi:[1,0,1]
	v_pk_fma_f32 v[0:1], v[40:41], v[80:81], v[0:1] op_sel_hi:[1,0,1]
	v_pk_fma_f32 v[2:3], v[74:75], v[80:81], v[2:3] op_sel_hi:[1,0,1]
	;; [unrolled: 1-line block ×8, first 2 shown]
	s_andn2_b64 exec, exec, s[8:9]
	s_cbranch_execnz .LBB98_33
; %bb.34:
	s_or_b64 exec, exec, s[8:9]
.LBB98_35:
	s_or_b64 exec, exec, s[2:3]
.LBB98_36:
	s_or_b64 exec, exec, s[6:7]
.LBB98_37:
	v_mov_b32_dpp v0, v36 row_shr:1 row_mask:0xf bank_mask:0xf
	v_mov_b32_dpp v1, v37 row_shr:1 row_mask:0xf bank_mask:0xf
	;; [unrolled: 1-line block ×4, first 2 shown]
	v_pk_add_f32 v[0:1], v[36:37], v[0:1]
	v_pk_add_f32 v[4:5], v[34:35], v[4:5]
	v_cmp_eq_u32_e32 vcc, 31, v26
	v_mov_b32_dpp v2, v0 row_shr:2 row_mask:0xf bank_mask:0xf
	v_mov_b32_dpp v3, v1 row_shr:2 row_mask:0xf bank_mask:0xf
	v_mov_b32_dpp v6, v4 row_shr:2 row_mask:0xf bank_mask:0xf
	v_mov_b32_dpp v7, v5 row_shr:2 row_mask:0xf bank_mask:0xf
	v_pk_add_f32 v[0:1], v[0:1], v[2:3]
	v_pk_add_f32 v[4:5], v[4:5], v[6:7]
	s_nop 0
	v_mov_b32_dpp v2, v0 row_shr:4 row_mask:0xf bank_mask:0xe
	v_mov_b32_dpp v3, v1 row_shr:4 row_mask:0xf bank_mask:0xe
	v_mov_b32_dpp v6, v4 row_shr:4 row_mask:0xf bank_mask:0xe
	v_mov_b32_dpp v7, v5 row_shr:4 row_mask:0xf bank_mask:0xe
	v_pk_add_f32 v[0:1], v[0:1], v[2:3]
	v_pk_add_f32 v[4:5], v[4:5], v[6:7]
	s_nop 0
	;; [unrolled: 7-line block ×3, first 2 shown]
	v_mov_b32_dpp v2, v0 row_bcast:15 row_mask:0xa bank_mask:0xf
	v_mov_b32_dpp v3, v1 row_bcast:15 row_mask:0xa bank_mask:0xf
	;; [unrolled: 1-line block ×4, first 2 shown]
	s_and_b64 exec, exec, vcc
	s_cbranch_execz .LBB98_10
; %bb.38:
	s_load_dwordx2 s[0:1], s[0:1], 0x50
	v_cmp_eq_f32_e64 s[2:3], s14, 0
	v_pk_add_f32 v[2:3], v[0:1], v[2:3]
	v_pk_add_f32 v[0:1], v[4:5], v[6:7]
	s_and_b64 vcc, exec, s[2:3]
	v_lshlrev_b32_e32 v4, 2, v24
	s_cbranch_vccz .LBB98_40
; %bb.39:
	v_ashrrev_i32_e32 v5, 31, v4
	s_waitcnt lgkmcnt(0)
	v_lshl_add_u64 v[10:11], v[4:5], 2, s[0:1]
	v_pk_mul_f32 v[6:7], s[12:13], v[2:3] op_sel_hi:[0,1]
	v_pk_mul_f32 v[8:9], s[12:13], v[0:1] op_sel_hi:[0,1]
	global_store_dwordx4 v[10:11], v[6:9], off
	s_cbranch_execnz .LBB98_10
	s_branch .LBB98_41
.LBB98_40:
.LBB98_41:
	v_ashrrev_i32_e32 v5, 31, v4
	s_waitcnt lgkmcnt(0)
	v_lshl_add_u64 v[8:9], v[4:5], 2, s[0:1]
	global_load_dwordx4 v[4:7], v[8:9], off
	v_pk_mul_f32 v[2:3], s[12:13], v[2:3] op_sel_hi:[0,1]
	v_pk_mul_f32 v[10:11], s[12:13], v[0:1] op_sel_hi:[0,1]
	s_waitcnt vmcnt(0)
	v_pk_fma_f32 v[0:1], s[14:15], v[4:5], v[2:3] op_sel_hi:[0,1,1]
	v_pk_fma_f32 v[2:3], s[14:15], v[6:7], v[10:11] op_sel_hi:[0,1,1]
	global_store_dwordx4 v[8:9], v[0:3], off
	s_endpgm
	.section	.rodata,"a",@progbits
	.p2align	6, 0x0
	.amdhsa_kernel _ZN9rocsparseL18bsrxmvn_4x4_kernelILj128ELj32EfliDF16_DF16_fEEvT3_20rocsparse_direction_NS_24const_host_device_scalarIT1_EES1_PKS1_PKT2_SA_S7_PKT4_PKT5_S5_PT6_21rocsparse_index_base_b
		.amdhsa_group_segment_fixed_size 0
		.amdhsa_private_segment_fixed_size 0
		.amdhsa_kernarg_size 96
		.amdhsa_user_sgpr_count 2
		.amdhsa_user_sgpr_dispatch_ptr 0
		.amdhsa_user_sgpr_queue_ptr 0
		.amdhsa_user_sgpr_kernarg_segment_ptr 1
		.amdhsa_user_sgpr_dispatch_id 0
		.amdhsa_user_sgpr_kernarg_preload_length 0
		.amdhsa_user_sgpr_kernarg_preload_offset 0
		.amdhsa_user_sgpr_private_segment_size 0
		.amdhsa_uses_dynamic_stack 0
		.amdhsa_enable_private_segment 0
		.amdhsa_system_sgpr_workgroup_id_x 1
		.amdhsa_system_sgpr_workgroup_id_y 0
		.amdhsa_system_sgpr_workgroup_id_z 0
		.amdhsa_system_sgpr_workgroup_info 0
		.amdhsa_system_vgpr_workitem_id 0
		.amdhsa_next_free_vgpr 102
		.amdhsa_next_free_sgpr 26
		.amdhsa_accum_offset 104
		.amdhsa_reserve_vcc 1
		.amdhsa_float_round_mode_32 0
		.amdhsa_float_round_mode_16_64 0
		.amdhsa_float_denorm_mode_32 3
		.amdhsa_float_denorm_mode_16_64 3
		.amdhsa_dx10_clamp 1
		.amdhsa_ieee_mode 1
		.amdhsa_fp16_overflow 0
		.amdhsa_tg_split 0
		.amdhsa_exception_fp_ieee_invalid_op 0
		.amdhsa_exception_fp_denorm_src 0
		.amdhsa_exception_fp_ieee_div_zero 0
		.amdhsa_exception_fp_ieee_overflow 0
		.amdhsa_exception_fp_ieee_underflow 0
		.amdhsa_exception_fp_ieee_inexact 0
		.amdhsa_exception_int_div_zero 0
	.end_amdhsa_kernel
	.section	.text._ZN9rocsparseL18bsrxmvn_4x4_kernelILj128ELj32EfliDF16_DF16_fEEvT3_20rocsparse_direction_NS_24const_host_device_scalarIT1_EES1_PKS1_PKT2_SA_S7_PKT4_PKT5_S5_PT6_21rocsparse_index_base_b,"axG",@progbits,_ZN9rocsparseL18bsrxmvn_4x4_kernelILj128ELj32EfliDF16_DF16_fEEvT3_20rocsparse_direction_NS_24const_host_device_scalarIT1_EES1_PKS1_PKT2_SA_S7_PKT4_PKT5_S5_PT6_21rocsparse_index_base_b,comdat
.Lfunc_end98:
	.size	_ZN9rocsparseL18bsrxmvn_4x4_kernelILj128ELj32EfliDF16_DF16_fEEvT3_20rocsparse_direction_NS_24const_host_device_scalarIT1_EES1_PKS1_PKT2_SA_S7_PKT4_PKT5_S5_PT6_21rocsparse_index_base_b, .Lfunc_end98-_ZN9rocsparseL18bsrxmvn_4x4_kernelILj128ELj32EfliDF16_DF16_fEEvT3_20rocsparse_direction_NS_24const_host_device_scalarIT1_EES1_PKS1_PKT2_SA_S7_PKT4_PKT5_S5_PT6_21rocsparse_index_base_b
                                        ; -- End function
	.set _ZN9rocsparseL18bsrxmvn_4x4_kernelILj128ELj32EfliDF16_DF16_fEEvT3_20rocsparse_direction_NS_24const_host_device_scalarIT1_EES1_PKS1_PKT2_SA_S7_PKT4_PKT5_S5_PT6_21rocsparse_index_base_b.num_vgpr, 102
	.set _ZN9rocsparseL18bsrxmvn_4x4_kernelILj128ELj32EfliDF16_DF16_fEEvT3_20rocsparse_direction_NS_24const_host_device_scalarIT1_EES1_PKS1_PKT2_SA_S7_PKT4_PKT5_S5_PT6_21rocsparse_index_base_b.num_agpr, 0
	.set _ZN9rocsparseL18bsrxmvn_4x4_kernelILj128ELj32EfliDF16_DF16_fEEvT3_20rocsparse_direction_NS_24const_host_device_scalarIT1_EES1_PKS1_PKT2_SA_S7_PKT4_PKT5_S5_PT6_21rocsparse_index_base_b.numbered_sgpr, 26
	.set _ZN9rocsparseL18bsrxmvn_4x4_kernelILj128ELj32EfliDF16_DF16_fEEvT3_20rocsparse_direction_NS_24const_host_device_scalarIT1_EES1_PKS1_PKT2_SA_S7_PKT4_PKT5_S5_PT6_21rocsparse_index_base_b.num_named_barrier, 0
	.set _ZN9rocsparseL18bsrxmvn_4x4_kernelILj128ELj32EfliDF16_DF16_fEEvT3_20rocsparse_direction_NS_24const_host_device_scalarIT1_EES1_PKS1_PKT2_SA_S7_PKT4_PKT5_S5_PT6_21rocsparse_index_base_b.private_seg_size, 0
	.set _ZN9rocsparseL18bsrxmvn_4x4_kernelILj128ELj32EfliDF16_DF16_fEEvT3_20rocsparse_direction_NS_24const_host_device_scalarIT1_EES1_PKS1_PKT2_SA_S7_PKT4_PKT5_S5_PT6_21rocsparse_index_base_b.uses_vcc, 1
	.set _ZN9rocsparseL18bsrxmvn_4x4_kernelILj128ELj32EfliDF16_DF16_fEEvT3_20rocsparse_direction_NS_24const_host_device_scalarIT1_EES1_PKS1_PKT2_SA_S7_PKT4_PKT5_S5_PT6_21rocsparse_index_base_b.uses_flat_scratch, 0
	.set _ZN9rocsparseL18bsrxmvn_4x4_kernelILj128ELj32EfliDF16_DF16_fEEvT3_20rocsparse_direction_NS_24const_host_device_scalarIT1_EES1_PKS1_PKT2_SA_S7_PKT4_PKT5_S5_PT6_21rocsparse_index_base_b.has_dyn_sized_stack, 0
	.set _ZN9rocsparseL18bsrxmvn_4x4_kernelILj128ELj32EfliDF16_DF16_fEEvT3_20rocsparse_direction_NS_24const_host_device_scalarIT1_EES1_PKS1_PKT2_SA_S7_PKT4_PKT5_S5_PT6_21rocsparse_index_base_b.has_recursion, 0
	.set _ZN9rocsparseL18bsrxmvn_4x4_kernelILj128ELj32EfliDF16_DF16_fEEvT3_20rocsparse_direction_NS_24const_host_device_scalarIT1_EES1_PKS1_PKT2_SA_S7_PKT4_PKT5_S5_PT6_21rocsparse_index_base_b.has_indirect_call, 0
	.section	.AMDGPU.csdata,"",@progbits
; Kernel info:
; codeLenInByte = 4172
; TotalNumSgprs: 32
; NumVgprs: 102
; NumAgprs: 0
; TotalNumVgprs: 102
; ScratchSize: 0
; MemoryBound: 0
; FloatMode: 240
; IeeeMode: 1
; LDSByteSize: 0 bytes/workgroup (compile time only)
; SGPRBlocks: 3
; VGPRBlocks: 12
; NumSGPRsForWavesPerEU: 32
; NumVGPRsForWavesPerEU: 102
; AccumOffset: 104
; Occupancy: 4
; WaveLimiterHint : 1
; COMPUTE_PGM_RSRC2:SCRATCH_EN: 0
; COMPUTE_PGM_RSRC2:USER_SGPR: 2
; COMPUTE_PGM_RSRC2:TRAP_HANDLER: 0
; COMPUTE_PGM_RSRC2:TGID_X_EN: 1
; COMPUTE_PGM_RSRC2:TGID_Y_EN: 0
; COMPUTE_PGM_RSRC2:TGID_Z_EN: 0
; COMPUTE_PGM_RSRC2:TIDIG_COMP_CNT: 0
; COMPUTE_PGM_RSRC3_GFX90A:ACCUM_OFFSET: 25
; COMPUTE_PGM_RSRC3_GFX90A:TG_SPLIT: 0
	.section	.text._ZN9rocsparseL18bsrxmvn_4x4_kernelILj128ELj64EfliDF16_DF16_fEEvT3_20rocsparse_direction_NS_24const_host_device_scalarIT1_EES1_PKS1_PKT2_SA_S7_PKT4_PKT5_S5_PT6_21rocsparse_index_base_b,"axG",@progbits,_ZN9rocsparseL18bsrxmvn_4x4_kernelILj128ELj64EfliDF16_DF16_fEEvT3_20rocsparse_direction_NS_24const_host_device_scalarIT1_EES1_PKS1_PKT2_SA_S7_PKT4_PKT5_S5_PT6_21rocsparse_index_base_b,comdat
	.globl	_ZN9rocsparseL18bsrxmvn_4x4_kernelILj128ELj64EfliDF16_DF16_fEEvT3_20rocsparse_direction_NS_24const_host_device_scalarIT1_EES1_PKS1_PKT2_SA_S7_PKT4_PKT5_S5_PT6_21rocsparse_index_base_b ; -- Begin function _ZN9rocsparseL18bsrxmvn_4x4_kernelILj128ELj64EfliDF16_DF16_fEEvT3_20rocsparse_direction_NS_24const_host_device_scalarIT1_EES1_PKS1_PKT2_SA_S7_PKT4_PKT5_S5_PT6_21rocsparse_index_base_b
	.p2align	8
	.type	_ZN9rocsparseL18bsrxmvn_4x4_kernelILj128ELj64EfliDF16_DF16_fEEvT3_20rocsparse_direction_NS_24const_host_device_scalarIT1_EES1_PKS1_PKT2_SA_S7_PKT4_PKT5_S5_PT6_21rocsparse_index_base_b,@function
_ZN9rocsparseL18bsrxmvn_4x4_kernelILj128ELj64EfliDF16_DF16_fEEvT3_20rocsparse_direction_NS_24const_host_device_scalarIT1_EES1_PKS1_PKT2_SA_S7_PKT4_PKT5_S5_PT6_21rocsparse_index_base_b: ; @_ZN9rocsparseL18bsrxmvn_4x4_kernelILj128ELj64EfliDF16_DF16_fEEvT3_20rocsparse_direction_NS_24const_host_device_scalarIT1_EES1_PKS1_PKT2_SA_S7_PKT4_PKT5_S5_PT6_21rocsparse_index_base_b
; %bb.0:
	s_load_dwordx2 s[16:17], s[0:1], 0x58
	s_load_dwordx2 s[12:13], s[0:1], 0x8
	s_load_dwordx2 s[14:15], s[0:1], 0x48
	s_waitcnt lgkmcnt(0)
	s_bitcmp1_b32 s17, 0
	s_cselect_b64 s[6:7], -1, 0
	s_xor_b64 s[4:5], s[6:7], -1
	s_and_b64 vcc, exec, s[6:7]
	s_cbranch_vccnz .LBB99_2
; %bb.1:
	s_load_dword s12, s[12:13], 0x0
.LBB99_2:
	s_andn2_b64 vcc, exec, s[4:5]
	s_cbranch_vccnz .LBB99_4
; %bb.3:
	s_load_dword s14, s[14:15], 0x0
.LBB99_4:
	s_waitcnt lgkmcnt(0)
	v_cmp_neq_f32_e64 s[4:5], s12, 0
	v_cmp_neq_f32_e64 s[6:7], s14, 1.0
	s_or_b64 s[4:5], s[4:5], s[6:7]
	s_andn2_b64 vcc, exec, s[4:5]
	s_cbranch_vccnz .LBB99_10
; %bb.5:
	s_load_dwordx2 s[4:5], s[0:1], 0x18
	s_load_dwordx2 s[18:19], s[0:1], 0x0
	v_lshrrev_b32_e32 v1, 6, v0
	v_lshl_or_b32 v20, s2, 1, v1
	s_mov_b64 s[2:3], 0
	s_waitcnt lgkmcnt(0)
	s_cmp_lg_u64 s[4:5], 0
	s_cbranch_scc0 .LBB99_11
; %bb.6:
	s_load_dword s6, s[0:1], 0x10
                                        ; implicit-def: $vgpr1
	s_waitcnt lgkmcnt(0)
	v_cmp_gt_i32_e32 vcc, s6, v20
	s_and_saveexec_b64 s[6:7], vcc
	s_xor_b64 s[6:7], exec, s[6:7]
	s_cbranch_execz .LBB99_8
; %bb.7:
	v_ashrrev_i32_e32 v21, 31, v20
	v_lshl_add_u64 v[2:3], v[20:21], 2, s[4:5]
	global_load_dword v1, v[2:3], off
	s_mov_b64 s[2:3], exec
	s_waitcnt vmcnt(0)
	v_subrev_u32_e32 v1, s16, v1
.LBB99_8:
	s_or_b64 exec, exec, s[6:7]
	s_branch .LBB99_12
.LBB99_9:
	v_cmp_gt_i32_e32 vcc, s18, v20
	s_andn2_b64 s[2:3], s[2:3], exec
	s_and_b64 s[4:5], vcc, exec
	s_or_b64 s[2:3], s[2:3], s[4:5]
	s_and_saveexec_b64 s[4:5], s[2:3]
	s_cbranch_execnz .LBB99_13
.LBB99_10:
	s_endpgm
.LBB99_11:
                                        ; implicit-def: $vgpr1
	s_cbranch_execnz .LBB99_9
.LBB99_12:
	v_mov_b32_e32 v20, v1
	s_and_saveexec_b64 s[4:5], s[2:3]
	s_cbranch_execz .LBB99_10
.LBB99_13:
	s_load_dwordx8 s[4:11], s[0:1], 0x20
	v_ashrrev_i32_e32 v21, 31, v20
	v_lshlrev_b64 v[2:3], 3, v[20:21]
	v_and_b32_e32 v22, 63, v0
	v_mov_b32_e32 v23, 0
	s_waitcnt lgkmcnt(0)
	v_lshl_add_u64 v[4:5], s[4:5], 0, v[2:3]
	s_cmp_eq_u64 s[6:7], 0
	v_lshl_add_u64 v[2:3], s[6:7], 0, v[2:3]
	global_load_dwordx2 v[34:35], v[4:5], off
	v_lshl_add_u64 v[4:5], v[4:5], 0, 8
	s_cselect_b64 vcc, -1, 0
	v_cndmask_b32_e32 v3, v3, v5, vcc
	v_cndmask_b32_e32 v2, v2, v4, vcc
	global_load_dwordx2 v[2:3], v[2:3], off
	s_load_dwordx2 s[4:5], s[0:1], 0x40
	s_cmp_eq_u32 s19, 1
	s_waitcnt vmcnt(1)
	v_subrev_co_u32_e32 v0, vcc, s16, v34
	s_nop 1
	v_subbrev_co_u32_e32 v1, vcc, 0, v35, vcc
	v_lshl_add_u64 v[24:25], v[0:1], 0, v[22:23]
	s_waitcnt vmcnt(0)
	v_subrev_co_u32_e32 v26, vcc, s16, v2
	v_lshlrev_b64 v[0:1], 5, v[24:25]
	s_nop 0
	v_subbrev_co_u32_e32 v27, vcc, 0, v3, vcc
	v_lshl_add_u64 v[28:29], s[10:11], 0, v[0:1]
	v_cmp_lt_i64_e64 s[2:3], v[24:25], v[26:27]
	s_cbranch_scc1 .LBB99_25
; %bb.14:
	v_mov_b32_e32 v30, v23
	v_mov_b32_e32 v33, v23
	;; [unrolled: 1-line block ×3, first 2 shown]
	s_and_saveexec_b64 s[6:7], s[2:3]
	s_cbranch_execz .LBB99_24
; %bb.15:
	v_or_b32_e32 v0, 64, v22
	v_subrev_co_u32_e32 v0, vcc, s16, v0
	v_not_b32_e32 v3, v35
	s_nop 0
	v_subb_co_u32_e64 v1, s[10:11], 0, 0, vcc
	v_lshl_add_u64 v[0:1], v[0:1], 0, v[34:35]
	v_cmp_gt_i64_e32 vcc, v[0:1], v[26:27]
	v_not_b32_e32 v2, v34
	v_mov_b32_e32 v30, 0
	v_cndmask_b32_e32 v1, v27, v1, vcc
	v_cndmask_b32_e32 v0, v26, v0, vcc
	v_sub_co_u32_e32 v4, vcc, s16, v22
	v_mov_b32_e32 v31, v30
	s_nop 0
	v_subb_co_u32_e64 v5, s[10:11], 0, 0, vcc
	v_lshl_add_u64 v[2:3], v[4:5], 0, v[2:3]
	v_lshl_add_u64 v[0:1], v[2:3], 0, v[0:1]
	v_and_b32_e32 v2, 0xc0, v0
	v_mov_b32_e32 v3, v30
	s_mov_b64 s[10:11], 0xc0
	v_cmp_ne_u64_e32 vcc, s[10:11], v[2:3]
	v_mov_b64_e32 v[32:33], v[30:31]
	v_mov_b64_e32 v[36:37], v[24:25]
	;; [unrolled: 1-line block ×3, first 2 shown]
	s_and_saveexec_b64 s[10:11], vcc
	s_cbranch_execz .LBB99_19
; %bb.16:
	v_lshrrev_b32_e32 v2, 6, v0
	v_add_u32_e32 v2, 1, v2
	v_and_b32_e32 v2, 3, v2
	v_sub_co_u32_e32 v4, vcc, 0, v2
	s_mov_b64 s[18:19], 0
	s_nop 0
	v_subb_co_u32_e64 v5, s[20:21], 0, 0, vcc
	v_lshl_add_u64 v[6:7], v[24:25], 2, s[8:9]
	s_mov_b64 s[20:21], 0x800
	s_mov_b64 s[22:23], 0x100
	v_mov_b64_e32 v[2:3], v[28:29]
	v_mov_b64_e32 v[36:37], v[24:25]
	v_mov_b32_e32 v31, v30
	v_mov_b32_e32 v32, v30
	;; [unrolled: 1-line block ×3, first 2 shown]
.LBB99_17:                              ; =>This Inner Loop Header: Depth=1
	global_load_dword v16, v[6:7], off
	global_load_dwordx4 v[8:11], v[2:3], off
	global_load_dwordx4 v[12:15], v[2:3], off offset:16
	v_lshl_add_u64 v[4:5], v[4:5], 0, 1
	v_cmp_eq_u64_e32 vcc, 0, v[4:5]
	v_lshl_add_u64 v[2:3], v[2:3], 0, s[20:21]
	v_lshl_add_u64 v[36:37], v[36:37], 0, 64
	;; [unrolled: 1-line block ×3, first 2 shown]
	s_or_b64 s[18:19], vcc, s[18:19]
	s_waitcnt vmcnt(2)
	v_subrev_u32_e32 v16, s16, v16
	v_lshlrev_b32_e32 v16, 2, v16
	v_ashrrev_i32_e32 v17, 31, v16
	s_waitcnt lgkmcnt(0)
	v_lshl_add_u64 v[16:17], v[16:17], 1, s[4:5]
	global_load_dwordx2 v[16:17], v[16:17], off
	s_waitcnt vmcnt(2)
	v_cvt_f32_f16_e32 v39, v10
	v_cvt_f32_f16_e32 v38, v8
	v_cvt_f32_f16_sdwa v41, v10 dst_sel:DWORD dst_unused:UNUSED_PAD src0_sel:WORD_1
	v_cvt_f32_f16_e32 v43, v11
	v_cvt_f32_f16_sdwa v19, v11 dst_sel:DWORD dst_unused:UNUSED_PAD src0_sel:WORD_1
	s_waitcnt vmcnt(1)
	v_cvt_f32_f16_e32 v11, v14
	v_cvt_f32_f16_e32 v10, v12
	v_cvt_f32_f16_sdwa v44, v12 dst_sel:DWORD dst_unused:UNUSED_PAD src0_sel:WORD_1
	v_cvt_f32_f16_sdwa v40, v8 dst_sel:DWORD dst_unused:UNUSED_PAD src0_sel:WORD_1
	;; [unrolled: 1-line block ×3, first 2 shown]
	v_cvt_f32_f16_e32 v42, v9
	v_cvt_f32_f16_e32 v47, v15
	;; [unrolled: 1-line block ×3, first 2 shown]
	v_cvt_f32_f16_sdwa v18, v9 dst_sel:DWORD dst_unused:UNUSED_PAD src0_sel:WORD_1
	v_cvt_f32_f16_sdwa v8, v13 dst_sel:DWORD dst_unused:UNUSED_PAD src0_sel:WORD_1
	;; [unrolled: 1-line block ×3, first 2 shown]
	s_waitcnt vmcnt(0)
	v_cvt_f32_f16_e32 v12, v16
	v_cvt_f32_f16_sdwa v14, v16 dst_sel:DWORD dst_unused:UNUSED_PAD src0_sel:WORD_1
	v_cvt_f32_f16_e32 v16, v17
	v_cvt_f32_f16_sdwa v48, v17 dst_sel:DWORD dst_unused:UNUSED_PAD src0_sel:WORD_1
	v_pk_fma_f32 v[32:33], v[38:39], v[12:13], v[32:33] op_sel_hi:[1,0,1]
	v_pk_fma_f32 v[10:11], v[10:11], v[12:13], v[30:31] op_sel_hi:[1,0,1]
	;; [unrolled: 1-line block ×8, first 2 shown]
	s_andn2_b64 exec, exec, s[18:19]
	s_cbranch_execnz .LBB99_17
; %bb.18:
	s_or_b64 exec, exec, s[18:19]
.LBB99_19:
	s_or_b64 exec, exec, s[10:11]
	s_mov_b64 s[10:11], 0xbf
	v_cmp_lt_u64_e32 vcc, s[10:11], v[0:1]
	s_and_saveexec_b64 s[10:11], vcc
	s_cbranch_execz .LBB99_23
; %bb.20:
	s_mov_b64 s[18:19], 0x1000
	v_lshl_add_u64 v[38:39], v[2:3], 0, s[18:19]
	v_lshl_add_u64 v[0:1], v[36:37], 2, s[8:9]
	s_mov_b64 s[18:19], 0x200
	v_lshl_add_u64 v[40:41], v[0:1], 0, s[18:19]
	s_mov_b64 s[18:19], 0
	s_mov_b64 s[20:21], 0x100
	;; [unrolled: 1-line block ×4, first 2 shown]
.LBB99_21:                              ; =>This Inner Loop Header: Depth=1
	global_load_dword v21, v[40:41], off offset:-512
	global_load_dwordx4 v[0:3], v[38:39], off offset:-4096
	global_load_dwordx4 v[4:7], v[38:39], off offset:-4080
	global_load_dword v23, v[40:41], off offset:-256
	global_load_dword v66, v[40:41], off
	global_load_dword v67, v[40:41], off offset:256
	global_load_dwordx4 v[8:11], v[38:39], off offset:2048
	global_load_dwordx4 v[12:15], v[38:39], off offset:-2048
	global_load_dwordx4 v[16:19], v[38:39], off offset:2064
	global_load_dwordx4 v[42:45], v[38:39], off offset:-2032
	global_load_dwordx4 v[46:49], v[38:39], off
	global_load_dwordx4 v[50:53], v[38:39], off offset:16
	v_lshl_add_u64 v[36:37], v[36:37], 0, s[20:21]
	v_cmp_ge_i64_e32 vcc, v[36:37], v[26:27]
	v_lshl_add_u64 v[38:39], v[38:39], 0, s[22:23]
	v_lshl_add_u64 v[40:41], v[40:41], 0, s[24:25]
	s_or_b64 s[18:19], vcc, s[18:19]
	s_waitcnt vmcnt(11)
	v_subrev_u32_e32 v21, s16, v21
	s_waitcnt vmcnt(10)
	v_cvt_f32_f16_e32 v56, v0
	v_cvt_f32_f16_sdwa v58, v0 dst_sel:DWORD dst_unused:UNUSED_PAD src0_sel:WORD_1
	v_cvt_f32_f16_e32 v61, v3
	v_cvt_f32_f16_sdwa v55, v3 dst_sel:DWORD dst_unused:UNUSED_PAD src0_sel:WORD_1
	s_waitcnt vmcnt(9)
	v_cvt_f32_f16_sdwa v0, v5 dst_sel:DWORD dst_unused:UNUSED_PAD src0_sel:WORD_1
	v_cvt_f32_f16_e32 v3, v6
	v_cvt_f32_f16_sdwa v63, v6 dst_sel:DWORD dst_unused:UNUSED_PAD src0_sel:WORD_1
	v_cvt_f32_f16_e32 v64, v5
	s_waitcnt vmcnt(8)
	v_subrev_u32_e32 v5, s16, v23
	s_waitcnt vmcnt(7)
	v_subrev_u32_e32 v23, s16, v66
	;; [unrolled: 2-line block ×3, first 2 shown]
	s_waitcnt vmcnt(4)
	v_cvt_f32_f16_e32 v6, v12
	v_cvt_f32_f16_sdwa v66, v12 dst_sel:DWORD dst_unused:UNUSED_PAD src0_sel:WORD_1
	v_lshlrev_b32_e32 v12, 2, v21
	v_cvt_f32_f16_sdwa v54, v1 dst_sel:DWORD dst_unused:UNUSED_PAD src0_sel:WORD_1
	v_cvt_f32_f16_e32 v60, v1
	v_cvt_f32_f16_e32 v65, v7
	v_cvt_f32_f16_sdwa v1, v7 dst_sel:DWORD dst_unused:UNUSED_PAD src0_sel:WORD_1
	v_cvt_f32_f16_e32 v7, v14
	v_cvt_f32_f16_sdwa v67, v14 dst_sel:DWORD dst_unused:UNUSED_PAD src0_sel:WORD_1
	;; [unrolled: 2-line block ×3, first 2 shown]
	v_lshlrev_b32_e32 v70, 2, v5
	v_lshlrev_b32_e32 v72, 2, v23
	;; [unrolled: 1-line block ×3, first 2 shown]
	v_ashrrev_i32_e32 v13, 31, v12
	v_ashrrev_i32_e32 v71, 31, v70
	;; [unrolled: 1-line block ×4, first 2 shown]
	s_waitcnt lgkmcnt(0)
	v_lshl_add_u64 v[12:13], v[12:13], 1, s[4:5]
	v_lshl_add_u64 v[70:71], v[70:71], 1, s[4:5]
	;; [unrolled: 1-line block ×4, first 2 shown]
	global_load_dwordx2 v[76:77], v[12:13], off
	global_load_dwordx2 v[78:79], v[70:71], off
	;; [unrolled: 1-line block ×4, first 2 shown]
	v_cvt_f32_f16_e32 v57, v2
	v_cvt_f32_f16_sdwa v59, v2 dst_sel:DWORD dst_unused:UNUSED_PAD src0_sel:WORD_1
	v_cvt_f32_f16_e32 v2, v4
	s_waitcnt vmcnt(6)
	v_cvt_f32_f16_e32 v84, v42
	v_cvt_f32_f16_sdwa v86, v42 dst_sel:DWORD dst_unused:UNUSED_PAD src0_sel:WORD_1
	s_waitcnt vmcnt(4)
	v_cvt_f32_f16_e32 v42, v50
	v_cvt_f32_f16_sdwa v90, v50 dst_sel:DWORD dst_unused:UNUSED_PAD src0_sel:WORD_1
	v_cvt_f32_f16_e32 v50, v16
	v_cvt_f32_f16_sdwa v94, v16 dst_sel:DWORD dst_unused:UNUSED_PAD src0_sel:WORD_1
	v_cvt_f32_f16_sdwa v62, v4 dst_sel:DWORD dst_unused:UNUSED_PAD src0_sel:WORD_1
	v_cvt_f32_f16_e32 v85, v44
	v_cvt_f32_f16_sdwa v87, v44 dst_sel:DWORD dst_unused:UNUSED_PAD src0_sel:WORD_1
	v_cvt_f32_f16_e32 v69, v15
	v_cvt_f32_f16_e32 v89, v45
	;; [unrolled: 1-line block ×3, first 2 shown]
	v_cvt_f32_f16_sdwa v15, v15 dst_sel:DWORD dst_unused:UNUSED_PAD src0_sel:WORD_1
	v_cvt_f32_f16_sdwa v45, v45 dst_sel:DWORD dst_unused:UNUSED_PAD src0_sel:WORD_1
	;; [unrolled: 1-line block ×3, first 2 shown]
	v_cvt_f32_f16_e32 v13, v48
	v_cvt_f32_f16_e32 v12, v46
	;; [unrolled: 1-line block ×3, first 2 shown]
	v_cvt_f32_f16_sdwa v71, v48 dst_sel:DWORD dst_unused:UNUSED_PAD src0_sel:WORD_1
	v_cvt_f32_f16_sdwa v70, v46 dst_sel:DWORD dst_unused:UNUSED_PAD src0_sel:WORD_1
	;; [unrolled: 1-line block ×3, first 2 shown]
	v_cvt_f32_f16_e32 v73, v49
	v_cvt_f32_f16_e32 v72, v47
	v_cvt_f32_f16_e32 v93, v53
	v_cvt_f32_f16_e32 v92, v51
	v_cvt_f32_f16_sdwa v49, v49 dst_sel:DWORD dst_unused:UNUSED_PAD src0_sel:WORD_1
	v_cvt_f32_f16_sdwa v48, v47 dst_sel:DWORD dst_unused:UNUSED_PAD src0_sel:WORD_1
	;; [unrolled: 1-line block ×4, first 2 shown]
	v_cvt_f32_f16_e32 v47, v10
	v_cvt_f32_f16_e32 v46, v8
	v_cvt_f32_f16_e32 v51, v18
	v_cvt_f32_f16_sdwa v75, v10 dst_sel:DWORD dst_unused:UNUSED_PAD src0_sel:WORD_1
	v_cvt_f32_f16_sdwa v74, v8 dst_sel:DWORD dst_unused:UNUSED_PAD src0_sel:WORD_1
	;; [unrolled: 1-line block ×3, first 2 shown]
	v_cvt_f32_f16_e32 v4, v9
	v_cvt_f32_f16_e32 v5, v11
	v_cvt_f32_f16_sdwa v10, v9 dst_sel:DWORD dst_unused:UNUSED_PAD src0_sel:WORD_1
	v_cvt_f32_f16_e32 v8, v17
	v_cvt_f32_f16_e32 v9, v19
	v_cvt_f32_f16_sdwa v11, v11 dst_sel:DWORD dst_unused:UNUSED_PAD src0_sel:WORD_1
	v_cvt_f32_f16_sdwa v19, v19 dst_sel:DWORD dst_unused:UNUSED_PAD src0_sel:WORD_1
	;; [unrolled: 1-line block ×3, first 2 shown]
	s_waitcnt vmcnt(3)
	v_cvt_f32_f16_e32 v16, v76
	v_cvt_f32_f16_sdwa v76, v76 dst_sel:DWORD dst_unused:UNUSED_PAD src0_sel:WORD_1
	v_cvt_f32_f16_e32 v96, v77
	v_cvt_f32_f16_sdwa v98, v77 dst_sel:DWORD dst_unused:UNUSED_PAD src0_sel:WORD_1
	s_waitcnt vmcnt(2)
	v_cvt_f32_f16_e32 v100, v78
	v_pk_fma_f32 v[32:33], v[56:57], v[16:17], v[32:33] op_sel_hi:[1,0,1]
	v_pk_fma_f32 v[2:3], v[2:3], v[16:17], v[30:31] op_sel_hi:[1,0,1]
	v_cvt_f32_f16_sdwa v56, v78 dst_sel:DWORD dst_unused:UNUSED_PAD src0_sel:WORD_1
	v_pk_fma_f32 v[32:33], v[58:59], v[76:77], v[32:33] op_sel_hi:[1,0,1]
	v_pk_fma_f32 v[2:3], v[62:63], v[76:77], v[2:3] op_sel_hi:[1,0,1]
	v_cvt_f32_f16_e32 v16, v79
	v_pk_fma_f32 v[32:33], v[60:61], v[96:97], v[32:33] op_sel_hi:[1,0,1]
	v_pk_fma_f32 v[2:3], v[64:65], v[96:97], v[2:3] op_sel_hi:[1,0,1]
	v_cvt_f32_f16_sdwa v30, v79 dst_sel:DWORD dst_unused:UNUSED_PAD src0_sel:WORD_1
	v_pk_fma_f32 v[32:33], v[54:55], v[98:99], v[32:33] op_sel_hi:[1,0,1]
	v_pk_fma_f32 v[0:1], v[0:1], v[98:99], v[2:3] op_sel_hi:[1,0,1]
	s_waitcnt vmcnt(1)
	v_cvt_f32_f16_e32 v78, v80
	v_pk_fma_f32 v[2:3], v[6:7], v[100:101], v[32:33] op_sel_hi:[1,0,1]
	v_pk_fma_f32 v[0:1], v[84:85], v[100:101], v[0:1] op_sel_hi:[1,0,1]
	v_cvt_f32_f16_sdwa v58, v80 dst_sel:DWORD dst_unused:UNUSED_PAD src0_sel:WORD_1
	v_pk_fma_f32 v[2:3], v[66:67], v[56:57], v[2:3] op_sel_hi:[1,0,1]
	v_pk_fma_f32 v[0:1], v[86:87], v[56:57], v[0:1] op_sel_hi:[1,0,1]
	v_cvt_f32_f16_e32 v62, v81
	v_pk_fma_f32 v[2:3], v[68:69], v[16:17], v[2:3] op_sel_hi:[1,0,1]
	v_pk_fma_f32 v[0:1], v[88:89], v[16:17], v[0:1] op_sel_hi:[1,0,1]
	v_cvt_f32_f16_sdwa v76, v81 dst_sel:DWORD dst_unused:UNUSED_PAD src0_sel:WORD_1
	v_pk_fma_f32 v[2:3], v[14:15], v[30:31], v[2:3] op_sel_hi:[1,0,1]
	v_pk_fma_f32 v[0:1], v[44:45], v[30:31], v[0:1] op_sel_hi:[1,0,1]
	;; [unrolled: 13-line block ×3, first 2 shown]
	v_pk_fma_f32 v[2:3], v[46:47], v[80:81], v[2:3] op_sel_hi:[1,0,1]
	v_pk_fma_f32 v[0:1], v[50:51], v[80:81], v[0:1] op_sel_hi:[1,0,1]
	;; [unrolled: 1-line block ×8, first 2 shown]
	s_andn2_b64 exec, exec, s[18:19]
	s_cbranch_execnz .LBB99_21
; %bb.22:
	s_or_b64 exec, exec, s[18:19]
.LBB99_23:
	s_or_b64 exec, exec, s[10:11]
	v_mov_b32_e32 v23, v31
.LBB99_24:
	s_or_b64 exec, exec, s[6:7]
	v_mov_b32_e32 v31, v23
	s_cbranch_execz .LBB99_26
	s_branch .LBB99_37
.LBB99_25:
                                        ; implicit-def: $vgpr31
                                        ; implicit-def: $vgpr33
.LBB99_26:
	v_mov_b32_e32 v31, 0
	v_mov_b32_e32 v30, 0
	;; [unrolled: 1-line block ×4, first 2 shown]
	s_and_saveexec_b64 s[6:7], s[2:3]
	s_cbranch_execz .LBB99_36
; %bb.27:
	v_or_b32_e32 v0, 64, v22
	v_subrev_co_u32_e32 v0, vcc, s16, v0
	v_not_b32_e32 v3, v35
	s_nop 0
	v_subb_co_u32_e64 v1, s[2:3], 0, 0, vcc
	v_lshl_add_u64 v[0:1], v[0:1], 0, v[34:35]
	v_cmp_gt_i64_e32 vcc, v[0:1], v[26:27]
	v_not_b32_e32 v2, v34
	v_mov_b32_e32 v30, 0
	v_cndmask_b32_e32 v1, v27, v1, vcc
	v_cndmask_b32_e32 v0, v26, v0, vcc
	v_sub_co_u32_e32 v4, vcc, s16, v22
	v_mov_b32_e32 v31, v30
	s_nop 0
	v_subb_co_u32_e64 v5, s[2:3], 0, 0, vcc
	v_lshl_add_u64 v[2:3], v[4:5], 0, v[2:3]
	v_lshl_add_u64 v[0:1], v[2:3], 0, v[0:1]
	v_and_b32_e32 v2, 0xc0, v0
	v_mov_b32_e32 v3, v30
	s_mov_b64 s[2:3], 0xc0
	v_cmp_ne_u64_e32 vcc, s[2:3], v[2:3]
	v_mov_b64_e32 v[32:33], v[30:31]
	s_and_saveexec_b64 s[2:3], vcc
	s_cbranch_execz .LBB99_31
; %bb.28:
	v_lshrrev_b32_e32 v2, 6, v0
	v_add_u32_e32 v2, 1, v2
	v_and_b32_e32 v4, 3, v2
	v_sub_co_u32_e32 v4, vcc, 0, v4
	v_lshl_add_u64 v[2:3], v[24:25], 2, s[8:9]
	s_nop 0
	v_subb_co_u32_e64 v5, s[18:19], 0, 0, vcc
	s_mov_b64 s[10:11], 0
	s_mov_b64 s[18:19], 0x800
	;; [unrolled: 1-line block ×3, first 2 shown]
	v_mov_b32_e32 v31, v30
	v_mov_b32_e32 v32, v30
	;; [unrolled: 1-line block ×3, first 2 shown]
.LBB99_29:                              ; =>This Inner Loop Header: Depth=1
	global_load_dword v10, v[2:3], off
	global_load_dwordx4 v[6:9], v[28:29], off
	v_lshl_add_u64 v[4:5], v[4:5], 0, 1
	v_cmp_eq_u64_e32 vcc, 0, v[4:5]
	v_lshl_add_u64 v[24:25], v[24:25], 0, 64
	v_lshl_add_u64 v[2:3], v[2:3], 0, s[20:21]
	s_or_b64 s[10:11], vcc, s[10:11]
	s_waitcnt vmcnt(1)
	v_subrev_u32_e32 v10, s16, v10
	v_lshlrev_b32_e32 v10, 2, v10
	v_ashrrev_i32_e32 v11, 31, v10
	s_waitcnt lgkmcnt(0)
	v_lshl_add_u64 v[14:15], v[10:11], 1, s[4:5]
	global_load_dwordx2 v[16:17], v[14:15], off
	global_load_dwordx4 v[10:13], v[28:29], off offset:16
	s_waitcnt vmcnt(2)
	v_cvt_f32_f16_sdwa v15, v6 dst_sel:DWORD dst_unused:UNUSED_PAD src0_sel:WORD_1
	v_cvt_f32_f16_e32 v14, v6
	v_cvt_f32_f16_sdwa v19, v8 dst_sel:DWORD dst_unused:UNUSED_PAD src0_sel:WORD_1
	v_cvt_f32_f16_e32 v18, v8
	;; [unrolled: 2-line block ×4, first 2 shown]
	v_lshl_add_u64 v[28:29], v[28:29], 0, s[18:19]
	s_waitcnt vmcnt(1)
	v_cvt_f32_f16_e32 v40, v17
	s_waitcnt vmcnt(0)
	v_cvt_f32_f16_sdwa v35, v10 dst_sel:DWORD dst_unused:UNUSED_PAD src0_sel:WORD_1
	v_cvt_f32_f16_e32 v34, v10
	v_cvt_f32_f16_sdwa v9, v11 dst_sel:DWORD dst_unused:UNUSED_PAD src0_sel:WORD_1
	v_cvt_f32_f16_e32 v8, v11
	;; [unrolled: 2-line block ×3, first 2 shown]
	v_cvt_f32_f16_e32 v12, v16
	v_cvt_f32_f16_sdwa v16, v16 dst_sel:DWORD dst_unused:UNUSED_PAD src0_sel:WORD_1
	v_cvt_f32_f16_sdwa v39, v13 dst_sel:DWORD dst_unused:UNUSED_PAD src0_sel:WORD_1
	v_cvt_f32_f16_e32 v38, v13
	v_cvt_f32_f16_sdwa v42, v17 dst_sel:DWORD dst_unused:UNUSED_PAD src0_sel:WORD_1
	v_pk_fma_f32 v[14:15], v[14:15], v[12:13], v[32:33] op_sel_hi:[1,0,1]
	v_pk_fma_f32 v[12:13], v[36:37], v[12:13], v[30:31] op_sel_hi:[1,0,1]
	;; [unrolled: 1-line block ×8, first 2 shown]
	s_andn2_b64 exec, exec, s[10:11]
	s_cbranch_execnz .LBB99_29
; %bb.30:
	s_or_b64 exec, exec, s[10:11]
.LBB99_31:
	s_or_b64 exec, exec, s[2:3]
	s_mov_b64 s[2:3], 0xbf
	v_cmp_lt_u64_e32 vcc, s[2:3], v[0:1]
	s_and_saveexec_b64 s[2:3], vcc
	s_cbranch_execz .LBB99_35
; %bb.32:
	v_lshl_add_u64 v[0:1], v[24:25], 2, s[8:9]
	s_mov_b64 s[8:9], 0x200
	v_lshl_add_u64 v[16:17], v[0:1], 0, s[8:9]
	s_mov_b64 s[8:9], 0
	s_mov_b64 s[10:11], 0x1000
	s_movk_i32 s13, 0x1000
	s_mov_b64 s[18:19], 0x100
	s_mov_b64 s[20:21], 0x400
	;; [unrolled: 1-line block ×3, first 2 shown]
.LBB99_33:                              ; =>This Inner Loop Header: Depth=1
	global_load_dwordx4 v[0:3], v[28:29], off
	global_load_dwordx4 v[4:7], v[28:29], off offset:16
	global_load_dwordx4 v[8:11], v[28:29], off offset:2048
	;; [unrolled: 1-line block ×3, first 2 shown]
	global_load_dword v21, v[16:17], off offset:-512
	global_load_dword v23, v[16:17], off offset:-256
	global_load_dword v64, v[16:17], off
	global_load_dword v66, v[16:17], off offset:256
	v_add_co_u32_e32 v50, vcc, s13, v28
	v_lshl_add_u64 v[18:19], v[28:29], 0, s[10:11]
	s_nop 0
	v_addc_co_u32_e32 v51, vcc, 0, v29, vcc
	global_load_dwordx4 v[34:37], v[50:51], off
	global_load_dwordx4 v[38:41], v[18:19], off offset:2064
	global_load_dwordx4 v[42:45], v[18:19], off offset:16
	;; [unrolled: 1-line block ×3, first 2 shown]
	v_lshl_add_u64 v[24:25], v[24:25], 0, s[18:19]
	v_cmp_ge_i64_e32 vcc, v[24:25], v[26:27]
	v_lshl_add_u64 v[16:17], v[16:17], 0, s[20:21]
	v_lshl_add_u64 v[28:29], v[28:29], 0, s[22:23]
	s_or_b64 s[8:9], vcc, s[8:9]
	s_waitcnt vmcnt(11)
	v_cvt_f32_f16_sdwa v19, v0 dst_sel:DWORD dst_unused:UNUSED_PAD src0_sel:WORD_1
	v_cvt_f32_f16_e32 v18, v0
	v_cvt_f32_f16_sdwa v51, v2 dst_sel:DWORD dst_unused:UNUSED_PAD src0_sel:WORD_1
	v_cvt_f32_f16_e32 v50, v2
	s_waitcnt vmcnt(10)
	v_cvt_f32_f16_sdwa v53, v4 dst_sel:DWORD dst_unused:UNUSED_PAD src0_sel:WORD_1
	v_cvt_f32_f16_e32 v52, v4
	v_cvt_f32_f16_sdwa v55, v1 dst_sel:DWORD dst_unused:UNUSED_PAD src0_sel:WORD_1
	v_cvt_f32_f16_e32 v54, v1
	v_cvt_f32_f16_sdwa v1, v3 dst_sel:DWORD dst_unused:UNUSED_PAD src0_sel:WORD_1
	v_cvt_f32_f16_e32 v0, v3
	v_cvt_f32_f16_sdwa v3, v5 dst_sel:DWORD dst_unused:UNUSED_PAD src0_sel:WORD_1
	v_cvt_f32_f16_e32 v2, v5
	v_cvt_f32_f16_sdwa v5, v6 dst_sel:DWORD dst_unused:UNUSED_PAD src0_sel:WORD_1
	v_cvt_f32_f16_e32 v4, v6
	v_cvt_f32_f16_sdwa v57, v7 dst_sel:DWORD dst_unused:UNUSED_PAD src0_sel:WORD_1
	v_cvt_f32_f16_e32 v56, v7
	s_waitcnt vmcnt(9)
	v_cvt_f32_f16_sdwa v7, v8 dst_sel:DWORD dst_unused:UNUSED_PAD src0_sel:WORD_1
	v_cvt_f32_f16_e32 v6, v8
	s_waitcnt vmcnt(7)
	v_subrev_u32_e32 v8, s16, v21
	v_cvt_f32_f16_sdwa v59, v10 dst_sel:DWORD dst_unused:UNUSED_PAD src0_sel:WORD_1
	v_cvt_f32_f16_e32 v58, v10
	v_cvt_f32_f16_sdwa v61, v12 dst_sel:DWORD dst_unused:UNUSED_PAD src0_sel:WORD_1
	v_cvt_f32_f16_e32 v60, v12
	;; [unrolled: 2-line block ×3, first 2 shown]
	s_waitcnt vmcnt(6)
	v_subrev_u32_e32 v10, s16, v23
	s_waitcnt vmcnt(5)
	v_subrev_u32_e32 v12, s16, v64
	;; [unrolled: 2-line block ×3, first 2 shown]
	v_lshlrev_b32_e32 v66, 2, v8
	v_lshlrev_b32_e32 v68, 2, v10
	;; [unrolled: 1-line block ×4, first 2 shown]
	v_ashrrev_i32_e32 v67, 31, v66
	v_ashrrev_i32_e32 v69, 31, v68
	v_ashrrev_i32_e32 v71, 31, v70
	v_ashrrev_i32_e32 v73, 31, v72
	s_waitcnt lgkmcnt(0)
	v_lshl_add_u64 v[66:67], v[66:67], 1, s[4:5]
	v_lshl_add_u64 v[68:69], v[68:69], 1, s[4:5]
	;; [unrolled: 1-line block ×4, first 2 shown]
	global_load_dwordx2 v[74:75], v[66:67], off
	global_load_dwordx2 v[76:77], v[68:69], off
	;; [unrolled: 1-line block ×4, first 2 shown]
	v_cvt_f32_f16_sdwa v65, v9 dst_sel:DWORD dst_unused:UNUSED_PAD src0_sel:WORD_1
	v_cvt_f32_f16_e32 v64, v9
	v_cvt_f32_f16_sdwa v9, v11 dst_sel:DWORD dst_unused:UNUSED_PAD src0_sel:WORD_1
	v_cvt_f32_f16_e32 v8, v11
	;; [unrolled: 2-line block ×4, first 2 shown]
	s_waitcnt vmcnt(7)
	v_cvt_f32_f16_e32 v14, v34
	v_cvt_f32_f16_sdwa v15, v34 dst_sel:DWORD dst_unused:UNUSED_PAD src0_sel:WORD_1
	v_cvt_f32_f16_e32 v34, v35
	v_cvt_f32_f16_sdwa v35, v35 dst_sel:DWORD dst_unused:UNUSED_PAD src0_sel:WORD_1
	v_cvt_f32_f16_e32 v66, v36
	v_cvt_f32_f16_sdwa v67, v36 dst_sel:DWORD dst_unused:UNUSED_PAD src0_sel:WORD_1
	v_cvt_f32_f16_e32 v36, v37
	v_cvt_f32_f16_sdwa v37, v37 dst_sel:DWORD dst_unused:UNUSED_PAD src0_sel:WORD_1
	s_waitcnt vmcnt(5)
	v_cvt_f32_f16_e32 v68, v42
	v_cvt_f32_f16_sdwa v69, v42 dst_sel:DWORD dst_unused:UNUSED_PAD src0_sel:WORD_1
	v_cvt_f32_f16_e32 v42, v43
	v_cvt_f32_f16_sdwa v43, v43 dst_sel:DWORD dst_unused:UNUSED_PAD src0_sel:WORD_1
	v_cvt_f32_f16_e32 v70, v44
	v_cvt_f32_f16_sdwa v71, v44 dst_sel:DWORD dst_unused:UNUSED_PAD src0_sel:WORD_1
	v_cvt_f32_f16_e32 v44, v45
	v_cvt_f32_f16_sdwa v45, v45 dst_sel:DWORD dst_unused:UNUSED_PAD src0_sel:WORD_1
	;; [unrolled: 9-line block ×3, first 2 shown]
	v_cvt_f32_f16_e32 v84, v38
	v_cvt_f32_f16_sdwa v85, v38 dst_sel:DWORD dst_unused:UNUSED_PAD src0_sel:WORD_1
	v_cvt_f32_f16_e32 v38, v39
	v_cvt_f32_f16_sdwa v39, v39 dst_sel:DWORD dst_unused:UNUSED_PAD src0_sel:WORD_1
	;; [unrolled: 2-line block ×4, first 2 shown]
	s_waitcnt vmcnt(3)
	v_cvt_f32_f16_e32 v88, v74
	v_cvt_f32_f16_sdwa v74, v74 dst_sel:DWORD dst_unused:UNUSED_PAD src0_sel:WORD_1
	v_cvt_f32_f16_e32 v90, v75
	v_cvt_f32_f16_sdwa v92, v75 dst_sel:DWORD dst_unused:UNUSED_PAD src0_sel:WORD_1
	s_waitcnt vmcnt(2)
	v_cvt_f32_f16_e32 v94, v76
	v_pk_fma_f32 v[18:19], v[18:19], v[88:89], v[32:33] op_sel_hi:[1,0,1]
	v_pk_fma_f32 v[30:31], v[54:55], v[88:89], v[30:31] op_sel_hi:[1,0,1]
	v_cvt_f32_f16_sdwa v32, v76 dst_sel:DWORD dst_unused:UNUSED_PAD src0_sel:WORD_1
	v_pk_fma_f32 v[18:19], v[50:51], v[74:75], v[18:19] op_sel_hi:[1,0,1]
	v_pk_fma_f32 v[0:1], v[0:1], v[74:75], v[30:31] op_sel_hi:[1,0,1]
	v_cvt_f32_f16_e32 v54, v77
	v_pk_fma_f32 v[18:19], v[52:53], v[90:91], v[18:19] op_sel_hi:[1,0,1]
	v_pk_fma_f32 v[0:1], v[2:3], v[90:91], v[0:1] op_sel_hi:[1,0,1]
	v_cvt_f32_f16_sdwa v76, v77 dst_sel:DWORD dst_unused:UNUSED_PAD src0_sel:WORD_1
	v_pk_fma_f32 v[4:5], v[4:5], v[92:93], v[18:19] op_sel_hi:[1,0,1]
	v_pk_fma_f32 v[0:1], v[56:57], v[92:93], v[0:1] op_sel_hi:[1,0,1]
	s_waitcnt vmcnt(1)
	v_cvt_f32_f16_e32 v88, v78
	v_pk_fma_f32 v[4:5], v[6:7], v[94:95], v[4:5] op_sel_hi:[1,0,1]
	v_pk_fma_f32 v[0:1], v[64:65], v[94:95], v[0:1] op_sel_hi:[1,0,1]
	v_cvt_f32_f16_sdwa v50, v78 dst_sel:DWORD dst_unused:UNUSED_PAD src0_sel:WORD_1
	v_pk_fma_f32 v[4:5], v[58:59], v[32:33], v[4:5] op_sel_hi:[1,0,1]
	v_pk_fma_f32 v[0:1], v[8:9], v[32:33], v[0:1] op_sel_hi:[1,0,1]
	v_cvt_f32_f16_e32 v30, v79
	v_pk_fma_f32 v[4:5], v[60:61], v[54:55], v[4:5] op_sel_hi:[1,0,1]
	v_pk_fma_f32 v[0:1], v[10:11], v[54:55], v[0:1] op_sel_hi:[1,0,1]
	v_cvt_f32_f16_sdwa v74, v79 dst_sel:DWORD dst_unused:UNUSED_PAD src0_sel:WORD_1
	v_pk_fma_f32 v[4:5], v[62:63], v[76:77], v[4:5] op_sel_hi:[1,0,1]
	v_pk_fma_f32 v[0:1], v[12:13], v[76:77], v[0:1] op_sel_hi:[1,0,1]
	;; [unrolled: 13-line block ×3, first 2 shown]
	v_pk_fma_f32 v[4:5], v[72:73], v[78:79], v[4:5] op_sel_hi:[1,0,1]
	v_pk_fma_f32 v[0:1], v[46:47], v[78:79], v[0:1] op_sel_hi:[1,0,1]
	;; [unrolled: 1-line block ×8, first 2 shown]
	s_andn2_b64 exec, exec, s[8:9]
	s_cbranch_execnz .LBB99_33
; %bb.34:
	s_or_b64 exec, exec, s[8:9]
.LBB99_35:
	s_or_b64 exec, exec, s[2:3]
.LBB99_36:
	s_or_b64 exec, exec, s[6:7]
.LBB99_37:
	v_mov_b32_dpp v0, v32 row_shr:1 row_mask:0xf bank_mask:0xf
	v_mov_b32_dpp v1, v33 row_shr:1 row_mask:0xf bank_mask:0xf
	;; [unrolled: 1-line block ×4, first 2 shown]
	v_pk_add_f32 v[0:1], v[32:33], v[0:1]
	v_pk_add_f32 v[4:5], v[30:31], v[4:5]
	v_cmp_eq_u32_e32 vcc, 63, v22
	v_mov_b32_dpp v2, v0 row_shr:2 row_mask:0xf bank_mask:0xf
	v_mov_b32_dpp v3, v1 row_shr:2 row_mask:0xf bank_mask:0xf
	v_mov_b32_dpp v6, v4 row_shr:2 row_mask:0xf bank_mask:0xf
	v_mov_b32_dpp v7, v5 row_shr:2 row_mask:0xf bank_mask:0xf
	v_pk_add_f32 v[0:1], v[0:1], v[2:3]
	v_pk_add_f32 v[4:5], v[4:5], v[6:7]
	s_nop 0
	v_mov_b32_dpp v2, v0 row_shr:4 row_mask:0xf bank_mask:0xe
	v_mov_b32_dpp v3, v1 row_shr:4 row_mask:0xf bank_mask:0xe
	v_mov_b32_dpp v6, v4 row_shr:4 row_mask:0xf bank_mask:0xe
	v_mov_b32_dpp v7, v5 row_shr:4 row_mask:0xf bank_mask:0xe
	v_pk_add_f32 v[0:1], v[0:1], v[2:3]
	v_pk_add_f32 v[4:5], v[4:5], v[6:7]
	s_nop 0
	;; [unrolled: 7-line block ×3, first 2 shown]
	v_mov_b32_dpp v2, v0 row_bcast:15 row_mask:0xa bank_mask:0xf
	v_mov_b32_dpp v3, v1 row_bcast:15 row_mask:0xa bank_mask:0xf
	;; [unrolled: 1-line block ×4, first 2 shown]
	v_pk_add_f32 v[0:1], v[0:1], v[2:3]
	v_pk_add_f32 v[4:5], v[4:5], v[6:7]
	s_nop 0
	v_mov_b32_dpp v2, v0 row_bcast:31 row_mask:0xc bank_mask:0xf
	v_mov_b32_dpp v3, v1 row_bcast:31 row_mask:0xc bank_mask:0xf
	;; [unrolled: 1-line block ×4, first 2 shown]
	s_and_b64 exec, exec, vcc
	s_cbranch_execz .LBB99_10
; %bb.38:
	s_load_dwordx2 s[0:1], s[0:1], 0x50
	v_cmp_eq_f32_e64 s[2:3], s14, 0
	v_pk_add_f32 v[2:3], v[0:1], v[2:3]
	v_pk_add_f32 v[0:1], v[4:5], v[6:7]
	s_and_b64 vcc, exec, s[2:3]
	v_lshlrev_b32_e32 v4, 2, v20
	s_cbranch_vccz .LBB99_40
; %bb.39:
	v_ashrrev_i32_e32 v5, 31, v4
	s_waitcnt lgkmcnt(0)
	v_lshl_add_u64 v[10:11], v[4:5], 2, s[0:1]
	v_pk_mul_f32 v[6:7], s[12:13], v[2:3] op_sel_hi:[0,1]
	v_pk_mul_f32 v[8:9], s[12:13], v[0:1] op_sel_hi:[0,1]
	global_store_dwordx4 v[10:11], v[6:9], off
	s_cbranch_execnz .LBB99_10
	s_branch .LBB99_41
.LBB99_40:
.LBB99_41:
	v_ashrrev_i32_e32 v5, 31, v4
	s_waitcnt lgkmcnt(0)
	v_lshl_add_u64 v[8:9], v[4:5], 2, s[0:1]
	global_load_dwordx4 v[4:7], v[8:9], off
	v_pk_mul_f32 v[2:3], s[12:13], v[2:3] op_sel_hi:[0,1]
	v_pk_mul_f32 v[10:11], s[12:13], v[0:1] op_sel_hi:[0,1]
	s_waitcnt vmcnt(0)
	v_pk_fma_f32 v[0:1], s[14:15], v[4:5], v[2:3] op_sel_hi:[0,1,1]
	v_pk_fma_f32 v[2:3], s[14:15], v[6:7], v[10:11] op_sel_hi:[0,1,1]
	global_store_dwordx4 v[8:9], v[0:3], off
	s_endpgm
	.section	.rodata,"a",@progbits
	.p2align	6, 0x0
	.amdhsa_kernel _ZN9rocsparseL18bsrxmvn_4x4_kernelILj128ELj64EfliDF16_DF16_fEEvT3_20rocsparse_direction_NS_24const_host_device_scalarIT1_EES1_PKS1_PKT2_SA_S7_PKT4_PKT5_S5_PT6_21rocsparse_index_base_b
		.amdhsa_group_segment_fixed_size 0
		.amdhsa_private_segment_fixed_size 0
		.amdhsa_kernarg_size 96
		.amdhsa_user_sgpr_count 2
		.amdhsa_user_sgpr_dispatch_ptr 0
		.amdhsa_user_sgpr_queue_ptr 0
		.amdhsa_user_sgpr_kernarg_segment_ptr 1
		.amdhsa_user_sgpr_dispatch_id 0
		.amdhsa_user_sgpr_kernarg_preload_length 0
		.amdhsa_user_sgpr_kernarg_preload_offset 0
		.amdhsa_user_sgpr_private_segment_size 0
		.amdhsa_uses_dynamic_stack 0
		.amdhsa_enable_private_segment 0
		.amdhsa_system_sgpr_workgroup_id_x 1
		.amdhsa_system_sgpr_workgroup_id_y 0
		.amdhsa_system_sgpr_workgroup_id_z 0
		.amdhsa_system_sgpr_workgroup_info 0
		.amdhsa_system_vgpr_workitem_id 0
		.amdhsa_next_free_vgpr 102
		.amdhsa_next_free_sgpr 26
		.amdhsa_accum_offset 104
		.amdhsa_reserve_vcc 1
		.amdhsa_float_round_mode_32 0
		.amdhsa_float_round_mode_16_64 0
		.amdhsa_float_denorm_mode_32 3
		.amdhsa_float_denorm_mode_16_64 3
		.amdhsa_dx10_clamp 1
		.amdhsa_ieee_mode 1
		.amdhsa_fp16_overflow 0
		.amdhsa_tg_split 0
		.amdhsa_exception_fp_ieee_invalid_op 0
		.amdhsa_exception_fp_denorm_src 0
		.amdhsa_exception_fp_ieee_div_zero 0
		.amdhsa_exception_fp_ieee_overflow 0
		.amdhsa_exception_fp_ieee_underflow 0
		.amdhsa_exception_fp_ieee_inexact 0
		.amdhsa_exception_int_div_zero 0
	.end_amdhsa_kernel
	.section	.text._ZN9rocsparseL18bsrxmvn_4x4_kernelILj128ELj64EfliDF16_DF16_fEEvT3_20rocsparse_direction_NS_24const_host_device_scalarIT1_EES1_PKS1_PKT2_SA_S7_PKT4_PKT5_S5_PT6_21rocsparse_index_base_b,"axG",@progbits,_ZN9rocsparseL18bsrxmvn_4x4_kernelILj128ELj64EfliDF16_DF16_fEEvT3_20rocsparse_direction_NS_24const_host_device_scalarIT1_EES1_PKS1_PKT2_SA_S7_PKT4_PKT5_S5_PT6_21rocsparse_index_base_b,comdat
.Lfunc_end99:
	.size	_ZN9rocsparseL18bsrxmvn_4x4_kernelILj128ELj64EfliDF16_DF16_fEEvT3_20rocsparse_direction_NS_24const_host_device_scalarIT1_EES1_PKS1_PKT2_SA_S7_PKT4_PKT5_S5_PT6_21rocsparse_index_base_b, .Lfunc_end99-_ZN9rocsparseL18bsrxmvn_4x4_kernelILj128ELj64EfliDF16_DF16_fEEvT3_20rocsparse_direction_NS_24const_host_device_scalarIT1_EES1_PKS1_PKT2_SA_S7_PKT4_PKT5_S5_PT6_21rocsparse_index_base_b
                                        ; -- End function
	.set _ZN9rocsparseL18bsrxmvn_4x4_kernelILj128ELj64EfliDF16_DF16_fEEvT3_20rocsparse_direction_NS_24const_host_device_scalarIT1_EES1_PKS1_PKT2_SA_S7_PKT4_PKT5_S5_PT6_21rocsparse_index_base_b.num_vgpr, 102
	.set _ZN9rocsparseL18bsrxmvn_4x4_kernelILj128ELj64EfliDF16_DF16_fEEvT3_20rocsparse_direction_NS_24const_host_device_scalarIT1_EES1_PKS1_PKT2_SA_S7_PKT4_PKT5_S5_PT6_21rocsparse_index_base_b.num_agpr, 0
	.set _ZN9rocsparseL18bsrxmvn_4x4_kernelILj128ELj64EfliDF16_DF16_fEEvT3_20rocsparse_direction_NS_24const_host_device_scalarIT1_EES1_PKS1_PKT2_SA_S7_PKT4_PKT5_S5_PT6_21rocsparse_index_base_b.numbered_sgpr, 26
	.set _ZN9rocsparseL18bsrxmvn_4x4_kernelILj128ELj64EfliDF16_DF16_fEEvT3_20rocsparse_direction_NS_24const_host_device_scalarIT1_EES1_PKS1_PKT2_SA_S7_PKT4_PKT5_S5_PT6_21rocsparse_index_base_b.num_named_barrier, 0
	.set _ZN9rocsparseL18bsrxmvn_4x4_kernelILj128ELj64EfliDF16_DF16_fEEvT3_20rocsparse_direction_NS_24const_host_device_scalarIT1_EES1_PKS1_PKT2_SA_S7_PKT4_PKT5_S5_PT6_21rocsparse_index_base_b.private_seg_size, 0
	.set _ZN9rocsparseL18bsrxmvn_4x4_kernelILj128ELj64EfliDF16_DF16_fEEvT3_20rocsparse_direction_NS_24const_host_device_scalarIT1_EES1_PKS1_PKT2_SA_S7_PKT4_PKT5_S5_PT6_21rocsparse_index_base_b.uses_vcc, 1
	.set _ZN9rocsparseL18bsrxmvn_4x4_kernelILj128ELj64EfliDF16_DF16_fEEvT3_20rocsparse_direction_NS_24const_host_device_scalarIT1_EES1_PKS1_PKT2_SA_S7_PKT4_PKT5_S5_PT6_21rocsparse_index_base_b.uses_flat_scratch, 0
	.set _ZN9rocsparseL18bsrxmvn_4x4_kernelILj128ELj64EfliDF16_DF16_fEEvT3_20rocsparse_direction_NS_24const_host_device_scalarIT1_EES1_PKS1_PKT2_SA_S7_PKT4_PKT5_S5_PT6_21rocsparse_index_base_b.has_dyn_sized_stack, 0
	.set _ZN9rocsparseL18bsrxmvn_4x4_kernelILj128ELj64EfliDF16_DF16_fEEvT3_20rocsparse_direction_NS_24const_host_device_scalarIT1_EES1_PKS1_PKT2_SA_S7_PKT4_PKT5_S5_PT6_21rocsparse_index_base_b.has_recursion, 0
	.set _ZN9rocsparseL18bsrxmvn_4x4_kernelILj128ELj64EfliDF16_DF16_fEEvT3_20rocsparse_direction_NS_24const_host_device_scalarIT1_EES1_PKS1_PKT2_SA_S7_PKT4_PKT5_S5_PT6_21rocsparse_index_base_b.has_indirect_call, 0
	.section	.AMDGPU.csdata,"",@progbits
; Kernel info:
; codeLenInByte = 4276
; TotalNumSgprs: 32
; NumVgprs: 102
; NumAgprs: 0
; TotalNumVgprs: 102
; ScratchSize: 0
; MemoryBound: 0
; FloatMode: 240
; IeeeMode: 1
; LDSByteSize: 0 bytes/workgroup (compile time only)
; SGPRBlocks: 3
; VGPRBlocks: 12
; NumSGPRsForWavesPerEU: 32
; NumVGPRsForWavesPerEU: 102
; AccumOffset: 104
; Occupancy: 4
; WaveLimiterHint : 1
; COMPUTE_PGM_RSRC2:SCRATCH_EN: 0
; COMPUTE_PGM_RSRC2:USER_SGPR: 2
; COMPUTE_PGM_RSRC2:TRAP_HANDLER: 0
; COMPUTE_PGM_RSRC2:TGID_X_EN: 1
; COMPUTE_PGM_RSRC2:TGID_Y_EN: 0
; COMPUTE_PGM_RSRC2:TGID_Z_EN: 0
; COMPUTE_PGM_RSRC2:TIDIG_COMP_CNT: 0
; COMPUTE_PGM_RSRC3_GFX90A:ACCUM_OFFSET: 25
; COMPUTE_PGM_RSRC3_GFX90A:TG_SPLIT: 0
	.section	.text._ZN9rocsparseL18bsrxmvn_4x4_kernelILj128ELj4EfllDF16_DF16_fEEvT3_20rocsparse_direction_NS_24const_host_device_scalarIT1_EES1_PKS1_PKT2_SA_S7_PKT4_PKT5_S5_PT6_21rocsparse_index_base_b,"axG",@progbits,_ZN9rocsparseL18bsrxmvn_4x4_kernelILj128ELj4EfllDF16_DF16_fEEvT3_20rocsparse_direction_NS_24const_host_device_scalarIT1_EES1_PKS1_PKT2_SA_S7_PKT4_PKT5_S5_PT6_21rocsparse_index_base_b,comdat
	.globl	_ZN9rocsparseL18bsrxmvn_4x4_kernelILj128ELj4EfllDF16_DF16_fEEvT3_20rocsparse_direction_NS_24const_host_device_scalarIT1_EES1_PKS1_PKT2_SA_S7_PKT4_PKT5_S5_PT6_21rocsparse_index_base_b ; -- Begin function _ZN9rocsparseL18bsrxmvn_4x4_kernelILj128ELj4EfllDF16_DF16_fEEvT3_20rocsparse_direction_NS_24const_host_device_scalarIT1_EES1_PKS1_PKT2_SA_S7_PKT4_PKT5_S5_PT6_21rocsparse_index_base_b
	.p2align	8
	.type	_ZN9rocsparseL18bsrxmvn_4x4_kernelILj128ELj4EfllDF16_DF16_fEEvT3_20rocsparse_direction_NS_24const_host_device_scalarIT1_EES1_PKS1_PKT2_SA_S7_PKT4_PKT5_S5_PT6_21rocsparse_index_base_b,@function
_ZN9rocsparseL18bsrxmvn_4x4_kernelILj128ELj4EfllDF16_DF16_fEEvT3_20rocsparse_direction_NS_24const_host_device_scalarIT1_EES1_PKS1_PKT2_SA_S7_PKT4_PKT5_S5_PT6_21rocsparse_index_base_b: ; @_ZN9rocsparseL18bsrxmvn_4x4_kernelILj128ELj4EfllDF16_DF16_fEEvT3_20rocsparse_direction_NS_24const_host_device_scalarIT1_EES1_PKS1_PKT2_SA_S7_PKT4_PKT5_S5_PT6_21rocsparse_index_base_b
; %bb.0:
	s_load_dwordx2 s[4:5], s[0:1], 0x60
	s_load_dwordx4 s[12:15], s[0:1], 0x10
	s_load_dwordx2 s[16:17], s[0:1], 0x50
	s_waitcnt lgkmcnt(0)
	s_bitcmp1_b32 s5, 0
	s_cselect_b64 s[8:9], -1, 0
	s_xor_b64 s[6:7], s[8:9], -1
	s_and_b64 vcc, exec, s[8:9]
	s_cbranch_vccnz .LBB100_2
; %bb.1:
	s_load_dword s12, s[12:13], 0x0
.LBB100_2:
	s_andn2_b64 vcc, exec, s[6:7]
	s_cbranch_vccnz .LBB100_4
; %bb.3:
	s_load_dword s16, s[16:17], 0x0
.LBB100_4:
	s_waitcnt lgkmcnt(0)
	v_cmp_neq_f32_e64 s[6:7], s12, 0
	v_cmp_neq_f32_e64 s[8:9], s16, 1.0
	s_or_b64 s[6:7], s[6:7], s[8:9]
	s_andn2_b64 vcc, exec, s[6:7]
	s_cbranch_vccnz .LBB100_10
; %bb.5:
	s_load_dwordx2 s[6:7], s[0:1], 0x20
	v_lshrrev_b32_e32 v1, 2, v0
	v_lshl_or_b32 v2, s2, 5, v1
	v_mov_b32_e32 v3, 0
	s_mov_b64 s[2:3], 0
	s_waitcnt lgkmcnt(0)
	s_cmp_lg_u64 s[6:7], 0
	s_cbranch_scc0 .LBB100_11
; %bb.6:
	v_cmp_gt_i64_e32 vcc, s[14:15], v[2:3]
                                        ; implicit-def: $vgpr20_vgpr21
                                        ; implicit-def: $vgpr22_vgpr23
	s_and_saveexec_b64 s[8:9], vcc
	s_xor_b64 s[8:9], exec, s[8:9]
	s_cbranch_execz .LBB100_8
; %bb.7:
	v_lshl_add_u64 v[4:5], v[2:3], 3, s[6:7]
	global_load_dwordx2 v[4:5], v[4:5], off
	s_mov_b32 s5, 0
	s_mov_b64 s[2:3], exec
	v_mov_b64_e32 v[22:23], s[4:5]
	s_waitcnt vmcnt(0)
	v_subrev_co_u32_e32 v20, vcc, s4, v4
	s_nop 1
	v_subbrev_co_u32_e32 v21, vcc, 0, v5, vcc
.LBB100_8:
	s_or_b64 exec, exec, s[8:9]
.LBB100_9:
	s_and_saveexec_b64 s[4:5], s[2:3]
	s_cbranch_execnz .LBB100_15
.LBB100_10:
	s_endpgm
.LBB100_11:
                                        ; implicit-def: $vgpr20_vgpr21
                                        ; implicit-def: $vgpr22_vgpr23
	s_cbranch_execz .LBB100_9
; %bb.12:
	s_load_dwordx2 s[6:7], s[0:1], 0x0
	s_waitcnt lgkmcnt(0)
	v_cmp_gt_i64_e32 vcc, s[6:7], v[2:3]
	s_and_saveexec_b64 s[6:7], vcc
; %bb.13:
	s_mov_b32 s5, 0
	s_or_b64 s[2:3], s[2:3], exec
; %bb.14:
	s_or_b64 exec, exec, s[6:7]
	v_mov_b64_e32 v[22:23], s[4:5]
	v_mov_b64_e32 v[20:21], v[2:3]
	s_and_saveexec_b64 s[4:5], s[2:3]
	s_cbranch_execz .LBB100_10
.LBB100_15:
	s_load_dwordx8 s[4:11], s[0:1], 0x28
	v_lshlrev_b64 v[2:3], 3, v[20:21]
	v_and_b32_e32 v24, 3, v0
	v_mov_b32_e32 v25, 0
	s_waitcnt lgkmcnt(0)
	v_lshl_add_u64 v[6:7], s[4:5], 0, v[2:3]
	s_cmp_eq_u64 s[6:7], 0
	v_lshl_add_u64 v[2:3], s[6:7], 0, v[2:3]
	global_load_dwordx2 v[4:5], v[6:7], off
	v_lshl_add_u64 v[6:7], v[6:7], 0, 8
	s_cselect_b64 vcc, -1, 0
	v_cndmask_b32_e32 v3, v3, v7, vcc
	v_cndmask_b32_e32 v2, v2, v6, vcc
	global_load_dwordx2 v[2:3], v[2:3], off
	s_load_dword s2, s[0:1], 0x8
	s_load_dwordx2 s[4:5], s[0:1], 0x48
	s_waitcnt lgkmcnt(0)
	s_cmp_eq_u32 s2, 1
	s_waitcnt vmcnt(1)
	v_sub_co_u32_e32 v0, vcc, v4, v22
	s_nop 1
	v_subb_co_u32_e32 v1, vcc, v5, v23, vcc
	v_lshl_add_u64 v[26:27], v[0:1], 0, v[24:25]
	s_waitcnt vmcnt(0)
	v_sub_co_u32_e32 v28, vcc, v2, v22
	v_lshlrev_b64 v[0:1], 5, v[26:27]
	s_nop 0
	v_subb_co_u32_e32 v29, vcc, v3, v23, vcc
	v_lshl_add_u64 v[30:31], s[10:11], 0, v[0:1]
	v_cmp_lt_i64_e64 s[2:3], v[26:27], v[28:29]
	s_cbranch_scc1 .LBB100_27
; %bb.16:
	v_mov_b32_e32 v34, v25
	v_mov_b32_e32 v33, v25
	;; [unrolled: 1-line block ×3, first 2 shown]
	s_and_saveexec_b64 s[6:7], s[2:3]
	s_cbranch_execz .LBB100_26
; %bb.17:
	v_or_b32_e32 v0, 4, v24
	v_sub_co_u32_e32 v0, vcc, v0, v22
	v_not_b32_e32 v3, v5
	s_nop 0
	v_subb_co_u32_e32 v1, vcc, 0, v23, vcc
	v_lshl_add_u64 v[0:1], v[0:1], 0, v[4:5]
	v_cmp_gt_i64_e32 vcc, v[0:1], v[28:29]
	v_not_b32_e32 v2, v4
	v_mov_b32_e32 v33, 0
	v_cndmask_b32_e32 v1, v29, v1, vcc
	v_cndmask_b32_e32 v0, v28, v0, vcc
	v_sub_co_u32_e32 v6, vcc, v22, v24
	v_mov_b32_e32 v34, v33
	s_nop 0
	v_subbrev_co_u32_e32 v7, vcc, 0, v23, vcc
	v_lshl_add_u64 v[2:3], v[6:7], 0, v[2:3]
	v_lshl_add_u64 v[0:1], v[2:3], 0, v[0:1]
	v_and_b32_e32 v32, 12, v0
	v_cmp_ne_u64_e32 vcc, 12, v[32:33]
	v_mov_b32_e32 v32, v33
	v_mov_b32_e32 v35, v33
	v_mov_b64_e32 v[6:7], v[26:27]
	v_mov_b64_e32 v[8:9], v[30:31]
	s_and_saveexec_b64 s[10:11], vcc
	s_cbranch_execz .LBB100_21
; %bb.18:
	v_lshrrev_b32_e32 v2, 2, v0
	v_add_u32_e32 v2, 1, v2
	v_and_b32_e32 v6, 3, v2
	v_sub_co_u32_e32 v10, vcc, 0, v6
	v_mov_b32_e32 v32, 0
	s_nop 0
	v_subb_co_u32_e64 v11, s[18:19], 0, 0, vcc
	v_lshl_add_u64 v[2:3], v[26:27], 3, s[8:9]
	s_mov_b64 s[14:15], 0
	s_mov_b64 s[18:19], 0x80
	v_mov_b64_e32 v[8:9], v[30:31]
	v_mov_b64_e32 v[6:7], v[26:27]
	v_mov_b32_e32 v33, v32
	v_mov_b32_e32 v34, v32
	;; [unrolled: 1-line block ×3, first 2 shown]
.LBB100_19:                             ; =>This Inner Loop Header: Depth=1
	global_load_dwordx2 v[36:37], v[2:3], off
	global_load_dwordx4 v[12:15], v[8:9], off
	global_load_dwordx4 v[16:19], v[8:9], off offset:16
	v_lshl_add_u64 v[10:11], v[10:11], 0, 1
	v_lshl_add_u64 v[8:9], v[8:9], 0, s[18:19]
	;; [unrolled: 1-line block ×4, first 2 shown]
	s_waitcnt vmcnt(2)
	v_sub_co_u32_e32 v36, vcc, v36, v22
	s_nop 1
	v_subb_co_u32_e32 v37, vcc, v37, v23, vcc
	v_lshl_add_u64 v[36:37], v[36:37], 3, s[4:5]
	global_load_dwordx2 v[36:37], v[36:37], off
	s_waitcnt vmcnt(2)
	v_cvt_f32_f16_e32 v39, v14
	v_cvt_f32_f16_e32 v38, v12
	v_cvt_f32_f16_sdwa v41, v14 dst_sel:DWORD dst_unused:UNUSED_PAD src0_sel:WORD_1
	v_cvt_f32_f16_sdwa v40, v12 dst_sel:DWORD dst_unused:UNUSED_PAD src0_sel:WORD_1
	v_cvt_f32_f16_e32 v42, v13
	v_cvt_f32_f16_sdwa v14, v13 dst_sel:DWORD dst_unused:UNUSED_PAD src0_sel:WORD_1
	s_waitcnt vmcnt(1)
	v_cvt_f32_f16_e32 v13, v18
	v_cvt_f32_f16_e32 v12, v16
	v_cvt_f32_f16_sdwa v44, v16 dst_sel:DWORD dst_unused:UNUSED_PAD src0_sel:WORD_1
	v_cvt_f32_f16_sdwa v45, v18 dst_sel:DWORD dst_unused:UNUSED_PAD src0_sel:WORD_1
	v_cvt_f32_f16_e32 v43, v15
	v_cvt_f32_f16_e32 v47, v19
	;; [unrolled: 1-line block ×3, first 2 shown]
	v_cvt_f32_f16_sdwa v15, v15 dst_sel:DWORD dst_unused:UNUSED_PAD src0_sel:WORD_1
	v_cvt_f32_f16_sdwa v19, v19 dst_sel:DWORD dst_unused:UNUSED_PAD src0_sel:WORD_1
	v_cvt_f32_f16_sdwa v18, v17 dst_sel:DWORD dst_unused:UNUSED_PAD src0_sel:WORD_1
	v_cmp_eq_u64_e32 vcc, 0, v[10:11]
	s_or_b64 s[14:15], vcc, s[14:15]
	s_waitcnt vmcnt(0)
	v_cvt_f32_f16_e32 v16, v36
	v_cvt_f32_f16_sdwa v36, v36 dst_sel:DWORD dst_unused:UNUSED_PAD src0_sel:WORD_1
	v_cvt_f32_f16_e32 v48, v37
	v_cvt_f32_f16_sdwa v50, v37 dst_sel:DWORD dst_unused:UNUSED_PAD src0_sel:WORD_1
	v_pk_fma_f32 v[32:33], v[38:39], v[16:17], v[32:33] op_sel_hi:[1,0,1]
	v_pk_fma_f32 v[12:13], v[12:13], v[16:17], v[34:35] op_sel_hi:[1,0,1]
	;; [unrolled: 1-line block ×8, first 2 shown]
	s_andn2_b64 exec, exec, s[14:15]
	s_cbranch_execnz .LBB100_19
; %bb.20:
	s_or_b64 exec, exec, s[14:15]
.LBB100_21:
	s_or_b64 exec, exec, s[10:11]
	v_cmp_lt_u64_e32 vcc, 11, v[0:1]
	s_and_saveexec_b64 s[10:11], vcc
	s_cbranch_execz .LBB100_25
; %bb.22:
	v_lshl_add_u64 v[0:1], v[6:7], 3, s[8:9]
	v_lshl_add_u64 v[10:11], v[0:1], 0, 64
	s_mov_b64 s[14:15], 0
	s_mov_b64 s[18:19], 0x200
	;; [unrolled: 1-line block ×3, first 2 shown]
.LBB100_23:                             ; =>This Inner Loop Header: Depth=1
	global_load_dwordx2 v[56:57], v[10:11], off offset:-64
	global_load_dwordx2 v[58:59], v[10:11], off offset:-32
	global_load_dwordx2 v[60:61], v[10:11], off
	global_load_dwordx4 v[0:3], v[8:9], off offset:256
	global_load_dwordx4 v[12:15], v[8:9], off
	global_load_dwordx4 v[16:19], v[8:9], off offset:128
	global_load_dwordx4 v[36:39], v[8:9], off offset:272
	;; [unrolled: 1-line block ×3, first 2 shown]
	global_load_dwordx2 v[62:63], v[10:11], off offset:32
	global_load_dwordx4 v[44:47], v[8:9], off offset:144
	global_load_dwordx4 v[48:51], v[8:9], off offset:384
	;; [unrolled: 1-line block ×3, first 2 shown]
	v_lshl_add_u64 v[6:7], v[6:7], 0, 16
	v_cmp_ge_i64_e32 vcc, v[6:7], v[28:29]
	s_or_b64 s[14:15], vcc, s[14:15]
	v_lshl_add_u64 v[8:9], v[8:9], 0, s[18:19]
	v_lshl_add_u64 v[10:11], v[10:11], 0, s[20:21]
	s_waitcnt vmcnt(11)
	v_sub_co_u32_e32 v56, vcc, v56, v22
	s_nop 1
	v_subb_co_u32_e32 v57, vcc, v57, v23, vcc
	s_waitcnt vmcnt(10)
	v_sub_co_u32_e32 v58, vcc, v58, v22
	v_lshl_add_u64 v[56:57], v[56:57], 3, s[4:5]
	s_nop 0
	v_subb_co_u32_e32 v59, vcc, v59, v23, vcc
	s_waitcnt vmcnt(9)
	v_sub_co_u32_e32 v60, vcc, v60, v22
	v_lshl_add_u64 v[58:59], v[58:59], 3, s[4:5]
	;; [unrolled: 5-line block ×3, first 2 shown]
	s_nop 0
	v_subb_co_u32_e32 v63, vcc, v63, v23, vcc
	v_lshl_add_u64 v[62:63], v[62:63], 3, s[4:5]
	global_load_dwordx2 v[82:83], v[56:57], off
	global_load_dwordx2 v[84:85], v[58:59], off
	;; [unrolled: 1-line block ×4, first 2 shown]
	v_cvt_f32_f16_e32 v67, v14
	v_cvt_f32_f16_e32 v66, v12
	v_cvt_f32_f16_sdwa v68, v12 dst_sel:DWORD dst_unused:UNUSED_PAD src0_sel:WORD_1
	v_cvt_f32_f16_e32 v12, v16
	v_cvt_f32_f16_sdwa v72, v16 dst_sel:DWORD dst_unused:UNUSED_PAD src0_sel:WORD_1
	;; [unrolled: 2-line block ×3, first 2 shown]
	v_cvt_f32_f16_e32 v81, v42
	v_cvt_f32_f16_e32 v80, v40
	v_cvt_f32_f16_sdwa v56, v40 dst_sel:DWORD dst_unused:UNUSED_PAD src0_sel:WORD_1
	s_waitcnt vmcnt(6)
	v_cvt_f32_f16_e32 v40, v44
	v_cvt_f32_f16_sdwa v60, v44 dst_sel:DWORD dst_unused:UNUSED_PAD src0_sel:WORD_1
	v_cvt_f32_f16_e32 v44, v36
	v_cvt_f32_f16_sdwa v90, v36 dst_sel:DWORD dst_unused:UNUSED_PAD src0_sel:WORD_1
	s_waitcnt vmcnt(5)
	v_cvt_f32_f16_e32 v0, v48
	v_cvt_f32_f16_sdwa v92, v48 dst_sel:DWORD dst_unused:UNUSED_PAD src0_sel:WORD_1
	s_waitcnt vmcnt(4)
	v_cvt_f32_f16_e32 v36, v52
	v_cvt_f32_f16_sdwa v48, v52 dst_sel:DWORD dst_unused:UNUSED_PAD src0_sel:WORD_1
	v_cvt_f32_f16_sdwa v69, v14 dst_sel:DWORD dst_unused:UNUSED_PAD src0_sel:WORD_1
	;; [unrolled: 1-line block ×3, first 2 shown]
	v_cvt_f32_f16_e32 v71, v15
	v_cvt_f32_f16_e32 v70, v13
	;; [unrolled: 1-line block ×4, first 2 shown]
	v_cvt_f32_f16_sdwa v15, v15 dst_sel:DWORD dst_unused:UNUSED_PAD src0_sel:WORD_1
	v_cvt_f32_f16_sdwa v14, v13 dst_sel:DWORD dst_unused:UNUSED_PAD src0_sel:WORD_1
	;; [unrolled: 1-line block ×4, first 2 shown]
	v_cvt_f32_f16_e32 v13, v18
	v_cvt_f32_f16_e32 v41, v46
	v_cvt_f32_f16_sdwa v73, v18 dst_sel:DWORD dst_unused:UNUSED_PAD src0_sel:WORD_1
	v_cvt_f32_f16_sdwa v61, v46 dst_sel:DWORD dst_unused:UNUSED_PAD src0_sel:WORD_1
	v_cvt_f32_f16_e32 v75, v19
	v_cvt_f32_f16_e32 v74, v17
	;; [unrolled: 1-line block ×4, first 2 shown]
	v_cvt_f32_f16_sdwa v19, v19 dst_sel:DWORD dst_unused:UNUSED_PAD src0_sel:WORD_1
	v_cvt_f32_f16_sdwa v18, v17 dst_sel:DWORD dst_unused:UNUSED_PAD src0_sel:WORD_1
	;; [unrolled: 1-line block ×4, first 2 shown]
	v_cvt_f32_f16_e32 v17, v2
	v_cvt_f32_f16_e32 v45, v38
	v_cvt_f32_f16_sdwa v77, v2 dst_sel:DWORD dst_unused:UNUSED_PAD src0_sel:WORD_1
	v_cvt_f32_f16_sdwa v91, v38 dst_sel:DWORD dst_unused:UNUSED_PAD src0_sel:WORD_1
	v_cvt_f32_f16_e32 v64, v1
	v_cvt_f32_f16_e32 v65, v3
	;; [unrolled: 1-line block ×4, first 2 shown]
	v_cvt_f32_f16_sdwa v3, v3 dst_sel:DWORD dst_unused:UNUSED_PAD src0_sel:WORD_1
	v_cvt_f32_f16_sdwa v2, v1 dst_sel:DWORD dst_unused:UNUSED_PAD src0_sel:WORD_1
	;; [unrolled: 1-line block ×4, first 2 shown]
	v_cvt_f32_f16_e32 v1, v50
	v_cvt_f32_f16_e32 v37, v54
	v_cvt_f32_f16_sdwa v93, v50 dst_sel:DWORD dst_unused:UNUSED_PAD src0_sel:WORD_1
	v_cvt_f32_f16_e32 v94, v49
	v_cvt_f32_f16_sdwa v50, v49 dst_sel:DWORD dst_unused:UNUSED_PAD src0_sel:WORD_1
	v_cvt_f32_f16_sdwa v49, v54 dst_sel:DWORD dst_unused:UNUSED_PAD src0_sel:WORD_1
	v_cvt_f32_f16_e32 v95, v51
	v_cvt_f32_f16_e32 v97, v55
	;; [unrolled: 1-line block ×3, first 2 shown]
	v_cvt_f32_f16_sdwa v51, v51 dst_sel:DWORD dst_unused:UNUSED_PAD src0_sel:WORD_1
	v_cvt_f32_f16_sdwa v55, v55 dst_sel:DWORD dst_unused:UNUSED_PAD src0_sel:WORD_1
	;; [unrolled: 1-line block ×3, first 2 shown]
	s_waitcnt vmcnt(3)
	v_cvt_f32_f16_e32 v52, v82
	v_cvt_f32_f16_sdwa v82, v82 dst_sel:DWORD dst_unused:UNUSED_PAD src0_sel:WORD_1
	v_cvt_f32_f16_e32 v98, v83
	v_cvt_f32_f16_sdwa v100, v83 dst_sel:DWORD dst_unused:UNUSED_PAD src0_sel:WORD_1
	v_pk_fma_f32 v[32:33], v[66:67], v[52:53], v[32:33] op_sel_hi:[1,0,1]
	s_waitcnt vmcnt(2)
	v_cvt_f32_f16_e32 v66, v84
	v_pk_fma_f32 v[34:35], v[80:81], v[52:53], v[34:35] op_sel_hi:[1,0,1]
	v_cvt_f32_f16_sdwa v52, v84 dst_sel:DWORD dst_unused:UNUSED_PAD src0_sel:WORD_1
	v_pk_fma_f32 v[32:33], v[68:69], v[82:83], v[32:33] op_sel_hi:[1,0,1]
	v_pk_fma_f32 v[34:35], v[56:57], v[82:83], v[34:35] op_sel_hi:[1,0,1]
	v_cvt_f32_f16_e32 v80, v85
	v_pk_fma_f32 v[32:33], v[70:71], v[98:99], v[32:33] op_sel_hi:[1,0,1]
	v_pk_fma_f32 v[34:35], v[58:59], v[98:99], v[34:35] op_sel_hi:[1,0,1]
	v_cvt_f32_f16_sdwa v84, v85 dst_sel:DWORD dst_unused:UNUSED_PAD src0_sel:WORD_1
	v_pk_fma_f32 v[14:15], v[14:15], v[100:101], v[32:33] op_sel_hi:[1,0,1]
	v_pk_fma_f32 v[32:33], v[42:43], v[100:101], v[34:35] op_sel_hi:[1,0,1]
	s_waitcnt vmcnt(1)
	v_cvt_f32_f16_e32 v68, v86
	v_pk_fma_f32 v[12:13], v[12:13], v[66:67], v[14:15] op_sel_hi:[1,0,1]
	v_pk_fma_f32 v[14:15], v[40:41], v[66:67], v[32:33] op_sel_hi:[1,0,1]
	v_cvt_f32_f16_sdwa v56, v86 dst_sel:DWORD dst_unused:UNUSED_PAD src0_sel:WORD_1
	v_pk_fma_f32 v[12:13], v[72:73], v[52:53], v[12:13] op_sel_hi:[1,0,1]
	v_pk_fma_f32 v[14:15], v[60:61], v[52:53], v[14:15] op_sel_hi:[1,0,1]
	v_cvt_f32_f16_e32 v82, v87
	v_pk_fma_f32 v[12:13], v[74:75], v[80:81], v[12:13] op_sel_hi:[1,0,1]
	v_pk_fma_f32 v[14:15], v[62:63], v[80:81], v[14:15] op_sel_hi:[1,0,1]
	v_cvt_f32_f16_sdwa v86, v87 dst_sel:DWORD dst_unused:UNUSED_PAD src0_sel:WORD_1
	v_pk_fma_f32 v[12:13], v[18:19], v[84:85], v[12:13] op_sel_hi:[1,0,1]
	v_pk_fma_f32 v[14:15], v[46:47], v[84:85], v[14:15] op_sel_hi:[1,0,1]
	s_waitcnt vmcnt(0)
	v_cvt_f32_f16_e32 v70, v88
	v_pk_fma_f32 v[12:13], v[16:17], v[68:69], v[12:13] op_sel_hi:[1,0,1]
	v_pk_fma_f32 v[14:15], v[44:45], v[68:69], v[14:15] op_sel_hi:[1,0,1]
	v_cvt_f32_f16_sdwa v58, v88 dst_sel:DWORD dst_unused:UNUSED_PAD src0_sel:WORD_1
	v_pk_fma_f32 v[12:13], v[76:77], v[56:57], v[12:13] op_sel_hi:[1,0,1]
	v_pk_fma_f32 v[14:15], v[90:91], v[56:57], v[14:15] op_sel_hi:[1,0,1]
	v_cvt_f32_f16_e32 v88, v89
	v_pk_fma_f32 v[12:13], v[64:65], v[82:83], v[12:13] op_sel_hi:[1,0,1]
	v_pk_fma_f32 v[14:15], v[78:79], v[82:83], v[14:15] op_sel_hi:[1,0,1]
	v_cvt_f32_f16_sdwa v98, v89 dst_sel:DWORD dst_unused:UNUSED_PAD src0_sel:WORD_1
	v_pk_fma_f32 v[2:3], v[2:3], v[86:87], v[12:13] op_sel_hi:[1,0,1]
	v_pk_fma_f32 v[12:13], v[38:39], v[86:87], v[14:15] op_sel_hi:[1,0,1]
	;; [unrolled: 1-line block ×10, first 2 shown]
	s_andn2_b64 exec, exec, s[14:15]
	s_cbranch_execnz .LBB100_23
; %bb.24:
	s_or_b64 exec, exec, s[14:15]
.LBB100_25:
	s_or_b64 exec, exec, s[10:11]
	v_mov_b32_e32 v25, v35
.LBB100_26:
	s_or_b64 exec, exec, s[6:7]
	v_mov_b32_e32 v35, v25
	s_cbranch_execz .LBB100_28
	s_branch .LBB100_39
.LBB100_27:
                                        ; implicit-def: $vgpr35
                                        ; implicit-def: $vgpr33
.LBB100_28:
	v_mov_b32_e32 v35, 0
	v_mov_b32_e32 v34, 0
	;; [unrolled: 1-line block ×4, first 2 shown]
	s_and_saveexec_b64 s[6:7], s[2:3]
	s_cbranch_execz .LBB100_38
; %bb.29:
	v_or_b32_e32 v0, 4, v24
	v_sub_co_u32_e32 v0, vcc, v0, v22
	v_not_b32_e32 v2, v4
	s_nop 0
	v_subb_co_u32_e32 v1, vcc, 0, v23, vcc
	v_lshl_add_u64 v[0:1], v[0:1], 0, v[4:5]
	v_cmp_gt_i64_e32 vcc, v[0:1], v[28:29]
	v_not_b32_e32 v3, v5
	v_mov_b32_e32 v33, 0
	v_cndmask_b32_e32 v1, v29, v1, vcc
	v_cndmask_b32_e32 v0, v28, v0, vcc
	v_sub_co_u32_e32 v4, vcc, v22, v24
	v_mov_b32_e32 v34, v33
	s_nop 0
	v_subbrev_co_u32_e32 v5, vcc, 0, v23, vcc
	v_lshl_add_u64 v[2:3], v[4:5], 0, v[2:3]
	v_lshl_add_u64 v[0:1], v[2:3], 0, v[0:1]
	v_and_b32_e32 v32, 12, v0
	v_cmp_ne_u64_e32 vcc, 12, v[32:33]
	v_mov_b32_e32 v32, v33
	v_mov_b32_e32 v35, v33
	s_and_saveexec_b64 s[2:3], vcc
	s_cbranch_execz .LBB100_33
; %bb.30:
	v_lshrrev_b32_e32 v2, 2, v0
	v_add_u32_e32 v2, 1, v2
	v_and_b32_e32 v4, 3, v2
	v_sub_co_u32_e32 v4, vcc, 0, v4
	v_mov_b32_e32 v32, 0
	s_nop 0
	v_subb_co_u32_e64 v5, s[14:15], 0, 0, vcc
	v_lshl_add_u64 v[2:3], v[26:27], 3, s[8:9]
	s_mov_b64 s[10:11], 0
	s_mov_b64 s[14:15], 0x80
	v_mov_b32_e32 v33, v32
	v_mov_b32_e32 v34, v32
	;; [unrolled: 1-line block ×3, first 2 shown]
.LBB100_31:                             ; =>This Inner Loop Header: Depth=1
	global_load_dwordx2 v[10:11], v[2:3], off
	global_load_dwordx4 v[6:9], v[30:31], off
	v_lshl_add_u64 v[4:5], v[4:5], 0, 1
	v_lshl_add_u64 v[26:27], v[26:27], 0, 4
	;; [unrolled: 1-line block ×3, first 2 shown]
	s_waitcnt vmcnt(1)
	v_sub_co_u32_e32 v10, vcc, v10, v22
	s_nop 1
	v_subb_co_u32_e32 v11, vcc, v11, v23, vcc
	v_lshl_add_u64 v[14:15], v[10:11], 3, s[4:5]
	global_load_dwordx2 v[16:17], v[14:15], off
	global_load_dwordx4 v[10:13], v[30:31], off offset:16
	s_waitcnt vmcnt(2)
	v_cvt_f32_f16_sdwa v15, v6 dst_sel:DWORD dst_unused:UNUSED_PAD src0_sel:WORD_1
	v_cvt_f32_f16_e32 v14, v6
	v_cvt_f32_f16_sdwa v41, v7 dst_sel:DWORD dst_unused:UNUSED_PAD src0_sel:WORD_1
	v_cvt_f32_f16_e32 v40, v7
	;; [unrolled: 2-line block ×4, first 2 shown]
	v_cmp_eq_u64_e32 vcc, 0, v[4:5]
	v_lshl_add_u64 v[30:31], v[30:31], 0, s[14:15]
	s_or_b64 s[10:11], vcc, s[10:11]
	s_waitcnt vmcnt(1)
	v_cvt_f32_f16_e32 v42, v17
	s_waitcnt vmcnt(0)
	v_cvt_f32_f16_sdwa v39, v12 dst_sel:DWORD dst_unused:UNUSED_PAD src0_sel:WORD_1
	v_cvt_f32_f16_e32 v38, v12
	v_cvt_f32_f16_e32 v12, v16
	v_cvt_f32_f16_sdwa v16, v16 dst_sel:DWORD dst_unused:UNUSED_PAD src0_sel:WORD_1
	v_cvt_f32_f16_sdwa v37, v10 dst_sel:DWORD dst_unused:UNUSED_PAD src0_sel:WORD_1
	v_cvt_f32_f16_e32 v36, v10
	v_cvt_f32_f16_sdwa v9, v11 dst_sel:DWORD dst_unused:UNUSED_PAD src0_sel:WORD_1
	v_cvt_f32_f16_e32 v8, v11
	;; [unrolled: 2-line block ×3, first 2 shown]
	v_cvt_f32_f16_sdwa v44, v17 dst_sel:DWORD dst_unused:UNUSED_PAD src0_sel:WORD_1
	v_pk_fma_f32 v[14:15], v[14:15], v[12:13], v[32:33] op_sel_hi:[1,0,1]
	v_pk_fma_f32 v[12:13], v[40:41], v[12:13], v[34:35] op_sel_hi:[1,0,1]
	;; [unrolled: 1-line block ×8, first 2 shown]
	s_andn2_b64 exec, exec, s[10:11]
	s_cbranch_execnz .LBB100_31
; %bb.32:
	s_or_b64 exec, exec, s[10:11]
.LBB100_33:
	s_or_b64 exec, exec, s[2:3]
	v_cmp_lt_u64_e32 vcc, 11, v[0:1]
	s_and_saveexec_b64 s[2:3], vcc
	s_cbranch_execz .LBB100_37
; %bb.34:
	v_lshl_add_u64 v[0:1], v[26:27], 3, s[8:9]
	v_lshl_add_u64 v[36:37], v[0:1], 0, 64
	s_mov_b64 s[8:9], 0
	s_mov_b64 s[10:11], 0x80
	;; [unrolled: 1-line block ×3, first 2 shown]
.LBB100_35:                             ; =>This Inner Loop Header: Depth=1
	global_load_dwordx4 v[8:11], v[30:31], off
	global_load_dwordx4 v[0:3], v[30:31], off offset:16
	global_load_dwordx4 v[4:7], v[30:31], off offset:128
	;; [unrolled: 1-line block ×4, first 2 shown]
	global_load_dwordx2 v[50:51], v[36:37], off offset:-64
	global_load_dwordx2 v[52:53], v[36:37], off offset:-32
	global_load_dwordx2 v[54:55], v[36:37], off
	global_load_dwordx2 v[56:57], v[36:37], off offset:32
	global_load_dwordx4 v[38:41], v[30:31], off offset:272
	global_load_dwordx4 v[42:45], v[30:31], off offset:384
	;; [unrolled: 1-line block ×3, first 2 shown]
	v_lshl_add_u64 v[26:27], v[26:27], 0, 16
	v_cmp_ge_i64_e32 vcc, v[26:27], v[28:29]
	s_or_b64 s[8:9], vcc, s[8:9]
	v_lshl_add_u64 v[36:37], v[36:37], 0, s[10:11]
	v_lshl_add_u64 v[30:31], v[30:31], 0, s[14:15]
	s_waitcnt vmcnt(11)
	v_cvt_f32_f16_sdwa v59, v8 dst_sel:DWORD dst_unused:UNUSED_PAD src0_sel:WORD_1
	v_cvt_f32_f16_e32 v58, v8
	v_cvt_f32_f16_sdwa v77, v9 dst_sel:DWORD dst_unused:UNUSED_PAD src0_sel:WORD_1
	v_cvt_f32_f16_e32 v76, v9
	v_cvt_f32_f16_sdwa v61, v10 dst_sel:DWORD dst_unused:UNUSED_PAD src0_sel:WORD_1
	s_waitcnt vmcnt(6)
	v_sub_co_u32_e32 v50, vcc, v50, v22
	v_cvt_f32_f16_e32 v60, v10
	s_nop 0
	v_subb_co_u32_e32 v51, vcc, v51, v23, vcc
	s_waitcnt vmcnt(5)
	v_sub_co_u32_e32 v52, vcc, v52, v22
	v_lshl_add_u64 v[50:51], v[50:51], 3, s[4:5]
	s_nop 0
	v_subb_co_u32_e32 v53, vcc, v53, v23, vcc
	s_waitcnt vmcnt(4)
	v_sub_co_u32_e32 v54, vcc, v54, v22
	v_lshl_add_u64 v[52:53], v[52:53], 3, s[4:5]
	;; [unrolled: 5-line block ×3, first 2 shown]
	s_nop 0
	v_subb_co_u32_e32 v57, vcc, v57, v23, vcc
	v_lshl_add_u64 v[56:57], v[56:57], 3, s[4:5]
	global_load_dwordx2 v[78:79], v[50:51], off
	global_load_dwordx2 v[80:81], v[52:53], off
	global_load_dwordx2 v[82:83], v[54:55], off
	global_load_dwordx2 v[84:85], v[56:57], off
	s_waitcnt vmcnt(4)
	v_cvt_f32_f16_sdwa v89, v48 dst_sel:DWORD dst_unused:UNUSED_PAD src0_sel:WORD_1
	v_cvt_f32_f16_e32 v88, v48
	v_cvt_f32_f16_sdwa v9, v11 dst_sel:DWORD dst_unused:UNUSED_PAD src0_sel:WORD_1
	v_cvt_f32_f16_e32 v8, v11
	;; [unrolled: 2-line block ×29, first 2 shown]
	s_waitcnt vmcnt(3)
	v_cvt_f32_f16_e32 v48, v78
	v_cvt_f32_f16_sdwa v78, v78 dst_sel:DWORD dst_unused:UNUSED_PAD src0_sel:WORD_1
	v_cvt_f32_f16_e32 v92, v79
	v_cvt_f32_f16_sdwa v94, v79 dst_sel:DWORD dst_unused:UNUSED_PAD src0_sel:WORD_1
	v_pk_fma_f32 v[32:33], v[58:59], v[48:49], v[32:33] op_sel_hi:[1,0,1]
	s_waitcnt vmcnt(2)
	v_cvt_f32_f16_e32 v58, v80
	v_pk_fma_f32 v[34:35], v[76:77], v[48:49], v[34:35] op_sel_hi:[1,0,1]
	v_cvt_f32_f16_sdwa v48, v80 dst_sel:DWORD dst_unused:UNUSED_PAD src0_sel:WORD_1
	v_pk_fma_f32 v[32:33], v[60:61], v[78:79], v[32:33] op_sel_hi:[1,0,1]
	v_pk_fma_f32 v[8:9], v[8:9], v[78:79], v[34:35] op_sel_hi:[1,0,1]
	v_cvt_f32_f16_e32 v76, v81
	v_pk_fma_f32 v[32:33], v[62:63], v[92:93], v[32:33] op_sel_hi:[1,0,1]
	v_pk_fma_f32 v[8:9], v[10:11], v[92:93], v[8:9] op_sel_hi:[1,0,1]
	v_cvt_f32_f16_sdwa v80, v81 dst_sel:DWORD dst_unused:UNUSED_PAD src0_sel:WORD_1
	v_pk_fma_f32 v[32:33], v[64:65], v[94:95], v[32:33] op_sel_hi:[1,0,1]
	v_pk_fma_f32 v[0:1], v[0:1], v[94:95], v[8:9] op_sel_hi:[1,0,1]
	s_waitcnt vmcnt(1)
	v_cvt_f32_f16_e32 v60, v82
	v_pk_fma_f32 v[8:9], v[66:67], v[58:59], v[32:33] op_sel_hi:[1,0,1]
	v_pk_fma_f32 v[0:1], v[2:3], v[58:59], v[0:1] op_sel_hi:[1,0,1]
	v_cvt_f32_f16_sdwa v34, v82 dst_sel:DWORD dst_unused:UNUSED_PAD src0_sel:WORD_1
	v_pk_fma_f32 v[2:3], v[68:69], v[48:49], v[8:9] op_sel_hi:[1,0,1]
	v_pk_fma_f32 v[0:1], v[4:5], v[48:49], v[0:1] op_sel_hi:[1,0,1]
	v_cvt_f32_f16_e32 v78, v83
	v_pk_fma_f32 v[2:3], v[70:71], v[76:77], v[2:3] op_sel_hi:[1,0,1]
	v_pk_fma_f32 v[0:1], v[6:7], v[76:77], v[0:1] op_sel_hi:[1,0,1]
	v_cvt_f32_f16_sdwa v82, v83 dst_sel:DWORD dst_unused:UNUSED_PAD src0_sel:WORD_1
	v_pk_fma_f32 v[2:3], v[72:73], v[80:81], v[2:3] op_sel_hi:[1,0,1]
	v_pk_fma_f32 v[0:1], v[12:13], v[80:81], v[0:1] op_sel_hi:[1,0,1]
	s_waitcnt vmcnt(0)
	v_cvt_f32_f16_e32 v62, v84
	v_pk_fma_f32 v[2:3], v[74:75], v[60:61], v[2:3] op_sel_hi:[1,0,1]
	v_pk_fma_f32 v[0:1], v[50:51], v[60:61], v[0:1] op_sel_hi:[1,0,1]
	v_cvt_f32_f16_sdwa v10, v84 dst_sel:DWORD dst_unused:UNUSED_PAD src0_sel:WORD_1
	v_pk_fma_f32 v[2:3], v[14:15], v[34:35], v[2:3] op_sel_hi:[1,0,1]
	v_pk_fma_f32 v[0:1], v[16:17], v[34:35], v[0:1] op_sel_hi:[1,0,1]
	v_cvt_f32_f16_e32 v84, v85
	v_pk_fma_f32 v[2:3], v[18:19], v[78:79], v[2:3] op_sel_hi:[1,0,1]
	v_pk_fma_f32 v[0:1], v[52:53], v[78:79], v[0:1] op_sel_hi:[1,0,1]
	v_cvt_f32_f16_sdwa v92, v85 dst_sel:DWORD dst_unused:UNUSED_PAD src0_sel:WORD_1
	v_pk_fma_f32 v[2:3], v[38:39], v[82:83], v[2:3] op_sel_hi:[1,0,1]
	v_pk_fma_f32 v[0:1], v[54:55], v[82:83], v[0:1] op_sel_hi:[1,0,1]
	;; [unrolled: 1-line block ×10, first 2 shown]
	s_andn2_b64 exec, exec, s[8:9]
	s_cbranch_execnz .LBB100_35
; %bb.36:
	s_or_b64 exec, exec, s[8:9]
.LBB100_37:
	s_or_b64 exec, exec, s[2:3]
.LBB100_38:
	s_or_b64 exec, exec, s[6:7]
.LBB100_39:
	v_mov_b32_dpp v0, v32 row_shr:1 row_mask:0xf bank_mask:0xf
	v_mov_b32_dpp v1, v33 row_shr:1 row_mask:0xf bank_mask:0xf
	;; [unrolled: 1-line block ×4, first 2 shown]
	v_pk_add_f32 v[0:1], v[32:33], v[0:1]
	v_pk_add_f32 v[6:7], v[34:35], v[4:5]
	v_cmp_eq_u32_e32 vcc, 3, v24
	v_mov_b32_dpp v2, v0 row_shr:2 row_mask:0xf bank_mask:0xf
	v_mov_b32_dpp v3, v1 row_shr:2 row_mask:0xf bank_mask:0xf
	;; [unrolled: 1-line block ×4, first 2 shown]
	s_and_b64 exec, exec, vcc
	s_cbranch_execz .LBB100_10
; %bb.40:
	s_load_dwordx2 s[0:1], s[0:1], 0x58
	v_cmp_eq_f32_e64 s[2:3], s16, 0
	v_pk_add_f32 v[4:5], v[0:1], v[2:3]
	v_pk_add_f32 v[2:3], v[6:7], v[8:9]
	s_and_b64 vcc, exec, s[2:3]
	s_waitcnt lgkmcnt(0)
	v_lshl_add_u64 v[0:1], v[20:21], 4, s[0:1]
	s_cbranch_vccz .LBB100_42
; %bb.41:
	v_pk_mul_f32 v[6:7], s[12:13], v[4:5] op_sel_hi:[0,1]
	v_pk_mul_f32 v[8:9], s[12:13], v[2:3] op_sel_hi:[0,1]
	global_store_dwordx4 v[0:1], v[6:9], off
	s_cbranch_execnz .LBB100_10
	s_branch .LBB100_43
.LBB100_42:
.LBB100_43:
	global_load_dwordx4 v[6:9], v[0:1], off
	v_pk_mul_f32 v[4:5], s[12:13], v[4:5] op_sel_hi:[0,1]
	v_pk_mul_f32 v[10:11], s[12:13], v[2:3] op_sel_hi:[0,1]
	s_waitcnt vmcnt(0)
	v_pk_fma_f32 v[2:3], s[16:17], v[6:7], v[4:5] op_sel_hi:[0,1,1]
	v_pk_fma_f32 v[4:5], s[16:17], v[8:9], v[10:11] op_sel_hi:[0,1,1]
	global_store_dwordx4 v[0:1], v[2:5], off
	s_endpgm
	.section	.rodata,"a",@progbits
	.p2align	6, 0x0
	.amdhsa_kernel _ZN9rocsparseL18bsrxmvn_4x4_kernelILj128ELj4EfllDF16_DF16_fEEvT3_20rocsparse_direction_NS_24const_host_device_scalarIT1_EES1_PKS1_PKT2_SA_S7_PKT4_PKT5_S5_PT6_21rocsparse_index_base_b
		.amdhsa_group_segment_fixed_size 0
		.amdhsa_private_segment_fixed_size 0
		.amdhsa_kernarg_size 104
		.amdhsa_user_sgpr_count 2
		.amdhsa_user_sgpr_dispatch_ptr 0
		.amdhsa_user_sgpr_queue_ptr 0
		.amdhsa_user_sgpr_kernarg_segment_ptr 1
		.amdhsa_user_sgpr_dispatch_id 0
		.amdhsa_user_sgpr_kernarg_preload_length 0
		.amdhsa_user_sgpr_kernarg_preload_offset 0
		.amdhsa_user_sgpr_private_segment_size 0
		.amdhsa_uses_dynamic_stack 0
		.amdhsa_enable_private_segment 0
		.amdhsa_system_sgpr_workgroup_id_x 1
		.amdhsa_system_sgpr_workgroup_id_y 0
		.amdhsa_system_sgpr_workgroup_id_z 0
		.amdhsa_system_sgpr_workgroup_info 0
		.amdhsa_system_vgpr_workitem_id 0
		.amdhsa_next_free_vgpr 102
		.amdhsa_next_free_sgpr 22
		.amdhsa_accum_offset 104
		.amdhsa_reserve_vcc 1
		.amdhsa_float_round_mode_32 0
		.amdhsa_float_round_mode_16_64 0
		.amdhsa_float_denorm_mode_32 3
		.amdhsa_float_denorm_mode_16_64 3
		.amdhsa_dx10_clamp 1
		.amdhsa_ieee_mode 1
		.amdhsa_fp16_overflow 0
		.amdhsa_tg_split 0
		.amdhsa_exception_fp_ieee_invalid_op 0
		.amdhsa_exception_fp_denorm_src 0
		.amdhsa_exception_fp_ieee_div_zero 0
		.amdhsa_exception_fp_ieee_overflow 0
		.amdhsa_exception_fp_ieee_underflow 0
		.amdhsa_exception_fp_ieee_inexact 0
		.amdhsa_exception_int_div_zero 0
	.end_amdhsa_kernel
	.section	.text._ZN9rocsparseL18bsrxmvn_4x4_kernelILj128ELj4EfllDF16_DF16_fEEvT3_20rocsparse_direction_NS_24const_host_device_scalarIT1_EES1_PKS1_PKT2_SA_S7_PKT4_PKT5_S5_PT6_21rocsparse_index_base_b,"axG",@progbits,_ZN9rocsparseL18bsrxmvn_4x4_kernelILj128ELj4EfllDF16_DF16_fEEvT3_20rocsparse_direction_NS_24const_host_device_scalarIT1_EES1_PKS1_PKT2_SA_S7_PKT4_PKT5_S5_PT6_21rocsparse_index_base_b,comdat
.Lfunc_end100:
	.size	_ZN9rocsparseL18bsrxmvn_4x4_kernelILj128ELj4EfllDF16_DF16_fEEvT3_20rocsparse_direction_NS_24const_host_device_scalarIT1_EES1_PKS1_PKT2_SA_S7_PKT4_PKT5_S5_PT6_21rocsparse_index_base_b, .Lfunc_end100-_ZN9rocsparseL18bsrxmvn_4x4_kernelILj128ELj4EfllDF16_DF16_fEEvT3_20rocsparse_direction_NS_24const_host_device_scalarIT1_EES1_PKS1_PKT2_SA_S7_PKT4_PKT5_S5_PT6_21rocsparse_index_base_b
                                        ; -- End function
	.set _ZN9rocsparseL18bsrxmvn_4x4_kernelILj128ELj4EfllDF16_DF16_fEEvT3_20rocsparse_direction_NS_24const_host_device_scalarIT1_EES1_PKS1_PKT2_SA_S7_PKT4_PKT5_S5_PT6_21rocsparse_index_base_b.num_vgpr, 102
	.set _ZN9rocsparseL18bsrxmvn_4x4_kernelILj128ELj4EfllDF16_DF16_fEEvT3_20rocsparse_direction_NS_24const_host_device_scalarIT1_EES1_PKS1_PKT2_SA_S7_PKT4_PKT5_S5_PT6_21rocsparse_index_base_b.num_agpr, 0
	.set _ZN9rocsparseL18bsrxmvn_4x4_kernelILj128ELj4EfllDF16_DF16_fEEvT3_20rocsparse_direction_NS_24const_host_device_scalarIT1_EES1_PKS1_PKT2_SA_S7_PKT4_PKT5_S5_PT6_21rocsparse_index_base_b.numbered_sgpr, 22
	.set _ZN9rocsparseL18bsrxmvn_4x4_kernelILj128ELj4EfllDF16_DF16_fEEvT3_20rocsparse_direction_NS_24const_host_device_scalarIT1_EES1_PKS1_PKT2_SA_S7_PKT4_PKT5_S5_PT6_21rocsparse_index_base_b.num_named_barrier, 0
	.set _ZN9rocsparseL18bsrxmvn_4x4_kernelILj128ELj4EfllDF16_DF16_fEEvT3_20rocsparse_direction_NS_24const_host_device_scalarIT1_EES1_PKS1_PKT2_SA_S7_PKT4_PKT5_S5_PT6_21rocsparse_index_base_b.private_seg_size, 0
	.set _ZN9rocsparseL18bsrxmvn_4x4_kernelILj128ELj4EfllDF16_DF16_fEEvT3_20rocsparse_direction_NS_24const_host_device_scalarIT1_EES1_PKS1_PKT2_SA_S7_PKT4_PKT5_S5_PT6_21rocsparse_index_base_b.uses_vcc, 1
	.set _ZN9rocsparseL18bsrxmvn_4x4_kernelILj128ELj4EfllDF16_DF16_fEEvT3_20rocsparse_direction_NS_24const_host_device_scalarIT1_EES1_PKS1_PKT2_SA_S7_PKT4_PKT5_S5_PT6_21rocsparse_index_base_b.uses_flat_scratch, 0
	.set _ZN9rocsparseL18bsrxmvn_4x4_kernelILj128ELj4EfllDF16_DF16_fEEvT3_20rocsparse_direction_NS_24const_host_device_scalarIT1_EES1_PKS1_PKT2_SA_S7_PKT4_PKT5_S5_PT6_21rocsparse_index_base_b.has_dyn_sized_stack, 0
	.set _ZN9rocsparseL18bsrxmvn_4x4_kernelILj128ELj4EfllDF16_DF16_fEEvT3_20rocsparse_direction_NS_24const_host_device_scalarIT1_EES1_PKS1_PKT2_SA_S7_PKT4_PKT5_S5_PT6_21rocsparse_index_base_b.has_recursion, 0
	.set _ZN9rocsparseL18bsrxmvn_4x4_kernelILj128ELj4EfllDF16_DF16_fEEvT3_20rocsparse_direction_NS_24const_host_device_scalarIT1_EES1_PKS1_PKT2_SA_S7_PKT4_PKT5_S5_PT6_21rocsparse_index_base_b.has_indirect_call, 0
	.section	.AMDGPU.csdata,"",@progbits
; Kernel info:
; codeLenInByte = 3880
; TotalNumSgprs: 28
; NumVgprs: 102
; NumAgprs: 0
; TotalNumVgprs: 102
; ScratchSize: 0
; MemoryBound: 0
; FloatMode: 240
; IeeeMode: 1
; LDSByteSize: 0 bytes/workgroup (compile time only)
; SGPRBlocks: 3
; VGPRBlocks: 12
; NumSGPRsForWavesPerEU: 28
; NumVGPRsForWavesPerEU: 102
; AccumOffset: 104
; Occupancy: 4
; WaveLimiterHint : 1
; COMPUTE_PGM_RSRC2:SCRATCH_EN: 0
; COMPUTE_PGM_RSRC2:USER_SGPR: 2
; COMPUTE_PGM_RSRC2:TRAP_HANDLER: 0
; COMPUTE_PGM_RSRC2:TGID_X_EN: 1
; COMPUTE_PGM_RSRC2:TGID_Y_EN: 0
; COMPUTE_PGM_RSRC2:TGID_Z_EN: 0
; COMPUTE_PGM_RSRC2:TIDIG_COMP_CNT: 0
; COMPUTE_PGM_RSRC3_GFX90A:ACCUM_OFFSET: 25
; COMPUTE_PGM_RSRC3_GFX90A:TG_SPLIT: 0
	.section	.text._ZN9rocsparseL18bsrxmvn_4x4_kernelILj128ELj8EfllDF16_DF16_fEEvT3_20rocsparse_direction_NS_24const_host_device_scalarIT1_EES1_PKS1_PKT2_SA_S7_PKT4_PKT5_S5_PT6_21rocsparse_index_base_b,"axG",@progbits,_ZN9rocsparseL18bsrxmvn_4x4_kernelILj128ELj8EfllDF16_DF16_fEEvT3_20rocsparse_direction_NS_24const_host_device_scalarIT1_EES1_PKS1_PKT2_SA_S7_PKT4_PKT5_S5_PT6_21rocsparse_index_base_b,comdat
	.globl	_ZN9rocsparseL18bsrxmvn_4x4_kernelILj128ELj8EfllDF16_DF16_fEEvT3_20rocsparse_direction_NS_24const_host_device_scalarIT1_EES1_PKS1_PKT2_SA_S7_PKT4_PKT5_S5_PT6_21rocsparse_index_base_b ; -- Begin function _ZN9rocsparseL18bsrxmvn_4x4_kernelILj128ELj8EfllDF16_DF16_fEEvT3_20rocsparse_direction_NS_24const_host_device_scalarIT1_EES1_PKS1_PKT2_SA_S7_PKT4_PKT5_S5_PT6_21rocsparse_index_base_b
	.p2align	8
	.type	_ZN9rocsparseL18bsrxmvn_4x4_kernelILj128ELj8EfllDF16_DF16_fEEvT3_20rocsparse_direction_NS_24const_host_device_scalarIT1_EES1_PKS1_PKT2_SA_S7_PKT4_PKT5_S5_PT6_21rocsparse_index_base_b,@function
_ZN9rocsparseL18bsrxmvn_4x4_kernelILj128ELj8EfllDF16_DF16_fEEvT3_20rocsparse_direction_NS_24const_host_device_scalarIT1_EES1_PKS1_PKT2_SA_S7_PKT4_PKT5_S5_PT6_21rocsparse_index_base_b: ; @_ZN9rocsparseL18bsrxmvn_4x4_kernelILj128ELj8EfllDF16_DF16_fEEvT3_20rocsparse_direction_NS_24const_host_device_scalarIT1_EES1_PKS1_PKT2_SA_S7_PKT4_PKT5_S5_PT6_21rocsparse_index_base_b
; %bb.0:
	s_load_dwordx2 s[4:5], s[0:1], 0x60
	s_load_dwordx4 s[12:15], s[0:1], 0x10
	s_load_dwordx2 s[16:17], s[0:1], 0x50
	s_waitcnt lgkmcnt(0)
	s_bitcmp1_b32 s5, 0
	s_cselect_b64 s[8:9], -1, 0
	s_xor_b64 s[6:7], s[8:9], -1
	s_and_b64 vcc, exec, s[8:9]
	s_cbranch_vccnz .LBB101_2
; %bb.1:
	s_load_dword s12, s[12:13], 0x0
.LBB101_2:
	s_andn2_b64 vcc, exec, s[6:7]
	s_cbranch_vccnz .LBB101_4
; %bb.3:
	s_load_dword s16, s[16:17], 0x0
.LBB101_4:
	s_waitcnt lgkmcnt(0)
	v_cmp_neq_f32_e64 s[6:7], s12, 0
	v_cmp_neq_f32_e64 s[8:9], s16, 1.0
	s_or_b64 s[6:7], s[6:7], s[8:9]
	s_andn2_b64 vcc, exec, s[6:7]
	s_cbranch_vccnz .LBB101_10
; %bb.5:
	s_load_dwordx2 s[6:7], s[0:1], 0x20
	v_lshrrev_b32_e32 v1, 3, v0
	v_lshl_or_b32 v2, s2, 4, v1
	v_mov_b32_e32 v3, 0
	s_mov_b64 s[2:3], 0
	s_waitcnt lgkmcnt(0)
	s_cmp_lg_u64 s[6:7], 0
	s_cbranch_scc0 .LBB101_11
; %bb.6:
	v_cmp_gt_i64_e32 vcc, s[14:15], v[2:3]
                                        ; implicit-def: $vgpr20_vgpr21
                                        ; implicit-def: $vgpr22_vgpr23
	s_and_saveexec_b64 s[8:9], vcc
	s_xor_b64 s[8:9], exec, s[8:9]
	s_cbranch_execz .LBB101_8
; %bb.7:
	v_lshl_add_u64 v[4:5], v[2:3], 3, s[6:7]
	global_load_dwordx2 v[4:5], v[4:5], off
	s_mov_b32 s5, 0
	s_mov_b64 s[2:3], exec
	v_mov_b64_e32 v[22:23], s[4:5]
	s_waitcnt vmcnt(0)
	v_subrev_co_u32_e32 v20, vcc, s4, v4
	s_nop 1
	v_subbrev_co_u32_e32 v21, vcc, 0, v5, vcc
.LBB101_8:
	s_or_b64 exec, exec, s[8:9]
.LBB101_9:
	s_and_saveexec_b64 s[4:5], s[2:3]
	s_cbranch_execnz .LBB101_15
.LBB101_10:
	s_endpgm
.LBB101_11:
                                        ; implicit-def: $vgpr20_vgpr21
                                        ; implicit-def: $vgpr22_vgpr23
	s_cbranch_execz .LBB101_9
; %bb.12:
	s_load_dwordx2 s[6:7], s[0:1], 0x0
	s_waitcnt lgkmcnt(0)
	v_cmp_gt_i64_e32 vcc, s[6:7], v[2:3]
	s_and_saveexec_b64 s[6:7], vcc
; %bb.13:
	s_mov_b32 s5, 0
	s_or_b64 s[2:3], s[2:3], exec
; %bb.14:
	s_or_b64 exec, exec, s[6:7]
	v_mov_b64_e32 v[22:23], s[4:5]
	v_mov_b64_e32 v[20:21], v[2:3]
	s_and_saveexec_b64 s[4:5], s[2:3]
	s_cbranch_execz .LBB101_10
.LBB101_15:
	s_load_dwordx8 s[4:11], s[0:1], 0x28
	v_lshlrev_b64 v[2:3], 3, v[20:21]
	v_and_b32_e32 v24, 7, v0
	v_mov_b32_e32 v25, 0
	s_waitcnt lgkmcnt(0)
	v_lshl_add_u64 v[4:5], s[4:5], 0, v[2:3]
	s_cmp_eq_u64 s[6:7], 0
	v_lshl_add_u64 v[2:3], s[6:7], 0, v[2:3]
	global_load_dwordx2 v[12:13], v[4:5], off
	v_lshl_add_u64 v[4:5], v[4:5], 0, 8
	s_cselect_b64 vcc, -1, 0
	v_cndmask_b32_e32 v3, v3, v5, vcc
	v_cndmask_b32_e32 v2, v2, v4, vcc
	global_load_dwordx2 v[2:3], v[2:3], off
	s_load_dword s2, s[0:1], 0x8
	s_load_dwordx2 s[4:5], s[0:1], 0x48
	s_waitcnt lgkmcnt(0)
	s_cmp_eq_u32 s2, 1
	s_waitcnt vmcnt(1)
	v_sub_co_u32_e32 v0, vcc, v12, v22
	s_nop 1
	v_subb_co_u32_e32 v1, vcc, v13, v23, vcc
	v_lshl_add_u64 v[26:27], v[0:1], 0, v[24:25]
	s_waitcnt vmcnt(0)
	v_sub_co_u32_e32 v28, vcc, v2, v22
	v_lshlrev_b64 v[0:1], 5, v[26:27]
	s_nop 0
	v_subb_co_u32_e32 v29, vcc, v3, v23, vcc
	v_lshl_add_u64 v[30:31], s[10:11], 0, v[0:1]
	v_cmp_lt_i64_e64 s[2:3], v[26:27], v[28:29]
	s_cbranch_scc1 .LBB101_27
; %bb.16:
	v_mov_b32_e32 v32, v25
	v_mov_b32_e32 v35, v25
	;; [unrolled: 1-line block ×3, first 2 shown]
	s_and_saveexec_b64 s[6:7], s[2:3]
	s_cbranch_execz .LBB101_26
; %bb.17:
	v_or_b32_e32 v0, 8, v24
	v_sub_co_u32_e32 v0, vcc, v0, v22
	v_not_b32_e32 v3, v13
	s_nop 0
	v_subb_co_u32_e32 v1, vcc, 0, v23, vcc
	v_lshl_add_u64 v[0:1], v[0:1], 0, v[12:13]
	v_cmp_gt_i64_e32 vcc, v[0:1], v[28:29]
	v_not_b32_e32 v2, v12
	v_mov_b32_e32 v35, 0
	v_cndmask_b32_e32 v1, v29, v1, vcc
	v_cndmask_b32_e32 v0, v28, v0, vcc
	v_sub_co_u32_e32 v4, vcc, v22, v24
	v_mov_b32_e32 v32, v35
	s_nop 0
	v_subbrev_co_u32_e32 v5, vcc, 0, v23, vcc
	v_lshl_add_u64 v[2:3], v[4:5], 0, v[2:3]
	v_lshl_add_u64 v[0:1], v[2:3], 0, v[0:1]
	v_and_b32_e32 v34, 24, v0
	v_cmp_ne_u64_e32 vcc, 24, v[34:35]
	v_mov_b32_e32 v34, v35
	v_mov_b32_e32 v33, v35
	v_mov_b64_e32 v[14:15], v[26:27]
	v_mov_b64_e32 v[16:17], v[30:31]
	s_and_saveexec_b64 s[10:11], vcc
	s_cbranch_execz .LBB101_21
; %bb.18:
	v_lshrrev_b32_e32 v2, 3, v0
	v_add_u32_e32 v2, 1, v2
	v_and_b32_e32 v4, 3, v2
	v_sub_co_u32_e32 v4, vcc, 0, v4
	v_mov_b32_e32 v33, 0
	s_nop 0
	v_subb_co_u32_e64 v5, s[18:19], 0, 0, vcc
	v_lshl_add_u64 v[2:3], v[26:27], 3, s[8:9]
	s_mov_b64 s[14:15], 0
	s_mov_b64 s[18:19], 0x100
	v_mov_b64_e32 v[16:17], v[30:31]
	v_mov_b64_e32 v[14:15], v[26:27]
	v_mov_b32_e32 v32, v33
	v_mov_b32_e32 v35, v33
	;; [unrolled: 1-line block ×3, first 2 shown]
.LBB101_19:                             ; =>This Inner Loop Header: Depth=1
	global_load_dwordx2 v[10:11], v[2:3], off
	global_load_dwordx4 v[6:9], v[16:17], off
	global_load_dwordx4 v[36:39], v[16:17], off offset:16
	v_lshl_add_u64 v[4:5], v[4:5], 0, 1
	v_lshl_add_u64 v[16:17], v[16:17], 0, s[18:19]
	;; [unrolled: 1-line block ×4, first 2 shown]
	s_waitcnt vmcnt(2)
	v_sub_co_u32_e32 v10, vcc, v10, v22
	s_nop 1
	v_subb_co_u32_e32 v11, vcc, v11, v23, vcc
	v_lshl_add_u64 v[10:11], v[10:11], 3, s[4:5]
	global_load_dwordx2 v[10:11], v[10:11], off
	s_waitcnt vmcnt(2)
	v_cvt_f32_f16_e32 v18, v6
	v_cvt_f32_f16_e32 v19, v8
	v_cvt_f32_f16_sdwa v41, v8 dst_sel:DWORD dst_unused:UNUSED_PAD src0_sel:WORD_1
	v_cvt_f32_f16_sdwa v40, v6 dst_sel:DWORD dst_unused:UNUSED_PAD src0_sel:WORD_1
	v_cvt_f32_f16_e32 v42, v7
	v_cvt_f32_f16_sdwa v8, v7 dst_sel:DWORD dst_unused:UNUSED_PAD src0_sel:WORD_1
	s_waitcnt vmcnt(1)
	v_cvt_f32_f16_e32 v6, v36
	v_cvt_f32_f16_e32 v7, v38
	v_cvt_f32_f16_sdwa v44, v36 dst_sel:DWORD dst_unused:UNUSED_PAD src0_sel:WORD_1
	v_cvt_f32_f16_sdwa v45, v38 dst_sel:DWORD dst_unused:UNUSED_PAD src0_sel:WORD_1
	v_cvt_f32_f16_e32 v43, v9
	v_cvt_f32_f16_e32 v47, v39
	v_cvt_f32_f16_e32 v46, v37
	v_cvt_f32_f16_sdwa v9, v9 dst_sel:DWORD dst_unused:UNUSED_PAD src0_sel:WORD_1
	v_cvt_f32_f16_sdwa v39, v39 dst_sel:DWORD dst_unused:UNUSED_PAD src0_sel:WORD_1
	;; [unrolled: 1-line block ×3, first 2 shown]
	v_cmp_eq_u64_e32 vcc, 0, v[4:5]
	s_or_b64 s[14:15], vcc, s[14:15]
	s_waitcnt vmcnt(0)
	v_cvt_f32_f16_e32 v36, v10
	v_cvt_f32_f16_sdwa v10, v10 dst_sel:DWORD dst_unused:UNUSED_PAD src0_sel:WORD_1
	v_cvt_f32_f16_e32 v48, v11
	v_cvt_f32_f16_sdwa v50, v11 dst_sel:DWORD dst_unused:UNUSED_PAD src0_sel:WORD_1
	v_pk_fma_f32 v[18:19], v[18:19], v[36:37], v[34:35] op_sel_hi:[1,0,1]
	v_pk_fma_f32 v[6:7], v[6:7], v[36:37], v[32:33] op_sel_hi:[1,0,1]
	;; [unrolled: 1-line block ×8, first 2 shown]
	s_andn2_b64 exec, exec, s[14:15]
	s_cbranch_execnz .LBB101_19
; %bb.20:
	s_or_b64 exec, exec, s[14:15]
.LBB101_21:
	s_or_b64 exec, exec, s[10:11]
	v_cmp_lt_u64_e32 vcc, 23, v[0:1]
	s_and_saveexec_b64 s[10:11], vcc
	s_cbranch_execz .LBB101_25
; %bb.22:
	v_lshl_add_u64 v[0:1], v[14:15], 3, s[8:9]
	s_mov_b64 s[14:15], 0x80
	v_lshl_add_u64 v[18:19], v[0:1], 0, s[14:15]
	s_mov_b64 s[14:15], 0
	s_mov_b64 s[18:19], 0x100
	;; [unrolled: 1-line block ×3, first 2 shown]
.LBB101_23:                             ; =>This Inner Loop Header: Depth=1
	global_load_dwordx2 v[56:57], v[18:19], off offset:-128
	global_load_dwordx4 v[8:11], v[16:17], off
	global_load_dwordx4 v[0:3], v[16:17], off offset:16
	global_load_dwordx2 v[58:59], v[18:19], off offset:-64
	global_load_dwordx2 v[60:61], v[18:19], off
	global_load_dwordx4 v[4:7], v[16:17], off offset:512
	global_load_dwordx4 v[36:39], v[16:17], off offset:256
	global_load_dwordx2 v[62:63], v[18:19], off offset:64
	global_load_dwordx4 v[40:43], v[16:17], off offset:528
	global_load_dwordx4 v[44:47], v[16:17], off offset:272
	;; [unrolled: 1-line block ×4, first 2 shown]
	v_lshl_add_u64 v[14:15], v[14:15], 0, 32
	v_cmp_ge_i64_e32 vcc, v[14:15], v[28:29]
	s_or_b64 s[14:15], vcc, s[14:15]
	v_lshl_add_u64 v[18:19], v[18:19], 0, s[18:19]
	v_lshl_add_u64 v[16:17], v[16:17], 0, s[20:21]
	s_waitcnt vmcnt(11)
	v_sub_co_u32_e32 v56, vcc, v56, v22
	s_nop 1
	v_subb_co_u32_e32 v57, vcc, v57, v23, vcc
	s_waitcnt vmcnt(8)
	v_sub_co_u32_e32 v58, vcc, v58, v22
	v_cvt_f32_f16_e32 v64, v8
	s_nop 0
	v_subb_co_u32_e32 v59, vcc, v59, v23, vcc
	s_waitcnt vmcnt(7)
	v_sub_co_u32_e32 v60, vcc, v60, v22
	v_cvt_f32_f16_sdwa v70, v8 dst_sel:DWORD dst_unused:UNUSED_PAD src0_sel:WORD_1
	s_nop 0
	v_subb_co_u32_e32 v61, vcc, v61, v23, vcc
	s_waitcnt vmcnt(5)
	v_cvt_f32_f16_e32 v8, v36
	v_cvt_f32_f16_sdwa v74, v36 dst_sel:DWORD dst_unused:UNUSED_PAD src0_sel:WORD_1
	v_cvt_f32_f16_e32 v36, v4
	v_cvt_f32_f16_sdwa v78, v4 dst_sel:DWORD dst_unused:UNUSED_PAD src0_sel:WORD_1
	s_waitcnt vmcnt(4)
	v_sub_co_u32_e32 v4, vcc, v62, v22
	v_cvt_f32_f16_sdwa v68, v5 dst_sel:DWORD dst_unused:UNUSED_PAD src0_sel:WORD_1
	v_cvt_f32_f16_e32 v80, v5
	v_subb_co_u32_e32 v5, vcc, v63, v23, vcc
	v_lshl_add_u64 v[56:57], v[56:57], 3, s[4:5]
	v_lshl_add_u64 v[58:59], v[58:59], 3, s[4:5]
	;; [unrolled: 1-line block ×4, first 2 shown]
	global_load_dwordx2 v[62:63], v[56:57], off
	global_load_dwordx2 v[82:83], v[58:59], off
	;; [unrolled: 1-line block ×4, first 2 shown]
	v_cvt_f32_f16_e32 v65, v10
	v_cvt_f32_f16_e32 v66, v0
	;; [unrolled: 1-line block ×3, first 2 shown]
	v_cvt_f32_f16_sdwa v71, v10 dst_sel:DWORD dst_unused:UNUSED_PAD src0_sel:WORD_1
	v_cvt_f32_f16_e32 v72, v9
	v_cvt_f32_f16_sdwa v10, v9 dst_sel:DWORD dst_unused:UNUSED_PAD src0_sel:WORD_1
	v_cvt_f32_f16_e32 v9, v38
	;; [unrolled: 2-line block ×5, first 2 shown]
	v_cvt_f32_f16_sdwa v69, v7 dst_sel:DWORD dst_unused:UNUSED_PAD src0_sel:WORD_1
	v_cvt_f32_f16_sdwa v7, v2 dst_sel:DWORD dst_unused:UNUSED_PAD src0_sel:WORD_1
	;; [unrolled: 1-line block ×3, first 2 shown]
	v_cvt_f32_f16_e32 v56, v1
	v_cvt_f32_f16_sdwa v2, v1 dst_sel:DWORD dst_unused:UNUSED_PAD src0_sel:WORD_1
	s_waitcnt vmcnt(6)
	v_cvt_f32_f16_e32 v1, v46
	v_cvt_f32_f16_e32 v0, v44
	v_cvt_f32_f16_sdwa v59, v46 dst_sel:DWORD dst_unused:UNUSED_PAD src0_sel:WORD_1
	v_cvt_f32_f16_sdwa v58, v44 dst_sel:DWORD dst_unused:UNUSED_PAD src0_sel:WORD_1
	v_cvt_f32_f16_e32 v60, v45
	v_cvt_f32_f16_sdwa v46, v45 dst_sel:DWORD dst_unused:UNUSED_PAD src0_sel:WORD_1
	v_cvt_f32_f16_e32 v45, v42
	v_cvt_f32_f16_e32 v44, v40
	v_cvt_f32_f16_sdwa v89, v42 dst_sel:DWORD dst_unused:UNUSED_PAD src0_sel:WORD_1
	v_cvt_f32_f16_sdwa v88, v40 dst_sel:DWORD dst_unused:UNUSED_PAD src0_sel:WORD_1
	s_waitcnt vmcnt(5)
	v_cvt_f32_f16_e32 v40, v48
	v_cvt_f32_f16_sdwa v42, v48 dst_sel:DWORD dst_unused:UNUSED_PAD src0_sel:WORD_1
	s_waitcnt vmcnt(4)
	v_cvt_f32_f16_e32 v48, v52
	v_cvt_f32_f16_sdwa v94, v52 dst_sel:DWORD dst_unused:UNUSED_PAD src0_sel:WORD_1
	v_cvt_f32_f16_e32 v73, v11
	v_cvt_f32_f16_e32 v57, v3
	v_cvt_f32_f16_sdwa v11, v11 dst_sel:DWORD dst_unused:UNUSED_PAD src0_sel:WORD_1
	v_cvt_f32_f16_sdwa v3, v3 dst_sel:DWORD dst_unused:UNUSED_PAD src0_sel:WORD_1
	v_cvt_f32_f16_e32 v77, v39
	v_cvt_f32_f16_e32 v61, v47
	v_cvt_f32_f16_sdwa v39, v39 dst_sel:DWORD dst_unused:UNUSED_PAD src0_sel:WORD_1
	;; [unrolled: 4-line block ×3, first 2 shown]
	v_cvt_f32_f16_sdwa v5, v43 dst_sel:DWORD dst_unused:UNUSED_PAD src0_sel:WORD_1
	v_cvt_f32_f16_e32 v41, v50
	v_cvt_f32_f16_sdwa v43, v50 dst_sel:DWORD dst_unused:UNUSED_PAD src0_sel:WORD_1
	v_cvt_f32_f16_e32 v92, v49
	;; [unrolled: 2-line block ×4, first 2 shown]
	v_cvt_f32_f16_e32 v97, v55
	v_cvt_f32_f16_e32 v96, v53
	v_cvt_f32_f16_sdwa v51, v51 dst_sel:DWORD dst_unused:UNUSED_PAD src0_sel:WORD_1
	v_cvt_f32_f16_sdwa v55, v55 dst_sel:DWORD dst_unused:UNUSED_PAD src0_sel:WORD_1
	;; [unrolled: 1-line block ×3, first 2 shown]
	s_waitcnt vmcnt(3)
	v_cvt_f32_f16_e32 v52, v62
	v_cvt_f32_f16_sdwa v62, v62 dst_sel:DWORD dst_unused:UNUSED_PAD src0_sel:WORD_1
	v_cvt_f32_f16_e32 v98, v63
	v_cvt_f32_f16_sdwa v100, v63 dst_sel:DWORD dst_unused:UNUSED_PAD src0_sel:WORD_1
	v_pk_fma_f32 v[34:35], v[64:65], v[52:53], v[34:35] op_sel_hi:[1,0,1]
	s_waitcnt vmcnt(2)
	v_cvt_f32_f16_e32 v64, v82
	v_pk_fma_f32 v[32:33], v[66:67], v[52:53], v[32:33] op_sel_hi:[1,0,1]
	v_cvt_f32_f16_sdwa v52, v82 dst_sel:DWORD dst_unused:UNUSED_PAD src0_sel:WORD_1
	v_pk_fma_f32 v[34:35], v[70:71], v[62:63], v[34:35] op_sel_hi:[1,0,1]
	v_pk_fma_f32 v[6:7], v[6:7], v[62:63], v[32:33] op_sel_hi:[1,0,1]
	v_cvt_f32_f16_e32 v66, v83
	v_pk_fma_f32 v[34:35], v[72:73], v[98:99], v[34:35] op_sel_hi:[1,0,1]
	v_pk_fma_f32 v[6:7], v[56:57], v[98:99], v[6:7] op_sel_hi:[1,0,1]
	v_cvt_f32_f16_sdwa v82, v83 dst_sel:DWORD dst_unused:UNUSED_PAD src0_sel:WORD_1
	v_pk_fma_f32 v[10:11], v[10:11], v[100:101], v[34:35] op_sel_hi:[1,0,1]
	v_pk_fma_f32 v[2:3], v[2:3], v[100:101], v[6:7] op_sel_hi:[1,0,1]
	s_waitcnt vmcnt(1)
	v_cvt_f32_f16_e32 v70, v84
	v_pk_fma_f32 v[6:7], v[8:9], v[64:65], v[10:11] op_sel_hi:[1,0,1]
	v_pk_fma_f32 v[0:1], v[0:1], v[64:65], v[2:3] op_sel_hi:[1,0,1]
	v_cvt_f32_f16_sdwa v32, v84 dst_sel:DWORD dst_unused:UNUSED_PAD src0_sel:WORD_1
	v_pk_fma_f32 v[2:3], v[74:75], v[52:53], v[6:7] op_sel_hi:[1,0,1]
	v_pk_fma_f32 v[0:1], v[58:59], v[52:53], v[0:1] op_sel_hi:[1,0,1]
	v_cvt_f32_f16_e32 v62, v85
	v_pk_fma_f32 v[2:3], v[76:77], v[66:67], v[2:3] op_sel_hi:[1,0,1]
	v_pk_fma_f32 v[0:1], v[60:61], v[66:67], v[0:1] op_sel_hi:[1,0,1]
	v_cvt_f32_f16_sdwa v84, v85 dst_sel:DWORD dst_unused:UNUSED_PAD src0_sel:WORD_1
	v_pk_fma_f32 v[2:3], v[38:39], v[82:83], v[2:3] op_sel_hi:[1,0,1]
	v_pk_fma_f32 v[0:1], v[46:47], v[82:83], v[0:1] op_sel_hi:[1,0,1]
	s_waitcnt vmcnt(0)
	v_cvt_f32_f16_e32 v72, v86
	v_pk_fma_f32 v[2:3], v[36:37], v[70:71], v[2:3] op_sel_hi:[1,0,1]
	v_pk_fma_f32 v[0:1], v[44:45], v[70:71], v[0:1] op_sel_hi:[1,0,1]
	v_cvt_f32_f16_sdwa v56, v86 dst_sel:DWORD dst_unused:UNUSED_PAD src0_sel:WORD_1
	v_pk_fma_f32 v[2:3], v[78:79], v[32:33], v[2:3] op_sel_hi:[1,0,1]
	v_pk_fma_f32 v[0:1], v[88:89], v[32:33], v[0:1] op_sel_hi:[1,0,1]
	v_cvt_f32_f16_e32 v86, v87
	v_pk_fma_f32 v[2:3], v[80:81], v[62:63], v[2:3] op_sel_hi:[1,0,1]
	v_pk_fma_f32 v[0:1], v[90:91], v[62:63], v[0:1] op_sel_hi:[1,0,1]
	v_cvt_f32_f16_sdwa v98, v87 dst_sel:DWORD dst_unused:UNUSED_PAD src0_sel:WORD_1
	v_pk_fma_f32 v[2:3], v[68:69], v[84:85], v[2:3] op_sel_hi:[1,0,1]
	v_pk_fma_f32 v[0:1], v[4:5], v[84:85], v[0:1] op_sel_hi:[1,0,1]
	;; [unrolled: 1-line block ×10, first 2 shown]
	s_andn2_b64 exec, exec, s[14:15]
	s_cbranch_execnz .LBB101_23
; %bb.24:
	s_or_b64 exec, exec, s[14:15]
.LBB101_25:
	s_or_b64 exec, exec, s[10:11]
	v_mov_b32_e32 v25, v33
.LBB101_26:
	s_or_b64 exec, exec, s[6:7]
	v_mov_b32_e32 v33, v25
	s_cbranch_execz .LBB101_28
	s_branch .LBB101_39
.LBB101_27:
                                        ; implicit-def: $vgpr33
                                        ; implicit-def: $vgpr35
.LBB101_28:
	v_mov_b32_e32 v33, 0
	v_mov_b32_e32 v32, 0
	;; [unrolled: 1-line block ×4, first 2 shown]
	s_and_saveexec_b64 s[6:7], s[2:3]
	s_cbranch_execz .LBB101_38
; %bb.29:
	v_or_b32_e32 v0, 8, v24
	v_sub_co_u32_e32 v0, vcc, v0, v22
	v_not_b32_e32 v3, v13
	s_nop 0
	v_subb_co_u32_e32 v1, vcc, 0, v23, vcc
	v_lshl_add_u64 v[0:1], v[0:1], 0, v[12:13]
	v_cmp_gt_i64_e32 vcc, v[0:1], v[28:29]
	v_not_b32_e32 v2, v12
	v_mov_b32_e32 v35, 0
	v_cndmask_b32_e32 v1, v29, v1, vcc
	v_cndmask_b32_e32 v0, v28, v0, vcc
	v_sub_co_u32_e32 v4, vcc, v22, v24
	v_mov_b32_e32 v32, v35
	s_nop 0
	v_subbrev_co_u32_e32 v5, vcc, 0, v23, vcc
	v_lshl_add_u64 v[2:3], v[4:5], 0, v[2:3]
	v_lshl_add_u64 v[0:1], v[2:3], 0, v[0:1]
	v_and_b32_e32 v34, 24, v0
	v_cmp_ne_u64_e32 vcc, 24, v[34:35]
	v_mov_b32_e32 v34, v35
	v_mov_b32_e32 v33, v35
	s_and_saveexec_b64 s[2:3], vcc
	s_cbranch_execz .LBB101_33
; %bb.30:
	v_lshrrev_b32_e32 v2, 3, v0
	v_add_u32_e32 v2, 1, v2
	v_and_b32_e32 v4, 3, v2
	v_sub_co_u32_e32 v4, vcc, 0, v4
	v_mov_b32_e32 v33, 0
	s_nop 0
	v_subb_co_u32_e64 v5, s[14:15], 0, 0, vcc
	v_lshl_add_u64 v[2:3], v[26:27], 3, s[8:9]
	s_mov_b64 s[10:11], 0
	s_mov_b64 s[14:15], 0x100
	v_mov_b32_e32 v32, v33
	v_mov_b32_e32 v35, v33
	;; [unrolled: 1-line block ×3, first 2 shown]
.LBB101_31:                             ; =>This Inner Loop Header: Depth=1
	global_load_dwordx2 v[10:11], v[2:3], off
	global_load_dwordx4 v[6:9], v[30:31], off
	v_lshl_add_u64 v[4:5], v[4:5], 0, 1
	v_lshl_add_u64 v[26:27], v[26:27], 0, 8
	;; [unrolled: 1-line block ×3, first 2 shown]
	s_waitcnt vmcnt(1)
	v_sub_co_u32_e32 v10, vcc, v10, v22
	s_nop 1
	v_subb_co_u32_e32 v11, vcc, v11, v23, vcc
	v_lshl_add_u64 v[14:15], v[10:11], 3, s[4:5]
	global_load_dwordx2 v[16:17], v[14:15], off
	global_load_dwordx4 v[10:13], v[30:31], off offset:16
	s_waitcnt vmcnt(2)
	v_cvt_f32_f16_sdwa v15, v6 dst_sel:DWORD dst_unused:UNUSED_PAD src0_sel:WORD_1
	v_cvt_f32_f16_e32 v14, v6
	v_cvt_f32_f16_sdwa v19, v7 dst_sel:DWORD dst_unused:UNUSED_PAD src0_sel:WORD_1
	v_cvt_f32_f16_e32 v18, v7
	v_cvt_f32_f16_sdwa v7, v8 dst_sel:DWORD dst_unused:UNUSED_PAD src0_sel:WORD_1
	v_cvt_f32_f16_e32 v6, v8
	v_cvt_f32_f16_sdwa v41, v9 dst_sel:DWORD dst_unused:UNUSED_PAD src0_sel:WORD_1
	v_cvt_f32_f16_e32 v40, v9
	v_cmp_eq_u64_e32 vcc, 0, v[4:5]
	v_lshl_add_u64 v[30:31], v[30:31], 0, s[14:15]
	s_or_b64 s[10:11], vcc, s[10:11]
	s_waitcnt vmcnt(1)
	v_cvt_f32_f16_e32 v42, v17
	s_waitcnt vmcnt(0)
	v_cvt_f32_f16_sdwa v39, v12 dst_sel:DWORD dst_unused:UNUSED_PAD src0_sel:WORD_1
	v_cvt_f32_f16_e32 v38, v12
	v_cvt_f32_f16_e32 v12, v16
	v_cvt_f32_f16_sdwa v16, v16 dst_sel:DWORD dst_unused:UNUSED_PAD src0_sel:WORD_1
	v_cvt_f32_f16_sdwa v37, v10 dst_sel:DWORD dst_unused:UNUSED_PAD src0_sel:WORD_1
	v_cvt_f32_f16_e32 v36, v10
	v_cvt_f32_f16_sdwa v9, v11 dst_sel:DWORD dst_unused:UNUSED_PAD src0_sel:WORD_1
	v_cvt_f32_f16_e32 v8, v11
	;; [unrolled: 2-line block ×3, first 2 shown]
	v_cvt_f32_f16_sdwa v44, v17 dst_sel:DWORD dst_unused:UNUSED_PAD src0_sel:WORD_1
	v_pk_fma_f32 v[14:15], v[14:15], v[12:13], v[34:35] op_sel_hi:[1,0,1]
	v_pk_fma_f32 v[12:13], v[18:19], v[12:13], v[32:33] op_sel_hi:[1,0,1]
	;; [unrolled: 1-line block ×8, first 2 shown]
	s_andn2_b64 exec, exec, s[10:11]
	s_cbranch_execnz .LBB101_31
; %bb.32:
	s_or_b64 exec, exec, s[10:11]
.LBB101_33:
	s_or_b64 exec, exec, s[2:3]
	v_cmp_lt_u64_e32 vcc, 23, v[0:1]
	s_and_saveexec_b64 s[2:3], vcc
	s_cbranch_execz .LBB101_37
; %bb.34:
	v_lshl_add_u64 v[0:1], v[26:27], 3, s[8:9]
	s_mov_b64 s[8:9], 0x80
	v_lshl_add_u64 v[36:37], v[0:1], 0, s[8:9]
	s_mov_b64 s[8:9], 0
	s_mov_b64 s[10:11], 0x100
	;; [unrolled: 1-line block ×3, first 2 shown]
.LBB101_35:                             ; =>This Inner Loop Header: Depth=1
	global_load_dwordx4 v[0:3], v[30:31], off
	global_load_dwordx4 v[4:7], v[30:31], off offset:16
	global_load_dwordx4 v[8:11], v[30:31], off offset:256
	;; [unrolled: 1-line block ×4, first 2 shown]
	global_load_dwordx2 v[50:51], v[36:37], off offset:-128
	global_load_dwordx2 v[52:53], v[36:37], off offset:-64
	global_load_dwordx2 v[54:55], v[36:37], off
	global_load_dwordx2 v[56:57], v[36:37], off offset:64
	global_load_dwordx4 v[38:41], v[30:31], off offset:528
	global_load_dwordx4 v[42:45], v[30:31], off offset:768
	;; [unrolled: 1-line block ×3, first 2 shown]
	v_lshl_add_u64 v[26:27], v[26:27], 0, 32
	v_cmp_ge_i64_e32 vcc, v[26:27], v[28:29]
	s_or_b64 s[8:9], vcc, s[8:9]
	v_lshl_add_u64 v[36:37], v[36:37], 0, s[10:11]
	v_lshl_add_u64 v[30:31], v[30:31], 0, s[14:15]
	s_waitcnt vmcnt(11)
	v_cvt_f32_f16_sdwa v59, v0 dst_sel:DWORD dst_unused:UNUSED_PAD src0_sel:WORD_1
	v_cvt_f32_f16_e32 v58, v0
	v_cvt_f32_f16_sdwa v61, v1 dst_sel:DWORD dst_unused:UNUSED_PAD src0_sel:WORD_1
	v_cvt_f32_f16_e32 v60, v1
	v_cvt_f32_f16_sdwa v1, v2 dst_sel:DWORD dst_unused:UNUSED_PAD src0_sel:WORD_1
	s_waitcnt vmcnt(6)
	v_sub_co_u32_e32 v50, vcc, v50, v22
	v_cvt_f32_f16_e32 v0, v2
	s_nop 0
	v_subb_co_u32_e32 v51, vcc, v51, v23, vcc
	s_waitcnt vmcnt(5)
	v_sub_co_u32_e32 v52, vcc, v52, v22
	v_lshl_add_u64 v[50:51], v[50:51], 3, s[4:5]
	s_nop 0
	v_subb_co_u32_e32 v53, vcc, v53, v23, vcc
	s_waitcnt vmcnt(4)
	v_sub_co_u32_e32 v54, vcc, v54, v22
	v_lshl_add_u64 v[52:53], v[52:53], 3, s[4:5]
	;; [unrolled: 5-line block ×3, first 2 shown]
	s_nop 0
	v_subb_co_u32_e32 v57, vcc, v57, v23, vcc
	v_lshl_add_u64 v[56:57], v[56:57], 3, s[4:5]
	global_load_dwordx2 v[78:79], v[50:51], off
	global_load_dwordx2 v[80:81], v[52:53], off
	;; [unrolled: 1-line block ×4, first 2 shown]
	s_waitcnt vmcnt(4)
	v_cvt_f32_f16_sdwa v89, v48 dst_sel:DWORD dst_unused:UNUSED_PAD src0_sel:WORD_1
	v_cvt_f32_f16_e32 v88, v48
	v_cvt_f32_f16_sdwa v77, v3 dst_sel:DWORD dst_unused:UNUSED_PAD src0_sel:WORD_1
	v_cvt_f32_f16_e32 v76, v3
	;; [unrolled: 2-line block ×29, first 2 shown]
	s_waitcnt vmcnt(3)
	v_cvt_f32_f16_e32 v48, v78
	v_cvt_f32_f16_sdwa v78, v78 dst_sel:DWORD dst_unused:UNUSED_PAD src0_sel:WORD_1
	v_cvt_f32_f16_e32 v92, v79
	v_cvt_f32_f16_sdwa v94, v79 dst_sel:DWORD dst_unused:UNUSED_PAD src0_sel:WORD_1
	v_pk_fma_f32 v[34:35], v[58:59], v[48:49], v[34:35] op_sel_hi:[1,0,1]
	s_waitcnt vmcnt(2)
	v_cvt_f32_f16_e32 v58, v80
	v_pk_fma_f32 v[32:33], v[60:61], v[48:49], v[32:33] op_sel_hi:[1,0,1]
	v_cvt_f32_f16_sdwa v48, v80 dst_sel:DWORD dst_unused:UNUSED_PAD src0_sel:WORD_1
	v_pk_fma_f32 v[0:1], v[0:1], v[78:79], v[34:35] op_sel_hi:[1,0,1]
	v_pk_fma_f32 v[32:33], v[76:77], v[78:79], v[32:33] op_sel_hi:[1,0,1]
	v_cvt_f32_f16_e32 v60, v81
	v_pk_fma_f32 v[0:1], v[62:63], v[92:93], v[0:1] op_sel_hi:[1,0,1]
	v_pk_fma_f32 v[2:3], v[2:3], v[92:93], v[32:33] op_sel_hi:[1,0,1]
	v_cvt_f32_f16_sdwa v80, v81 dst_sel:DWORD dst_unused:UNUSED_PAD src0_sel:WORD_1
	v_pk_fma_f32 v[0:1], v[64:65], v[94:95], v[0:1] op_sel_hi:[1,0,1]
	v_pk_fma_f32 v[2:3], v[4:5], v[94:95], v[2:3] op_sel_hi:[1,0,1]
	s_waitcnt vmcnt(1)
	v_cvt_f32_f16_e32 v34, v82
	v_pk_fma_f32 v[0:1], v[66:67], v[58:59], v[0:1] op_sel_hi:[1,0,1]
	v_pk_fma_f32 v[2:3], v[6:7], v[58:59], v[2:3] op_sel_hi:[1,0,1]
	v_cvt_f32_f16_sdwa v76, v82 dst_sel:DWORD dst_unused:UNUSED_PAD src0_sel:WORD_1
	v_pk_fma_f32 v[0:1], v[68:69], v[48:49], v[0:1] op_sel_hi:[1,0,1]
	v_pk_fma_f32 v[2:3], v[8:9], v[48:49], v[2:3] op_sel_hi:[1,0,1]
	v_cvt_f32_f16_e32 v78, v83
	v_pk_fma_f32 v[0:1], v[70:71], v[60:61], v[0:1] op_sel_hi:[1,0,1]
	v_pk_fma_f32 v[2:3], v[10:11], v[60:61], v[2:3] op_sel_hi:[1,0,1]
	v_cvt_f32_f16_sdwa v82, v83 dst_sel:DWORD dst_unused:UNUSED_PAD src0_sel:WORD_1
	v_pk_fma_f32 v[0:1], v[72:73], v[80:81], v[0:1] op_sel_hi:[1,0,1]
	v_pk_fma_f32 v[2:3], v[12:13], v[80:81], v[2:3] op_sel_hi:[1,0,1]
	s_waitcnt vmcnt(0)
	v_cvt_f32_f16_e32 v62, v84
	v_pk_fma_f32 v[0:1], v[74:75], v[34:35], v[0:1] op_sel_hi:[1,0,1]
	v_pk_fma_f32 v[2:3], v[50:51], v[34:35], v[2:3] op_sel_hi:[1,0,1]
	v_cvt_f32_f16_sdwa v32, v84 dst_sel:DWORD dst_unused:UNUSED_PAD src0_sel:WORD_1
	v_pk_fma_f32 v[0:1], v[14:15], v[76:77], v[0:1] op_sel_hi:[1,0,1]
	v_pk_fma_f32 v[2:3], v[16:17], v[76:77], v[2:3] op_sel_hi:[1,0,1]
	v_cvt_f32_f16_e32 v84, v85
	v_pk_fma_f32 v[0:1], v[18:19], v[78:79], v[0:1] op_sel_hi:[1,0,1]
	v_pk_fma_f32 v[2:3], v[52:53], v[78:79], v[2:3] op_sel_hi:[1,0,1]
	v_cvt_f32_f16_sdwa v92, v85 dst_sel:DWORD dst_unused:UNUSED_PAD src0_sel:WORD_1
	v_pk_fma_f32 v[0:1], v[38:39], v[82:83], v[0:1] op_sel_hi:[1,0,1]
	v_pk_fma_f32 v[2:3], v[54:55], v[82:83], v[2:3] op_sel_hi:[1,0,1]
	;; [unrolled: 1-line block ×10, first 2 shown]
	s_andn2_b64 exec, exec, s[8:9]
	s_cbranch_execnz .LBB101_35
; %bb.36:
	s_or_b64 exec, exec, s[8:9]
.LBB101_37:
	s_or_b64 exec, exec, s[2:3]
.LBB101_38:
	s_or_b64 exec, exec, s[6:7]
.LBB101_39:
	v_mov_b32_dpp v0, v34 row_shr:1 row_mask:0xf bank_mask:0xf
	v_mov_b32_dpp v1, v35 row_shr:1 row_mask:0xf bank_mask:0xf
	;; [unrolled: 1-line block ×4, first 2 shown]
	v_pk_add_f32 v[0:1], v[34:35], v[0:1]
	v_pk_add_f32 v[4:5], v[32:33], v[4:5]
	v_cmp_eq_u32_e32 vcc, 7, v24
	v_mov_b32_dpp v2, v0 row_shr:2 row_mask:0xf bank_mask:0xf
	v_mov_b32_dpp v3, v1 row_shr:2 row_mask:0xf bank_mask:0xf
	;; [unrolled: 1-line block ×4, first 2 shown]
	v_pk_add_f32 v[0:1], v[0:1], v[2:3]
	v_pk_add_f32 v[6:7], v[4:5], v[6:7]
	s_nop 0
	v_mov_b32_dpp v2, v0 row_shr:4 row_mask:0xf bank_mask:0xe
	v_mov_b32_dpp v3, v1 row_shr:4 row_mask:0xf bank_mask:0xe
	;; [unrolled: 1-line block ×4, first 2 shown]
	s_and_b64 exec, exec, vcc
	s_cbranch_execz .LBB101_10
; %bb.40:
	s_load_dwordx2 s[0:1], s[0:1], 0x58
	v_cmp_eq_f32_e64 s[2:3], s16, 0
	v_pk_add_f32 v[4:5], v[0:1], v[2:3]
	v_pk_add_f32 v[2:3], v[6:7], v[8:9]
	s_and_b64 vcc, exec, s[2:3]
	s_waitcnt lgkmcnt(0)
	v_lshl_add_u64 v[0:1], v[20:21], 4, s[0:1]
	s_cbranch_vccz .LBB101_42
; %bb.41:
	v_pk_mul_f32 v[6:7], s[12:13], v[4:5] op_sel_hi:[0,1]
	v_pk_mul_f32 v[8:9], s[12:13], v[2:3] op_sel_hi:[0,1]
	global_store_dwordx4 v[0:1], v[6:9], off
	s_cbranch_execnz .LBB101_10
	s_branch .LBB101_43
.LBB101_42:
.LBB101_43:
	global_load_dwordx4 v[6:9], v[0:1], off
	v_pk_mul_f32 v[4:5], s[12:13], v[4:5] op_sel_hi:[0,1]
	v_pk_mul_f32 v[10:11], s[12:13], v[2:3] op_sel_hi:[0,1]
	s_waitcnt vmcnt(0)
	v_pk_fma_f32 v[2:3], s[16:17], v[6:7], v[4:5] op_sel_hi:[0,1,1]
	v_pk_fma_f32 v[4:5], s[16:17], v[8:9], v[10:11] op_sel_hi:[0,1,1]
	global_store_dwordx4 v[0:1], v[2:5], off
	s_endpgm
	.section	.rodata,"a",@progbits
	.p2align	6, 0x0
	.amdhsa_kernel _ZN9rocsparseL18bsrxmvn_4x4_kernelILj128ELj8EfllDF16_DF16_fEEvT3_20rocsparse_direction_NS_24const_host_device_scalarIT1_EES1_PKS1_PKT2_SA_S7_PKT4_PKT5_S5_PT6_21rocsparse_index_base_b
		.amdhsa_group_segment_fixed_size 0
		.amdhsa_private_segment_fixed_size 0
		.amdhsa_kernarg_size 104
		.amdhsa_user_sgpr_count 2
		.amdhsa_user_sgpr_dispatch_ptr 0
		.amdhsa_user_sgpr_queue_ptr 0
		.amdhsa_user_sgpr_kernarg_segment_ptr 1
		.amdhsa_user_sgpr_dispatch_id 0
		.amdhsa_user_sgpr_kernarg_preload_length 0
		.amdhsa_user_sgpr_kernarg_preload_offset 0
		.amdhsa_user_sgpr_private_segment_size 0
		.amdhsa_uses_dynamic_stack 0
		.amdhsa_enable_private_segment 0
		.amdhsa_system_sgpr_workgroup_id_x 1
		.amdhsa_system_sgpr_workgroup_id_y 0
		.amdhsa_system_sgpr_workgroup_id_z 0
		.amdhsa_system_sgpr_workgroup_info 0
		.amdhsa_system_vgpr_workitem_id 0
		.amdhsa_next_free_vgpr 102
		.amdhsa_next_free_sgpr 22
		.amdhsa_accum_offset 104
		.amdhsa_reserve_vcc 1
		.amdhsa_float_round_mode_32 0
		.amdhsa_float_round_mode_16_64 0
		.amdhsa_float_denorm_mode_32 3
		.amdhsa_float_denorm_mode_16_64 3
		.amdhsa_dx10_clamp 1
		.amdhsa_ieee_mode 1
		.amdhsa_fp16_overflow 0
		.amdhsa_tg_split 0
		.amdhsa_exception_fp_ieee_invalid_op 0
		.amdhsa_exception_fp_denorm_src 0
		.amdhsa_exception_fp_ieee_div_zero 0
		.amdhsa_exception_fp_ieee_overflow 0
		.amdhsa_exception_fp_ieee_underflow 0
		.amdhsa_exception_fp_ieee_inexact 0
		.amdhsa_exception_int_div_zero 0
	.end_amdhsa_kernel
	.section	.text._ZN9rocsparseL18bsrxmvn_4x4_kernelILj128ELj8EfllDF16_DF16_fEEvT3_20rocsparse_direction_NS_24const_host_device_scalarIT1_EES1_PKS1_PKT2_SA_S7_PKT4_PKT5_S5_PT6_21rocsparse_index_base_b,"axG",@progbits,_ZN9rocsparseL18bsrxmvn_4x4_kernelILj128ELj8EfllDF16_DF16_fEEvT3_20rocsparse_direction_NS_24const_host_device_scalarIT1_EES1_PKS1_PKT2_SA_S7_PKT4_PKT5_S5_PT6_21rocsparse_index_base_b,comdat
.Lfunc_end101:
	.size	_ZN9rocsparseL18bsrxmvn_4x4_kernelILj128ELj8EfllDF16_DF16_fEEvT3_20rocsparse_direction_NS_24const_host_device_scalarIT1_EES1_PKS1_PKT2_SA_S7_PKT4_PKT5_S5_PT6_21rocsparse_index_base_b, .Lfunc_end101-_ZN9rocsparseL18bsrxmvn_4x4_kernelILj128ELj8EfllDF16_DF16_fEEvT3_20rocsparse_direction_NS_24const_host_device_scalarIT1_EES1_PKS1_PKT2_SA_S7_PKT4_PKT5_S5_PT6_21rocsparse_index_base_b
                                        ; -- End function
	.set _ZN9rocsparseL18bsrxmvn_4x4_kernelILj128ELj8EfllDF16_DF16_fEEvT3_20rocsparse_direction_NS_24const_host_device_scalarIT1_EES1_PKS1_PKT2_SA_S7_PKT4_PKT5_S5_PT6_21rocsparse_index_base_b.num_vgpr, 102
	.set _ZN9rocsparseL18bsrxmvn_4x4_kernelILj128ELj8EfllDF16_DF16_fEEvT3_20rocsparse_direction_NS_24const_host_device_scalarIT1_EES1_PKS1_PKT2_SA_S7_PKT4_PKT5_S5_PT6_21rocsparse_index_base_b.num_agpr, 0
	.set _ZN9rocsparseL18bsrxmvn_4x4_kernelILj128ELj8EfllDF16_DF16_fEEvT3_20rocsparse_direction_NS_24const_host_device_scalarIT1_EES1_PKS1_PKT2_SA_S7_PKT4_PKT5_S5_PT6_21rocsparse_index_base_b.numbered_sgpr, 22
	.set _ZN9rocsparseL18bsrxmvn_4x4_kernelILj128ELj8EfllDF16_DF16_fEEvT3_20rocsparse_direction_NS_24const_host_device_scalarIT1_EES1_PKS1_PKT2_SA_S7_PKT4_PKT5_S5_PT6_21rocsparse_index_base_b.num_named_barrier, 0
	.set _ZN9rocsparseL18bsrxmvn_4x4_kernelILj128ELj8EfllDF16_DF16_fEEvT3_20rocsparse_direction_NS_24const_host_device_scalarIT1_EES1_PKS1_PKT2_SA_S7_PKT4_PKT5_S5_PT6_21rocsparse_index_base_b.private_seg_size, 0
	.set _ZN9rocsparseL18bsrxmvn_4x4_kernelILj128ELj8EfllDF16_DF16_fEEvT3_20rocsparse_direction_NS_24const_host_device_scalarIT1_EES1_PKS1_PKT2_SA_S7_PKT4_PKT5_S5_PT6_21rocsparse_index_base_b.uses_vcc, 1
	.set _ZN9rocsparseL18bsrxmvn_4x4_kernelILj128ELj8EfllDF16_DF16_fEEvT3_20rocsparse_direction_NS_24const_host_device_scalarIT1_EES1_PKS1_PKT2_SA_S7_PKT4_PKT5_S5_PT6_21rocsparse_index_base_b.uses_flat_scratch, 0
	.set _ZN9rocsparseL18bsrxmvn_4x4_kernelILj128ELj8EfllDF16_DF16_fEEvT3_20rocsparse_direction_NS_24const_host_device_scalarIT1_EES1_PKS1_PKT2_SA_S7_PKT4_PKT5_S5_PT6_21rocsparse_index_base_b.has_dyn_sized_stack, 0
	.set _ZN9rocsparseL18bsrxmvn_4x4_kernelILj128ELj8EfllDF16_DF16_fEEvT3_20rocsparse_direction_NS_24const_host_device_scalarIT1_EES1_PKS1_PKT2_SA_S7_PKT4_PKT5_S5_PT6_21rocsparse_index_base_b.has_recursion, 0
	.set _ZN9rocsparseL18bsrxmvn_4x4_kernelILj128ELj8EfllDF16_DF16_fEEvT3_20rocsparse_direction_NS_24const_host_device_scalarIT1_EES1_PKS1_PKT2_SA_S7_PKT4_PKT5_S5_PT6_21rocsparse_index_base_b.has_indirect_call, 0
	.section	.AMDGPU.csdata,"",@progbits
; Kernel info:
; codeLenInByte = 3948
; TotalNumSgprs: 28
; NumVgprs: 102
; NumAgprs: 0
; TotalNumVgprs: 102
; ScratchSize: 0
; MemoryBound: 0
; FloatMode: 240
; IeeeMode: 1
; LDSByteSize: 0 bytes/workgroup (compile time only)
; SGPRBlocks: 3
; VGPRBlocks: 12
; NumSGPRsForWavesPerEU: 28
; NumVGPRsForWavesPerEU: 102
; AccumOffset: 104
; Occupancy: 4
; WaveLimiterHint : 1
; COMPUTE_PGM_RSRC2:SCRATCH_EN: 0
; COMPUTE_PGM_RSRC2:USER_SGPR: 2
; COMPUTE_PGM_RSRC2:TRAP_HANDLER: 0
; COMPUTE_PGM_RSRC2:TGID_X_EN: 1
; COMPUTE_PGM_RSRC2:TGID_Y_EN: 0
; COMPUTE_PGM_RSRC2:TGID_Z_EN: 0
; COMPUTE_PGM_RSRC2:TIDIG_COMP_CNT: 0
; COMPUTE_PGM_RSRC3_GFX90A:ACCUM_OFFSET: 25
; COMPUTE_PGM_RSRC3_GFX90A:TG_SPLIT: 0
	.section	.text._ZN9rocsparseL18bsrxmvn_4x4_kernelILj128ELj16EfllDF16_DF16_fEEvT3_20rocsparse_direction_NS_24const_host_device_scalarIT1_EES1_PKS1_PKT2_SA_S7_PKT4_PKT5_S5_PT6_21rocsparse_index_base_b,"axG",@progbits,_ZN9rocsparseL18bsrxmvn_4x4_kernelILj128ELj16EfllDF16_DF16_fEEvT3_20rocsparse_direction_NS_24const_host_device_scalarIT1_EES1_PKS1_PKT2_SA_S7_PKT4_PKT5_S5_PT6_21rocsparse_index_base_b,comdat
	.globl	_ZN9rocsparseL18bsrxmvn_4x4_kernelILj128ELj16EfllDF16_DF16_fEEvT3_20rocsparse_direction_NS_24const_host_device_scalarIT1_EES1_PKS1_PKT2_SA_S7_PKT4_PKT5_S5_PT6_21rocsparse_index_base_b ; -- Begin function _ZN9rocsparseL18bsrxmvn_4x4_kernelILj128ELj16EfllDF16_DF16_fEEvT3_20rocsparse_direction_NS_24const_host_device_scalarIT1_EES1_PKS1_PKT2_SA_S7_PKT4_PKT5_S5_PT6_21rocsparse_index_base_b
	.p2align	8
	.type	_ZN9rocsparseL18bsrxmvn_4x4_kernelILj128ELj16EfllDF16_DF16_fEEvT3_20rocsparse_direction_NS_24const_host_device_scalarIT1_EES1_PKS1_PKT2_SA_S7_PKT4_PKT5_S5_PT6_21rocsparse_index_base_b,@function
_ZN9rocsparseL18bsrxmvn_4x4_kernelILj128ELj16EfllDF16_DF16_fEEvT3_20rocsparse_direction_NS_24const_host_device_scalarIT1_EES1_PKS1_PKT2_SA_S7_PKT4_PKT5_S5_PT6_21rocsparse_index_base_b: ; @_ZN9rocsparseL18bsrxmvn_4x4_kernelILj128ELj16EfllDF16_DF16_fEEvT3_20rocsparse_direction_NS_24const_host_device_scalarIT1_EES1_PKS1_PKT2_SA_S7_PKT4_PKT5_S5_PT6_21rocsparse_index_base_b
; %bb.0:
	s_load_dwordx2 s[4:5], s[0:1], 0x60
	s_load_dwordx4 s[12:15], s[0:1], 0x10
	s_load_dwordx2 s[16:17], s[0:1], 0x50
	s_waitcnt lgkmcnt(0)
	s_bitcmp1_b32 s5, 0
	s_cselect_b64 s[8:9], -1, 0
	s_xor_b64 s[6:7], s[8:9], -1
	s_and_b64 vcc, exec, s[8:9]
	s_cbranch_vccnz .LBB102_2
; %bb.1:
	s_load_dword s12, s[12:13], 0x0
.LBB102_2:
	s_andn2_b64 vcc, exec, s[6:7]
	s_cbranch_vccnz .LBB102_4
; %bb.3:
	s_load_dword s16, s[16:17], 0x0
.LBB102_4:
	s_waitcnt lgkmcnt(0)
	v_cmp_neq_f32_e64 s[6:7], s12, 0
	v_cmp_neq_f32_e64 s[8:9], s16, 1.0
	s_or_b64 s[6:7], s[6:7], s[8:9]
	s_andn2_b64 vcc, exec, s[6:7]
	s_cbranch_vccnz .LBB102_10
; %bb.5:
	s_load_dwordx2 s[6:7], s[0:1], 0x20
	v_lshrrev_b32_e32 v1, 4, v0
	v_lshl_or_b32 v2, s2, 3, v1
	v_mov_b32_e32 v3, 0
	s_mov_b64 s[2:3], 0
	s_waitcnt lgkmcnt(0)
	s_cmp_lg_u64 s[6:7], 0
	s_cbranch_scc0 .LBB102_11
; %bb.6:
	v_cmp_gt_i64_e32 vcc, s[14:15], v[2:3]
                                        ; implicit-def: $vgpr20_vgpr21
                                        ; implicit-def: $vgpr22_vgpr23
	s_and_saveexec_b64 s[8:9], vcc
	s_xor_b64 s[8:9], exec, s[8:9]
	s_cbranch_execz .LBB102_8
; %bb.7:
	v_lshl_add_u64 v[4:5], v[2:3], 3, s[6:7]
	global_load_dwordx2 v[4:5], v[4:5], off
	s_mov_b32 s5, 0
	s_mov_b64 s[2:3], exec
	v_mov_b64_e32 v[22:23], s[4:5]
	s_waitcnt vmcnt(0)
	v_subrev_co_u32_e32 v20, vcc, s4, v4
	s_nop 1
	v_subbrev_co_u32_e32 v21, vcc, 0, v5, vcc
.LBB102_8:
	s_or_b64 exec, exec, s[8:9]
.LBB102_9:
	s_and_saveexec_b64 s[4:5], s[2:3]
	s_cbranch_execnz .LBB102_15
.LBB102_10:
	s_endpgm
.LBB102_11:
                                        ; implicit-def: $vgpr20_vgpr21
                                        ; implicit-def: $vgpr22_vgpr23
	s_cbranch_execz .LBB102_9
; %bb.12:
	s_load_dwordx2 s[6:7], s[0:1], 0x0
	s_waitcnt lgkmcnt(0)
	v_cmp_gt_i64_e32 vcc, s[6:7], v[2:3]
	s_and_saveexec_b64 s[6:7], vcc
; %bb.13:
	s_mov_b32 s5, 0
	s_or_b64 s[2:3], s[2:3], exec
; %bb.14:
	s_or_b64 exec, exec, s[6:7]
	v_mov_b64_e32 v[22:23], s[4:5]
	v_mov_b64_e32 v[20:21], v[2:3]
	s_and_saveexec_b64 s[4:5], s[2:3]
	s_cbranch_execz .LBB102_10
.LBB102_15:
	s_load_dwordx8 s[4:11], s[0:1], 0x28
	v_lshlrev_b64 v[2:3], 3, v[20:21]
	v_and_b32_e32 v24, 15, v0
	v_mov_b32_e32 v25, 0
	s_waitcnt lgkmcnt(0)
	v_lshl_add_u64 v[4:5], s[4:5], 0, v[2:3]
	s_cmp_eq_u64 s[6:7], 0
	v_lshl_add_u64 v[2:3], s[6:7], 0, v[2:3]
	global_load_dwordx2 v[8:9], v[4:5], off
	v_lshl_add_u64 v[4:5], v[4:5], 0, 8
	s_cselect_b64 vcc, -1, 0
	v_cndmask_b32_e32 v3, v3, v5, vcc
	v_cndmask_b32_e32 v2, v2, v4, vcc
	global_load_dwordx2 v[2:3], v[2:3], off
	s_load_dword s2, s[0:1], 0x8
	s_load_dwordx2 s[4:5], s[0:1], 0x48
	s_waitcnt lgkmcnt(0)
	s_cmp_eq_u32 s2, 1
	s_waitcnt vmcnt(1)
	v_sub_co_u32_e32 v0, vcc, v8, v22
	s_nop 1
	v_subb_co_u32_e32 v1, vcc, v9, v23, vcc
	v_lshl_add_u64 v[26:27], v[0:1], 0, v[24:25]
	s_waitcnt vmcnt(0)
	v_sub_co_u32_e32 v28, vcc, v2, v22
	v_lshlrev_b64 v[0:1], 5, v[26:27]
	s_nop 0
	v_subb_co_u32_e32 v29, vcc, v3, v23, vcc
	v_lshl_add_u64 v[30:31], s[10:11], 0, v[0:1]
	v_cmp_lt_i64_e64 s[2:3], v[26:27], v[28:29]
	s_cbranch_scc1 .LBB102_27
; %bb.16:
	v_mov_b32_e32 v32, v25
	v_mov_b32_e32 v35, v25
	;; [unrolled: 1-line block ×3, first 2 shown]
	s_and_saveexec_b64 s[6:7], s[2:3]
	s_cbranch_execz .LBB102_26
; %bb.17:
	v_or_b32_e32 v0, 16, v24
	v_sub_co_u32_e32 v0, vcc, v0, v22
	v_not_b32_e32 v3, v9
	s_nop 0
	v_subb_co_u32_e32 v1, vcc, 0, v23, vcc
	v_lshl_add_u64 v[0:1], v[0:1], 0, v[8:9]
	v_cmp_gt_i64_e32 vcc, v[0:1], v[28:29]
	v_not_b32_e32 v2, v8
	v_mov_b32_e32 v35, 0
	v_cndmask_b32_e32 v1, v29, v1, vcc
	v_cndmask_b32_e32 v0, v28, v0, vcc
	v_sub_co_u32_e32 v4, vcc, v22, v24
	v_mov_b32_e32 v32, v35
	s_nop 0
	v_subbrev_co_u32_e32 v5, vcc, 0, v23, vcc
	v_lshl_add_u64 v[2:3], v[4:5], 0, v[2:3]
	v_lshl_add_u64 v[0:1], v[2:3], 0, v[0:1]
	v_and_b32_e32 v34, 48, v0
	v_cmp_ne_u64_e32 vcc, 48, v[34:35]
	v_mov_b32_e32 v34, v35
	v_mov_b32_e32 v33, v35
	v_mov_b64_e32 v[10:11], v[26:27]
	v_mov_b64_e32 v[12:13], v[30:31]
	s_and_saveexec_b64 s[10:11], vcc
	s_cbranch_execz .LBB102_21
; %bb.18:
	v_lshrrev_b32_e32 v2, 4, v0
	v_add_u32_e32 v2, 1, v2
	v_and_b32_e32 v4, 3, v2
	v_sub_co_u32_e32 v4, vcc, 0, v4
	v_mov_b32_e32 v33, 0
	s_nop 0
	v_subb_co_u32_e64 v5, s[18:19], 0, 0, vcc
	v_lshl_add_u64 v[2:3], v[26:27], 3, s[8:9]
	s_mov_b64 s[14:15], 0
	s_mov_b64 s[18:19], 0x200
	;; [unrolled: 1-line block ×3, first 2 shown]
	v_mov_b64_e32 v[12:13], v[30:31]
	v_mov_b64_e32 v[10:11], v[26:27]
	v_mov_b32_e32 v32, v33
	v_mov_b32_e32 v35, v33
	;; [unrolled: 1-line block ×3, first 2 shown]
.LBB102_19:                             ; =>This Inner Loop Header: Depth=1
	global_load_dwordx2 v[6:7], v[2:3], off
	global_load_dwordx4 v[14:17], v[12:13], off
	global_load_dwordx4 v[36:39], v[12:13], off offset:16
	v_lshl_add_u64 v[4:5], v[4:5], 0, 1
	v_lshl_add_u64 v[12:13], v[12:13], 0, s[18:19]
	;; [unrolled: 1-line block ×4, first 2 shown]
	s_waitcnt vmcnt(2)
	v_sub_co_u32_e32 v6, vcc, v6, v22
	s_nop 1
	v_subb_co_u32_e32 v7, vcc, v7, v23, vcc
	v_lshl_add_u64 v[6:7], v[6:7], 3, s[4:5]
	global_load_dwordx2 v[6:7], v[6:7], off
	s_waitcnt vmcnt(2)
	v_cvt_f32_f16_sdwa v18, v14 dst_sel:DWORD dst_unused:UNUSED_PAD src0_sel:WORD_1
	v_cvt_f32_f16_sdwa v19, v16 dst_sel:DWORD dst_unused:UNUSED_PAD src0_sel:WORD_1
	s_waitcnt vmcnt(1)
	v_cvt_f32_f16_sdwa v44, v36 dst_sel:DWORD dst_unused:UNUSED_PAD src0_sel:WORD_1
	v_cvt_f32_f16_sdwa v45, v38 dst_sel:DWORD dst_unused:UNUSED_PAD src0_sel:WORD_1
	v_cvt_f32_f16_e32 v41, v17
	v_cvt_f32_f16_e32 v40, v15
	;; [unrolled: 1-line block ×4, first 2 shown]
	v_cvt_f32_f16_sdwa v43, v17 dst_sel:DWORD dst_unused:UNUSED_PAD src0_sel:WORD_1
	v_cvt_f32_f16_sdwa v42, v15 dst_sel:DWORD dst_unused:UNUSED_PAD src0_sel:WORD_1
	;; [unrolled: 1-line block ×4, first 2 shown]
	v_cmp_eq_u64_e32 vcc, 0, v[4:5]
	s_or_b64 s[14:15], vcc, s[14:15]
	s_waitcnt vmcnt(0)
	v_fma_mix_f32 v14, v14, v6, v34 op_sel_hi:[1,1,0]
	v_cvt_f32_f16_sdwa v34, v6 dst_sel:DWORD dst_unused:UNUSED_PAD src0_sel:WORD_1
	v_cvt_f32_f16_e32 v50, v7
	v_cvt_f32_f16_sdwa v52, v7 dst_sel:DWORD dst_unused:UNUSED_PAD src0_sel:WORD_1
	v_fma_mix_f32 v15, v16, v6, v35 op_sel_hi:[1,1,0]
	v_fma_mix_f32 v16, v36, v6, v32 op_sel_hi:[1,1,0]
	v_fma_mix_f32 v17, v38, v6, v33 op_sel_hi:[1,1,0]
	v_pk_fma_f32 v[6:7], v[18:19], v[34:35], v[14:15] op_sel_hi:[1,0,1]
	v_pk_fma_f32 v[14:15], v[44:45], v[34:35], v[16:17] op_sel_hi:[1,0,1]
	;; [unrolled: 1-line block ×6, first 2 shown]
	s_andn2_b64 exec, exec, s[14:15]
	s_cbranch_execnz .LBB102_19
; %bb.20:
	s_or_b64 exec, exec, s[14:15]
.LBB102_21:
	s_or_b64 exec, exec, s[10:11]
	v_cmp_lt_u64_e32 vcc, 47, v[0:1]
	s_and_saveexec_b64 s[10:11], vcc
	s_cbranch_execz .LBB102_25
; %bb.22:
	v_lshl_add_u64 v[0:1], v[10:11], 3, s[8:9]
	s_mov_b64 s[14:15], 0x100
	v_lshl_add_u64 v[14:15], v[0:1], 0, s[14:15]
	s_mov_b64 s[14:15], 0
	s_mov_b64 s[18:19], 0x200
	s_mov_b64 s[20:21], 0x800
.LBB102_23:                             ; =>This Inner Loop Header: Depth=1
	global_load_dwordx2 v[56:57], v[14:15], off offset:-256
	global_load_dwordx4 v[0:3], v[12:13], off
	global_load_dwordx4 v[4:7], v[12:13], off offset:16
	global_load_dwordx2 v[58:59], v[14:15], off offset:-128
	global_load_dwordx2 v[60:61], v[14:15], off
	global_load_dwordx4 v[16:19], v[12:13], off offset:512
	global_load_dwordx4 v[36:39], v[12:13], off offset:1024
	global_load_dwordx2 v[62:63], v[14:15], off offset:128
	global_load_dwordx4 v[40:43], v[12:13], off offset:528
	global_load_dwordx4 v[44:47], v[12:13], off offset:1040
	;; [unrolled: 1-line block ×4, first 2 shown]
	v_lshl_add_u64 v[10:11], v[10:11], 0, 64
	v_cmp_ge_i64_e32 vcc, v[10:11], v[28:29]
	s_or_b64 s[14:15], vcc, s[14:15]
	v_lshl_add_u64 v[14:15], v[14:15], 0, s[18:19]
	v_lshl_add_u64 v[12:13], v[12:13], 0, s[20:21]
	s_waitcnt vmcnt(11)
	v_sub_co_u32_e32 v56, vcc, v56, v22
	s_nop 1
	v_subb_co_u32_e32 v57, vcc, v57, v23, vcc
	s_waitcnt vmcnt(8)
	v_sub_co_u32_e32 v58, vcc, v58, v22
	v_lshl_add_u64 v[56:57], v[56:57], 3, s[4:5]
	s_nop 0
	v_subb_co_u32_e32 v59, vcc, v59, v23, vcc
	s_waitcnt vmcnt(7)
	v_sub_co_u32_e32 v60, vcc, v60, v22
	v_lshl_add_u64 v[58:59], v[58:59], 3, s[4:5]
	;; [unrolled: 5-line block ×3, first 2 shown]
	s_nop 0
	v_subb_co_u32_e32 v63, vcc, v63, v23, vcc
	v_lshl_add_u64 v[62:63], v[62:63], 3, s[4:5]
	global_load_dwordx2 v[82:83], v[56:57], off
	global_load_dwordx2 v[84:85], v[58:59], off
	;; [unrolled: 1-line block ×4, first 2 shown]
	v_cvt_f32_f16_sdwa v64, v0 dst_sel:DWORD dst_unused:UNUSED_PAD src0_sel:WORD_1
	v_cvt_f32_f16_sdwa v65, v2 dst_sel:DWORD dst_unused:UNUSED_PAD src0_sel:WORD_1
	;; [unrolled: 1-line block ×4, first 2 shown]
	v_cvt_f32_f16_e32 v68, v1
	v_cvt_f32_f16_sdwa v70, v1 dst_sel:DWORD dst_unused:UNUSED_PAD src0_sel:WORD_1
	v_cvt_f32_f16_e32 v69, v3
	v_cvt_f32_f16_e32 v73, v18
	;; [unrolled: 1-line block ×3, first 2 shown]
	v_cvt_f32_f16_sdwa v75, v18 dst_sel:DWORD dst_unused:UNUSED_PAD src0_sel:WORD_1
	v_cvt_f32_f16_sdwa v74, v16 dst_sel:DWORD dst_unused:UNUSED_PAD src0_sel:WORD_1
	v_cvt_f32_f16_e32 v76, v17
	v_cvt_f32_f16_sdwa v18, v17 dst_sel:DWORD dst_unused:UNUSED_PAD src0_sel:WORD_1
	v_cvt_f32_f16_e32 v17, v38
	v_cvt_f32_f16_e32 v16, v36
	v_cvt_f32_f16_sdwa v79, v38 dst_sel:DWORD dst_unused:UNUSED_PAD src0_sel:WORD_1
	v_cvt_f32_f16_sdwa v78, v36 dst_sel:DWORD dst_unused:UNUSED_PAD src0_sel:WORD_1
	v_cvt_f32_f16_e32 v80, v37
	v_cvt_f32_f16_sdwa v38, v37 dst_sel:DWORD dst_unused:UNUSED_PAD src0_sel:WORD_1
	v_cvt_f32_f16_e32 v37, v7
	v_cvt_f32_f16_e32 v36, v5
	v_cvt_f32_f16_sdwa v71, v3 dst_sel:DWORD dst_unused:UNUSED_PAD src0_sel:WORD_1
	s_waitcnt vmcnt(7)
	v_cvt_f32_f16_e32 v57, v42
	v_cvt_f32_f16_e32 v56, v40
	v_cvt_f32_f16_sdwa v59, v42 dst_sel:DWORD dst_unused:UNUSED_PAD src0_sel:WORD_1
	v_cvt_f32_f16_sdwa v58, v40 dst_sel:DWORD dst_unused:UNUSED_PAD src0_sel:WORD_1
	v_cvt_f32_f16_e32 v60, v41
	v_cvt_f32_f16_sdwa v42, v41 dst_sel:DWORD dst_unused:UNUSED_PAD src0_sel:WORD_1
	s_waitcnt vmcnt(6)
	v_cvt_f32_f16_e32 v41, v46
	v_cvt_f32_f16_e32 v40, v44
	v_cvt_f32_f16_sdwa v63, v46 dst_sel:DWORD dst_unused:UNUSED_PAD src0_sel:WORD_1
	v_cvt_f32_f16_sdwa v62, v44 dst_sel:DWORD dst_unused:UNUSED_PAD src0_sel:WORD_1
	;; [unrolled: 7-line block ×4, first 2 shown]
	v_cvt_f32_f16_e32 v98, v53
	v_cvt_f32_f16_sdwa v54, v53 dst_sel:DWORD dst_unused:UNUSED_PAD src0_sel:WORD_1
	v_cvt_f32_f16_sdwa v53, v7 dst_sel:DWORD dst_unused:UNUSED_PAD src0_sel:WORD_1
	;; [unrolled: 1-line block ×3, first 2 shown]
	v_cvt_f32_f16_e32 v77, v19
	v_cvt_f32_f16_e32 v61, v43
	v_cvt_f32_f16_sdwa v19, v19 dst_sel:DWORD dst_unused:UNUSED_PAD src0_sel:WORD_1
	v_cvt_f32_f16_sdwa v43, v43 dst_sel:DWORD dst_unused:UNUSED_PAD src0_sel:WORD_1
	v_cvt_f32_f16_e32 v81, v39
	v_cvt_f32_f16_e32 v91, v47
	v_cvt_f32_f16_sdwa v39, v39 dst_sel:DWORD dst_unused:UNUSED_PAD src0_sel:WORD_1
	v_cvt_f32_f16_sdwa v47, v47 dst_sel:DWORD dst_unused:UNUSED_PAD src0_sel:WORD_1
	;; [unrolled: 4-line block ×3, first 2 shown]
	s_waitcnt vmcnt(3)
	v_fma_mix_f32 v1, v2, v82, v35 op_sel_hi:[1,1,0]
	v_cvt_f32_f16_sdwa v2, v82 dst_sel:DWORD dst_unused:UNUSED_PAD src0_sel:WORD_1
	v_fma_mix_f32 v0, v0, v82, v34 op_sel_hi:[1,1,0]
	v_cvt_f32_f16_e32 v34, v83
	v_fma_mix_f32 v5, v6, v82, v33 op_sel_hi:[1,1,0]
	v_cvt_f32_f16_sdwa v6, v83 dst_sel:DWORD dst_unused:UNUSED_PAD src0_sel:WORD_1
	v_fma_mix_f32 v4, v4, v82, v32 op_sel_hi:[1,1,0]
	s_waitcnt vmcnt(2)
	v_cvt_f32_f16_e32 v32, v84
	v_cvt_f32_f16_sdwa v82, v84 dst_sel:DWORD dst_unused:UNUSED_PAD src0_sel:WORD_1
	v_pk_fma_f32 v[0:1], v[64:65], v[2:3], v[0:1] op_sel_hi:[1,0,1]
	v_pk_fma_f32 v[2:3], v[66:67], v[2:3], v[4:5] op_sel_hi:[1,0,1]
	v_cvt_f32_f16_e32 v84, v85
	v_pk_fma_f32 v[0:1], v[68:69], v[34:35], v[0:1] op_sel_hi:[1,0,1]
	v_pk_fma_f32 v[2:3], v[36:37], v[34:35], v[2:3] op_sel_hi:[1,0,1]
	v_cvt_f32_f16_sdwa v100, v85 dst_sel:DWORD dst_unused:UNUSED_PAD src0_sel:WORD_1
	v_pk_fma_f32 v[0:1], v[70:71], v[6:7], v[0:1] op_sel_hi:[1,0,1]
	v_pk_fma_f32 v[2:3], v[52:53], v[6:7], v[2:3] op_sel_hi:[1,0,1]
	s_waitcnt vmcnt(1)
	v_cvt_f32_f16_e32 v64, v86
	v_pk_fma_f32 v[0:1], v[72:73], v[32:33], v[0:1] op_sel_hi:[1,0,1]
	v_pk_fma_f32 v[2:3], v[56:57], v[32:33], v[2:3] op_sel_hi:[1,0,1]
	v_cvt_f32_f16_sdwa v4, v86 dst_sel:DWORD dst_unused:UNUSED_PAD src0_sel:WORD_1
	v_pk_fma_f32 v[0:1], v[74:75], v[82:83], v[0:1] op_sel_hi:[1,0,1]
	v_pk_fma_f32 v[2:3], v[58:59], v[82:83], v[2:3] op_sel_hi:[1,0,1]
	v_cvt_f32_f16_e32 v66, v87
	v_pk_fma_f32 v[0:1], v[76:77], v[84:85], v[0:1] op_sel_hi:[1,0,1]
	v_pk_fma_f32 v[2:3], v[60:61], v[84:85], v[2:3] op_sel_hi:[1,0,1]
	v_cvt_f32_f16_sdwa v86, v87 dst_sel:DWORD dst_unused:UNUSED_PAD src0_sel:WORD_1
	v_pk_fma_f32 v[0:1], v[18:19], v[100:101], v[0:1] op_sel_hi:[1,0,1]
	v_pk_fma_f32 v[2:3], v[42:43], v[100:101], v[2:3] op_sel_hi:[1,0,1]
	s_waitcnt vmcnt(0)
	v_cvt_f32_f16_e32 v68, v88
	v_pk_fma_f32 v[0:1], v[16:17], v[64:65], v[0:1] op_sel_hi:[1,0,1]
	v_pk_fma_f32 v[2:3], v[40:41], v[64:65], v[2:3] op_sel_hi:[1,0,1]
	v_cvt_f32_f16_sdwa v34, v88 dst_sel:DWORD dst_unused:UNUSED_PAD src0_sel:WORD_1
	v_pk_fma_f32 v[0:1], v[78:79], v[4:5], v[0:1] op_sel_hi:[1,0,1]
	v_pk_fma_f32 v[2:3], v[62:63], v[4:5], v[2:3] op_sel_hi:[1,0,1]
	v_cvt_f32_f16_e32 v36, v89
	v_pk_fma_f32 v[0:1], v[80:81], v[66:67], v[0:1] op_sel_hi:[1,0,1]
	v_pk_fma_f32 v[2:3], v[90:91], v[66:67], v[2:3] op_sel_hi:[1,0,1]
	v_cvt_f32_f16_sdwa v88, v89 dst_sel:DWORD dst_unused:UNUSED_PAD src0_sel:WORD_1
	v_pk_fma_f32 v[0:1], v[38:39], v[86:87], v[0:1] op_sel_hi:[1,0,1]
	v_pk_fma_f32 v[2:3], v[46:47], v[86:87], v[2:3] op_sel_hi:[1,0,1]
	;; [unrolled: 1-line block ×10, first 2 shown]
	s_andn2_b64 exec, exec, s[14:15]
	s_cbranch_execnz .LBB102_23
; %bb.24:
	s_or_b64 exec, exec, s[14:15]
.LBB102_25:
	s_or_b64 exec, exec, s[10:11]
	v_mov_b32_e32 v25, v33
.LBB102_26:
	s_or_b64 exec, exec, s[6:7]
	v_mov_b32_e32 v33, v25
	s_cbranch_execz .LBB102_28
	s_branch .LBB102_39
.LBB102_27:
                                        ; implicit-def: $vgpr33
                                        ; implicit-def: $vgpr35
.LBB102_28:
	v_mov_b32_e32 v33, 0
	v_mov_b32_e32 v32, 0
	;; [unrolled: 1-line block ×4, first 2 shown]
	s_and_saveexec_b64 s[6:7], s[2:3]
	s_cbranch_execz .LBB102_38
; %bb.29:
	v_or_b32_e32 v0, 16, v24
	v_sub_co_u32_e32 v0, vcc, v0, v22
	v_not_b32_e32 v3, v9
	s_nop 0
	v_subb_co_u32_e32 v1, vcc, 0, v23, vcc
	v_lshl_add_u64 v[0:1], v[0:1], 0, v[8:9]
	v_cmp_gt_i64_e32 vcc, v[0:1], v[28:29]
	v_not_b32_e32 v2, v8
	v_mov_b32_e32 v32, 0
	v_cndmask_b32_e32 v1, v29, v1, vcc
	v_cndmask_b32_e32 v0, v28, v0, vcc
	v_sub_co_u32_e32 v4, vcc, v22, v24
	v_mov_b32_e32 v33, v32
	s_nop 0
	v_subbrev_co_u32_e32 v5, vcc, 0, v23, vcc
	v_lshl_add_u64 v[2:3], v[4:5], 0, v[2:3]
	v_lshl_add_u64 v[0:1], v[2:3], 0, v[0:1]
	v_and_b32_e32 v2, 48, v0
	v_mov_b32_e32 v3, v32
	v_cmp_ne_u64_e32 vcc, 48, v[2:3]
	v_mov_b64_e32 v[34:35], v[32:33]
	s_and_saveexec_b64 s[2:3], vcc
	s_cbranch_execz .LBB102_33
; %bb.30:
	v_lshrrev_b32_e32 v2, 4, v0
	v_add_u32_e32 v2, 1, v2
	v_and_b32_e32 v4, 3, v2
	v_sub_co_u32_e32 v4, vcc, 0, v4
	v_lshl_add_u64 v[2:3], v[26:27], 3, s[8:9]
	s_nop 0
	v_subb_co_u32_e64 v5, s[14:15], 0, 0, vcc
	s_mov_b64 s[10:11], 0
	s_mov_b64 s[14:15], 0x200
	;; [unrolled: 1-line block ×3, first 2 shown]
	v_mov_b32_e32 v33, v32
	v_mov_b32_e32 v34, v32
	;; [unrolled: 1-line block ×3, first 2 shown]
.LBB102_31:                             ; =>This Inner Loop Header: Depth=1
	global_load_dwordx2 v[10:11], v[2:3], off
	global_load_dwordx4 v[6:9], v[30:31], off
	v_lshl_add_u64 v[4:5], v[4:5], 0, 1
	v_lshl_add_u64 v[26:27], v[26:27], 0, 16
	;; [unrolled: 1-line block ×3, first 2 shown]
	s_waitcnt vmcnt(1)
	v_sub_co_u32_e32 v10, vcc, v10, v22
	s_nop 1
	v_subb_co_u32_e32 v11, vcc, v11, v23, vcc
	v_lshl_add_u64 v[14:15], v[10:11], 3, s[4:5]
	global_load_dwordx2 v[16:17], v[14:15], off
	global_load_dwordx4 v[10:13], v[30:31], off offset:16
	s_waitcnt vmcnt(2)
	v_cvt_f32_f16_sdwa v15, v6 dst_sel:DWORD dst_unused:UNUSED_PAD src0_sel:WORD_1
	v_cvt_f32_f16_e32 v14, v6
	v_cvt_f32_f16_sdwa v19, v7 dst_sel:DWORD dst_unused:UNUSED_PAD src0_sel:WORD_1
	v_cvt_f32_f16_e32 v18, v7
	;; [unrolled: 2-line block ×4, first 2 shown]
	v_cmp_eq_u64_e32 vcc, 0, v[4:5]
	v_lshl_add_u64 v[30:31], v[30:31], 0, s[14:15]
	s_or_b64 s[10:11], vcc, s[10:11]
	s_waitcnt vmcnt(1)
	v_cvt_f32_f16_e32 v42, v17
	s_waitcnt vmcnt(0)
	v_cvt_f32_f16_sdwa v39, v12 dst_sel:DWORD dst_unused:UNUSED_PAD src0_sel:WORD_1
	v_cvt_f32_f16_e32 v38, v12
	v_cvt_f32_f16_e32 v12, v16
	v_cvt_f32_f16_sdwa v16, v16 dst_sel:DWORD dst_unused:UNUSED_PAD src0_sel:WORD_1
	v_cvt_f32_f16_sdwa v9, v10 dst_sel:DWORD dst_unused:UNUSED_PAD src0_sel:WORD_1
	v_cvt_f32_f16_e32 v8, v10
	v_cvt_f32_f16_sdwa v41, v11 dst_sel:DWORD dst_unused:UNUSED_PAD src0_sel:WORD_1
	v_cvt_f32_f16_e32 v40, v11
	;; [unrolled: 2-line block ×3, first 2 shown]
	v_cvt_f32_f16_sdwa v44, v17 dst_sel:DWORD dst_unused:UNUSED_PAD src0_sel:WORD_1
	v_pk_fma_f32 v[14:15], v[14:15], v[12:13], v[34:35] op_sel_hi:[1,0,1]
	v_pk_fma_f32 v[12:13], v[18:19], v[12:13], v[32:33] op_sel_hi:[1,0,1]
	;; [unrolled: 1-line block ×8, first 2 shown]
	s_andn2_b64 exec, exec, s[10:11]
	s_cbranch_execnz .LBB102_31
; %bb.32:
	s_or_b64 exec, exec, s[10:11]
.LBB102_33:
	s_or_b64 exec, exec, s[2:3]
	v_cmp_lt_u64_e32 vcc, 47, v[0:1]
	s_and_saveexec_b64 s[2:3], vcc
	s_cbranch_execz .LBB102_37
; %bb.34:
	v_lshl_add_u64 v[0:1], v[26:27], 3, s[8:9]
	s_mov_b64 s[8:9], 0x100
	v_lshl_add_u64 v[36:37], v[0:1], 0, s[8:9]
	s_mov_b64 s[8:9], 0
	s_mov_b64 s[10:11], 0x800
	;; [unrolled: 1-line block ×3, first 2 shown]
.LBB102_35:                             ; =>This Inner Loop Header: Depth=1
	global_load_dwordx4 v[0:3], v[30:31], off
	global_load_dwordx4 v[4:7], v[30:31], off offset:16
	global_load_dwordx4 v[8:11], v[30:31], off offset:512
	;; [unrolled: 1-line block ×4, first 2 shown]
	global_load_dwordx2 v[50:51], v[36:37], off offset:-256
	global_load_dwordx2 v[52:53], v[36:37], off offset:-128
	global_load_dwordx2 v[54:55], v[36:37], off
	global_load_dwordx2 v[56:57], v[36:37], off offset:128
	global_load_dwordx4 v[38:41], v[30:31], off offset:1040
	global_load_dwordx4 v[42:45], v[30:31], off offset:1536
	global_load_dwordx4 v[46:49], v[30:31], off offset:1552
	v_lshl_add_u64 v[26:27], v[26:27], 0, 64
	v_cmp_ge_i64_e32 vcc, v[26:27], v[28:29]
	s_or_b64 s[8:9], vcc, s[8:9]
	v_lshl_add_u64 v[30:31], v[30:31], 0, s[10:11]
	v_lshl_add_u64 v[36:37], v[36:37], 0, s[14:15]
	s_waitcnt vmcnt(11)
	v_cvt_f32_f16_sdwa v59, v0 dst_sel:DWORD dst_unused:UNUSED_PAD src0_sel:WORD_1
	v_cvt_f32_f16_e32 v58, v0
	v_cvt_f32_f16_sdwa v61, v1 dst_sel:DWORD dst_unused:UNUSED_PAD src0_sel:WORD_1
	v_cvt_f32_f16_e32 v60, v1
	v_cvt_f32_f16_sdwa v1, v2 dst_sel:DWORD dst_unused:UNUSED_PAD src0_sel:WORD_1
	s_waitcnt vmcnt(6)
	v_sub_co_u32_e32 v50, vcc, v50, v22
	v_cvt_f32_f16_e32 v0, v2
	s_nop 0
	v_subb_co_u32_e32 v51, vcc, v51, v23, vcc
	s_waitcnt vmcnt(5)
	v_sub_co_u32_e32 v52, vcc, v52, v22
	v_lshl_add_u64 v[50:51], v[50:51], 3, s[4:5]
	s_nop 0
	v_subb_co_u32_e32 v53, vcc, v53, v23, vcc
	s_waitcnt vmcnt(4)
	v_sub_co_u32_e32 v54, vcc, v54, v22
	v_lshl_add_u64 v[52:53], v[52:53], 3, s[4:5]
	s_nop 0
	v_subb_co_u32_e32 v55, vcc, v55, v23, vcc
	s_waitcnt vmcnt(3)
	v_sub_co_u32_e32 v56, vcc, v56, v22
	v_lshl_add_u64 v[54:55], v[54:55], 3, s[4:5]
	s_nop 0
	v_subb_co_u32_e32 v57, vcc, v57, v23, vcc
	v_lshl_add_u64 v[56:57], v[56:57], 3, s[4:5]
	global_load_dwordx2 v[78:79], v[50:51], off
	global_load_dwordx2 v[80:81], v[52:53], off
	;; [unrolled: 1-line block ×4, first 2 shown]
	s_waitcnt vmcnt(4)
	v_cvt_f32_f16_sdwa v89, v48 dst_sel:DWORD dst_unused:UNUSED_PAD src0_sel:WORD_1
	v_cvt_f32_f16_e32 v88, v48
	v_cvt_f32_f16_sdwa v63, v3 dst_sel:DWORD dst_unused:UNUSED_PAD src0_sel:WORD_1
	v_cvt_f32_f16_e32 v62, v3
	;; [unrolled: 2-line block ×29, first 2 shown]
	s_waitcnt vmcnt(3)
	v_cvt_f32_f16_e32 v48, v78
	v_cvt_f32_f16_sdwa v78, v78 dst_sel:DWORD dst_unused:UNUSED_PAD src0_sel:WORD_1
	v_cvt_f32_f16_e32 v92, v79
	v_cvt_f32_f16_sdwa v94, v79 dst_sel:DWORD dst_unused:UNUSED_PAD src0_sel:WORD_1
	v_pk_fma_f32 v[34:35], v[58:59], v[48:49], v[34:35] op_sel_hi:[1,0,1]
	s_waitcnt vmcnt(2)
	v_cvt_f32_f16_e32 v58, v80
	v_pk_fma_f32 v[32:33], v[60:61], v[48:49], v[32:33] op_sel_hi:[1,0,1]
	v_cvt_f32_f16_sdwa v48, v80 dst_sel:DWORD dst_unused:UNUSED_PAD src0_sel:WORD_1
	v_pk_fma_f32 v[0:1], v[0:1], v[78:79], v[34:35] op_sel_hi:[1,0,1]
	v_pk_fma_f32 v[32:33], v[62:63], v[78:79], v[32:33] op_sel_hi:[1,0,1]
	v_cvt_f32_f16_e32 v60, v81
	v_pk_fma_f32 v[0:1], v[2:3], v[92:93], v[0:1] op_sel_hi:[1,0,1]
	v_pk_fma_f32 v[32:33], v[76:77], v[92:93], v[32:33] op_sel_hi:[1,0,1]
	v_cvt_f32_f16_sdwa v80, v81 dst_sel:DWORD dst_unused:UNUSED_PAD src0_sel:WORD_1
	v_pk_fma_f32 v[0:1], v[64:65], v[94:95], v[0:1] op_sel_hi:[1,0,1]
	v_pk_fma_f32 v[4:5], v[4:5], v[94:95], v[32:33] op_sel_hi:[1,0,1]
	s_waitcnt vmcnt(1)
	v_cvt_f32_f16_e32 v34, v82
	v_pk_fma_f32 v[0:1], v[66:67], v[58:59], v[0:1] op_sel_hi:[1,0,1]
	v_pk_fma_f32 v[4:5], v[6:7], v[58:59], v[4:5] op_sel_hi:[1,0,1]
	v_cvt_f32_f16_sdwa v62, v82 dst_sel:DWORD dst_unused:UNUSED_PAD src0_sel:WORD_1
	v_pk_fma_f32 v[0:1], v[68:69], v[48:49], v[0:1] op_sel_hi:[1,0,1]
	v_pk_fma_f32 v[4:5], v[8:9], v[48:49], v[4:5] op_sel_hi:[1,0,1]
	v_cvt_f32_f16_e32 v78, v83
	v_pk_fma_f32 v[0:1], v[70:71], v[60:61], v[0:1] op_sel_hi:[1,0,1]
	v_pk_fma_f32 v[4:5], v[10:11], v[60:61], v[4:5] op_sel_hi:[1,0,1]
	v_cvt_f32_f16_sdwa v82, v83 dst_sel:DWORD dst_unused:UNUSED_PAD src0_sel:WORD_1
	v_pk_fma_f32 v[0:1], v[72:73], v[80:81], v[0:1] op_sel_hi:[1,0,1]
	v_pk_fma_f32 v[4:5], v[12:13], v[80:81], v[4:5] op_sel_hi:[1,0,1]
	s_waitcnt vmcnt(0)
	v_cvt_f32_f16_e32 v2, v84
	v_pk_fma_f32 v[0:1], v[74:75], v[34:35], v[0:1] op_sel_hi:[1,0,1]
	v_pk_fma_f32 v[4:5], v[50:51], v[34:35], v[4:5] op_sel_hi:[1,0,1]
	v_cvt_f32_f16_sdwa v76, v84 dst_sel:DWORD dst_unused:UNUSED_PAD src0_sel:WORD_1
	v_pk_fma_f32 v[0:1], v[14:15], v[62:63], v[0:1] op_sel_hi:[1,0,1]
	v_pk_fma_f32 v[4:5], v[16:17], v[62:63], v[4:5] op_sel_hi:[1,0,1]
	v_cvt_f32_f16_e32 v84, v85
	v_pk_fma_f32 v[0:1], v[18:19], v[78:79], v[0:1] op_sel_hi:[1,0,1]
	v_pk_fma_f32 v[4:5], v[54:55], v[78:79], v[4:5] op_sel_hi:[1,0,1]
	v_cvt_f32_f16_sdwa v92, v85 dst_sel:DWORD dst_unused:UNUSED_PAD src0_sel:WORD_1
	v_pk_fma_f32 v[0:1], v[52:53], v[82:83], v[0:1] op_sel_hi:[1,0,1]
	v_pk_fma_f32 v[4:5], v[38:39], v[82:83], v[4:5] op_sel_hi:[1,0,1]
	;; [unrolled: 1-line block ×10, first 2 shown]
	s_andn2_b64 exec, exec, s[8:9]
	s_cbranch_execnz .LBB102_35
; %bb.36:
	s_or_b64 exec, exec, s[8:9]
.LBB102_37:
	s_or_b64 exec, exec, s[2:3]
.LBB102_38:
	s_or_b64 exec, exec, s[6:7]
.LBB102_39:
	v_mov_b32_dpp v0, v34 row_shr:1 row_mask:0xf bank_mask:0xf
	v_mov_b32_dpp v1, v35 row_shr:1 row_mask:0xf bank_mask:0xf
	;; [unrolled: 1-line block ×4, first 2 shown]
	v_pk_add_f32 v[0:1], v[34:35], v[0:1]
	v_pk_add_f32 v[4:5], v[32:33], v[4:5]
	v_cmp_eq_u32_e32 vcc, 15, v24
	v_mov_b32_dpp v2, v0 row_shr:2 row_mask:0xf bank_mask:0xf
	v_mov_b32_dpp v3, v1 row_shr:2 row_mask:0xf bank_mask:0xf
	;; [unrolled: 1-line block ×4, first 2 shown]
	v_pk_add_f32 v[0:1], v[0:1], v[2:3]
	v_pk_add_f32 v[4:5], v[4:5], v[6:7]
	s_nop 0
	v_mov_b32_dpp v2, v0 row_shr:4 row_mask:0xf bank_mask:0xe
	v_mov_b32_dpp v3, v1 row_shr:4 row_mask:0xf bank_mask:0xe
	;; [unrolled: 1-line block ×4, first 2 shown]
	v_pk_add_f32 v[0:1], v[0:1], v[2:3]
	v_pk_add_f32 v[6:7], v[4:5], v[6:7]
	s_nop 0
	v_mov_b32_dpp v2, v0 row_shr:8 row_mask:0xf bank_mask:0xc
	v_mov_b32_dpp v3, v1 row_shr:8 row_mask:0xf bank_mask:0xc
	v_mov_b32_dpp v8, v6 row_shr:8 row_mask:0xf bank_mask:0xc
	v_mov_b32_dpp v9, v7 row_shr:8 row_mask:0xf bank_mask:0xc
	s_and_b64 exec, exec, vcc
	s_cbranch_execz .LBB102_10
; %bb.40:
	s_load_dwordx2 s[0:1], s[0:1], 0x58
	v_cmp_eq_f32_e64 s[2:3], s16, 0
	v_pk_add_f32 v[4:5], v[0:1], v[2:3]
	v_pk_add_f32 v[2:3], v[6:7], v[8:9]
	s_and_b64 vcc, exec, s[2:3]
	s_waitcnt lgkmcnt(0)
	v_lshl_add_u64 v[0:1], v[20:21], 4, s[0:1]
	s_cbranch_vccz .LBB102_42
; %bb.41:
	v_pk_mul_f32 v[6:7], s[12:13], v[4:5] op_sel_hi:[0,1]
	v_pk_mul_f32 v[8:9], s[12:13], v[2:3] op_sel_hi:[0,1]
	global_store_dwordx4 v[0:1], v[6:9], off
	s_cbranch_execnz .LBB102_10
	s_branch .LBB102_43
.LBB102_42:
.LBB102_43:
	global_load_dwordx4 v[6:9], v[0:1], off
	v_pk_mul_f32 v[4:5], s[12:13], v[4:5] op_sel_hi:[0,1]
	v_pk_mul_f32 v[10:11], s[12:13], v[2:3] op_sel_hi:[0,1]
	s_waitcnt vmcnt(0)
	v_pk_fma_f32 v[2:3], s[16:17], v[6:7], v[4:5] op_sel_hi:[0,1,1]
	v_pk_fma_f32 v[4:5], s[16:17], v[8:9], v[10:11] op_sel_hi:[0,1,1]
	global_store_dwordx4 v[0:1], v[2:5], off
	s_endpgm
	.section	.rodata,"a",@progbits
	.p2align	6, 0x0
	.amdhsa_kernel _ZN9rocsparseL18bsrxmvn_4x4_kernelILj128ELj16EfllDF16_DF16_fEEvT3_20rocsparse_direction_NS_24const_host_device_scalarIT1_EES1_PKS1_PKT2_SA_S7_PKT4_PKT5_S5_PT6_21rocsparse_index_base_b
		.amdhsa_group_segment_fixed_size 0
		.amdhsa_private_segment_fixed_size 0
		.amdhsa_kernarg_size 104
		.amdhsa_user_sgpr_count 2
		.amdhsa_user_sgpr_dispatch_ptr 0
		.amdhsa_user_sgpr_queue_ptr 0
		.amdhsa_user_sgpr_kernarg_segment_ptr 1
		.amdhsa_user_sgpr_dispatch_id 0
		.amdhsa_user_sgpr_kernarg_preload_length 0
		.amdhsa_user_sgpr_kernarg_preload_offset 0
		.amdhsa_user_sgpr_private_segment_size 0
		.amdhsa_uses_dynamic_stack 0
		.amdhsa_enable_private_segment 0
		.amdhsa_system_sgpr_workgroup_id_x 1
		.amdhsa_system_sgpr_workgroup_id_y 0
		.amdhsa_system_sgpr_workgroup_id_z 0
		.amdhsa_system_sgpr_workgroup_info 0
		.amdhsa_system_vgpr_workitem_id 0
		.amdhsa_next_free_vgpr 102
		.amdhsa_next_free_sgpr 22
		.amdhsa_accum_offset 104
		.amdhsa_reserve_vcc 1
		.amdhsa_float_round_mode_32 0
		.amdhsa_float_round_mode_16_64 0
		.amdhsa_float_denorm_mode_32 3
		.amdhsa_float_denorm_mode_16_64 3
		.amdhsa_dx10_clamp 1
		.amdhsa_ieee_mode 1
		.amdhsa_fp16_overflow 0
		.amdhsa_tg_split 0
		.amdhsa_exception_fp_ieee_invalid_op 0
		.amdhsa_exception_fp_denorm_src 0
		.amdhsa_exception_fp_ieee_div_zero 0
		.amdhsa_exception_fp_ieee_overflow 0
		.amdhsa_exception_fp_ieee_underflow 0
		.amdhsa_exception_fp_ieee_inexact 0
		.amdhsa_exception_int_div_zero 0
	.end_amdhsa_kernel
	.section	.text._ZN9rocsparseL18bsrxmvn_4x4_kernelILj128ELj16EfllDF16_DF16_fEEvT3_20rocsparse_direction_NS_24const_host_device_scalarIT1_EES1_PKS1_PKT2_SA_S7_PKT4_PKT5_S5_PT6_21rocsparse_index_base_b,"axG",@progbits,_ZN9rocsparseL18bsrxmvn_4x4_kernelILj128ELj16EfllDF16_DF16_fEEvT3_20rocsparse_direction_NS_24const_host_device_scalarIT1_EES1_PKS1_PKT2_SA_S7_PKT4_PKT5_S5_PT6_21rocsparse_index_base_b,comdat
.Lfunc_end102:
	.size	_ZN9rocsparseL18bsrxmvn_4x4_kernelILj128ELj16EfllDF16_DF16_fEEvT3_20rocsparse_direction_NS_24const_host_device_scalarIT1_EES1_PKS1_PKT2_SA_S7_PKT4_PKT5_S5_PT6_21rocsparse_index_base_b, .Lfunc_end102-_ZN9rocsparseL18bsrxmvn_4x4_kernelILj128ELj16EfllDF16_DF16_fEEvT3_20rocsparse_direction_NS_24const_host_device_scalarIT1_EES1_PKS1_PKT2_SA_S7_PKT4_PKT5_S5_PT6_21rocsparse_index_base_b
                                        ; -- End function
	.set _ZN9rocsparseL18bsrxmvn_4x4_kernelILj128ELj16EfllDF16_DF16_fEEvT3_20rocsparse_direction_NS_24const_host_device_scalarIT1_EES1_PKS1_PKT2_SA_S7_PKT4_PKT5_S5_PT6_21rocsparse_index_base_b.num_vgpr, 102
	.set _ZN9rocsparseL18bsrxmvn_4x4_kernelILj128ELj16EfllDF16_DF16_fEEvT3_20rocsparse_direction_NS_24const_host_device_scalarIT1_EES1_PKS1_PKT2_SA_S7_PKT4_PKT5_S5_PT6_21rocsparse_index_base_b.num_agpr, 0
	.set _ZN9rocsparseL18bsrxmvn_4x4_kernelILj128ELj16EfllDF16_DF16_fEEvT3_20rocsparse_direction_NS_24const_host_device_scalarIT1_EES1_PKS1_PKT2_SA_S7_PKT4_PKT5_S5_PT6_21rocsparse_index_base_b.numbered_sgpr, 22
	.set _ZN9rocsparseL18bsrxmvn_4x4_kernelILj128ELj16EfllDF16_DF16_fEEvT3_20rocsparse_direction_NS_24const_host_device_scalarIT1_EES1_PKS1_PKT2_SA_S7_PKT4_PKT5_S5_PT6_21rocsparse_index_base_b.num_named_barrier, 0
	.set _ZN9rocsparseL18bsrxmvn_4x4_kernelILj128ELj16EfllDF16_DF16_fEEvT3_20rocsparse_direction_NS_24const_host_device_scalarIT1_EES1_PKS1_PKT2_SA_S7_PKT4_PKT5_S5_PT6_21rocsparse_index_base_b.private_seg_size, 0
	.set _ZN9rocsparseL18bsrxmvn_4x4_kernelILj128ELj16EfllDF16_DF16_fEEvT3_20rocsparse_direction_NS_24const_host_device_scalarIT1_EES1_PKS1_PKT2_SA_S7_PKT4_PKT5_S5_PT6_21rocsparse_index_base_b.uses_vcc, 1
	.set _ZN9rocsparseL18bsrxmvn_4x4_kernelILj128ELj16EfllDF16_DF16_fEEvT3_20rocsparse_direction_NS_24const_host_device_scalarIT1_EES1_PKS1_PKT2_SA_S7_PKT4_PKT5_S5_PT6_21rocsparse_index_base_b.uses_flat_scratch, 0
	.set _ZN9rocsparseL18bsrxmvn_4x4_kernelILj128ELj16EfllDF16_DF16_fEEvT3_20rocsparse_direction_NS_24const_host_device_scalarIT1_EES1_PKS1_PKT2_SA_S7_PKT4_PKT5_S5_PT6_21rocsparse_index_base_b.has_dyn_sized_stack, 0
	.set _ZN9rocsparseL18bsrxmvn_4x4_kernelILj128ELj16EfllDF16_DF16_fEEvT3_20rocsparse_direction_NS_24const_host_device_scalarIT1_EES1_PKS1_PKT2_SA_S7_PKT4_PKT5_S5_PT6_21rocsparse_index_base_b.has_recursion, 0
	.set _ZN9rocsparseL18bsrxmvn_4x4_kernelILj128ELj16EfllDF16_DF16_fEEvT3_20rocsparse_direction_NS_24const_host_device_scalarIT1_EES1_PKS1_PKT2_SA_S7_PKT4_PKT5_S5_PT6_21rocsparse_index_base_b.has_indirect_call, 0
	.section	.AMDGPU.csdata,"",@progbits
; Kernel info:
; codeLenInByte = 4008
; TotalNumSgprs: 28
; NumVgprs: 102
; NumAgprs: 0
; TotalNumVgprs: 102
; ScratchSize: 0
; MemoryBound: 0
; FloatMode: 240
; IeeeMode: 1
; LDSByteSize: 0 bytes/workgroup (compile time only)
; SGPRBlocks: 3
; VGPRBlocks: 12
; NumSGPRsForWavesPerEU: 28
; NumVGPRsForWavesPerEU: 102
; AccumOffset: 104
; Occupancy: 4
; WaveLimiterHint : 1
; COMPUTE_PGM_RSRC2:SCRATCH_EN: 0
; COMPUTE_PGM_RSRC2:USER_SGPR: 2
; COMPUTE_PGM_RSRC2:TRAP_HANDLER: 0
; COMPUTE_PGM_RSRC2:TGID_X_EN: 1
; COMPUTE_PGM_RSRC2:TGID_Y_EN: 0
; COMPUTE_PGM_RSRC2:TGID_Z_EN: 0
; COMPUTE_PGM_RSRC2:TIDIG_COMP_CNT: 0
; COMPUTE_PGM_RSRC3_GFX90A:ACCUM_OFFSET: 25
; COMPUTE_PGM_RSRC3_GFX90A:TG_SPLIT: 0
	.section	.text._ZN9rocsparseL18bsrxmvn_4x4_kernelILj128ELj32EfllDF16_DF16_fEEvT3_20rocsparse_direction_NS_24const_host_device_scalarIT1_EES1_PKS1_PKT2_SA_S7_PKT4_PKT5_S5_PT6_21rocsparse_index_base_b,"axG",@progbits,_ZN9rocsparseL18bsrxmvn_4x4_kernelILj128ELj32EfllDF16_DF16_fEEvT3_20rocsparse_direction_NS_24const_host_device_scalarIT1_EES1_PKS1_PKT2_SA_S7_PKT4_PKT5_S5_PT6_21rocsparse_index_base_b,comdat
	.globl	_ZN9rocsparseL18bsrxmvn_4x4_kernelILj128ELj32EfllDF16_DF16_fEEvT3_20rocsparse_direction_NS_24const_host_device_scalarIT1_EES1_PKS1_PKT2_SA_S7_PKT4_PKT5_S5_PT6_21rocsparse_index_base_b ; -- Begin function _ZN9rocsparseL18bsrxmvn_4x4_kernelILj128ELj32EfllDF16_DF16_fEEvT3_20rocsparse_direction_NS_24const_host_device_scalarIT1_EES1_PKS1_PKT2_SA_S7_PKT4_PKT5_S5_PT6_21rocsparse_index_base_b
	.p2align	8
	.type	_ZN9rocsparseL18bsrxmvn_4x4_kernelILj128ELj32EfllDF16_DF16_fEEvT3_20rocsparse_direction_NS_24const_host_device_scalarIT1_EES1_PKS1_PKT2_SA_S7_PKT4_PKT5_S5_PT6_21rocsparse_index_base_b,@function
_ZN9rocsparseL18bsrxmvn_4x4_kernelILj128ELj32EfllDF16_DF16_fEEvT3_20rocsparse_direction_NS_24const_host_device_scalarIT1_EES1_PKS1_PKT2_SA_S7_PKT4_PKT5_S5_PT6_21rocsparse_index_base_b: ; @_ZN9rocsparseL18bsrxmvn_4x4_kernelILj128ELj32EfllDF16_DF16_fEEvT3_20rocsparse_direction_NS_24const_host_device_scalarIT1_EES1_PKS1_PKT2_SA_S7_PKT4_PKT5_S5_PT6_21rocsparse_index_base_b
; %bb.0:
	s_load_dwordx2 s[4:5], s[0:1], 0x60
	s_load_dwordx4 s[12:15], s[0:1], 0x10
	s_load_dwordx2 s[16:17], s[0:1], 0x50
	s_waitcnt lgkmcnt(0)
	s_bitcmp1_b32 s5, 0
	s_cselect_b64 s[8:9], -1, 0
	s_xor_b64 s[6:7], s[8:9], -1
	s_and_b64 vcc, exec, s[8:9]
	s_cbranch_vccnz .LBB103_2
; %bb.1:
	s_load_dword s12, s[12:13], 0x0
.LBB103_2:
	s_andn2_b64 vcc, exec, s[6:7]
	s_cbranch_vccnz .LBB103_4
; %bb.3:
	s_load_dword s16, s[16:17], 0x0
.LBB103_4:
	s_waitcnt lgkmcnt(0)
	v_cmp_neq_f32_e64 s[6:7], s12, 0
	v_cmp_neq_f32_e64 s[8:9], s16, 1.0
	s_or_b64 s[6:7], s[6:7], s[8:9]
	s_andn2_b64 vcc, exec, s[6:7]
	s_cbranch_vccnz .LBB103_10
; %bb.5:
	s_load_dwordx2 s[6:7], s[0:1], 0x20
	v_lshrrev_b32_e32 v1, 5, v0
	v_lshl_or_b32 v2, s2, 2, v1
	v_mov_b32_e32 v3, 0
	s_mov_b64 s[2:3], 0
	s_waitcnt lgkmcnt(0)
	s_cmp_lg_u64 s[6:7], 0
	s_cbranch_scc0 .LBB103_11
; %bb.6:
	v_cmp_gt_i64_e32 vcc, s[14:15], v[2:3]
                                        ; implicit-def: $vgpr20_vgpr21
                                        ; implicit-def: $vgpr24_vgpr25
	s_and_saveexec_b64 s[8:9], vcc
	s_xor_b64 s[8:9], exec, s[8:9]
	s_cbranch_execz .LBB103_8
; %bb.7:
	v_lshl_add_u64 v[4:5], v[2:3], 3, s[6:7]
	global_load_dwordx2 v[4:5], v[4:5], off
	s_mov_b32 s5, 0
	s_mov_b64 s[2:3], exec
	v_mov_b64_e32 v[24:25], s[4:5]
	s_waitcnt vmcnt(0)
	v_subrev_co_u32_e32 v20, vcc, s4, v4
	s_nop 1
	v_subbrev_co_u32_e32 v21, vcc, 0, v5, vcc
.LBB103_8:
	s_or_b64 exec, exec, s[8:9]
.LBB103_9:
	s_and_saveexec_b64 s[4:5], s[2:3]
	s_cbranch_execnz .LBB103_15
.LBB103_10:
	s_endpgm
.LBB103_11:
                                        ; implicit-def: $vgpr20_vgpr21
                                        ; implicit-def: $vgpr24_vgpr25
	s_cbranch_execz .LBB103_9
; %bb.12:
	s_load_dwordx2 s[6:7], s[0:1], 0x0
	s_waitcnt lgkmcnt(0)
	v_cmp_gt_i64_e32 vcc, s[6:7], v[2:3]
	s_and_saveexec_b64 s[6:7], vcc
; %bb.13:
	s_mov_b32 s5, 0
	s_or_b64 s[2:3], s[2:3], exec
; %bb.14:
	s_or_b64 exec, exec, s[6:7]
	v_mov_b64_e32 v[24:25], s[4:5]
	v_mov_b64_e32 v[20:21], v[2:3]
	s_and_saveexec_b64 s[4:5], s[2:3]
	s_cbranch_execz .LBB103_10
.LBB103_15:
	s_load_dwordx8 s[4:11], s[0:1], 0x28
	v_lshlrev_b64 v[2:3], 3, v[20:21]
	v_and_b32_e32 v22, 31, v0
	v_mov_b32_e32 v23, 0
	s_waitcnt lgkmcnt(0)
	v_lshl_add_u64 v[4:5], s[4:5], 0, v[2:3]
	s_cmp_eq_u64 s[6:7], 0
	v_lshl_add_u64 v[2:3], s[6:7], 0, v[2:3]
	global_load_dwordx2 v[8:9], v[4:5], off
	v_lshl_add_u64 v[4:5], v[4:5], 0, 8
	s_cselect_b64 vcc, -1, 0
	v_cndmask_b32_e32 v3, v3, v5, vcc
	v_cndmask_b32_e32 v2, v2, v4, vcc
	global_load_dwordx2 v[2:3], v[2:3], off
	s_load_dword s2, s[0:1], 0x8
	s_load_dwordx2 s[4:5], s[0:1], 0x48
	s_waitcnt lgkmcnt(0)
	s_cmp_eq_u32 s2, 1
	s_waitcnt vmcnt(1)
	v_sub_co_u32_e32 v0, vcc, v8, v24
	s_nop 1
	v_subb_co_u32_e32 v1, vcc, v9, v25, vcc
	v_lshl_add_u64 v[26:27], v[0:1], 0, v[22:23]
	s_waitcnt vmcnt(0)
	v_sub_co_u32_e32 v28, vcc, v2, v24
	v_lshlrev_b64 v[0:1], 5, v[26:27]
	s_nop 0
	v_subb_co_u32_e32 v29, vcc, v3, v25, vcc
	v_lshl_add_u64 v[30:31], s[10:11], 0, v[0:1]
	v_cmp_lt_i64_e64 s[2:3], v[26:27], v[28:29]
	s_cbranch_scc1 .LBB103_27
; %bb.16:
	v_mov_b32_e32 v32, v23
	v_mov_b32_e32 v35, v23
	;; [unrolled: 1-line block ×3, first 2 shown]
	s_and_saveexec_b64 s[6:7], s[2:3]
	s_cbranch_execz .LBB103_26
; %bb.17:
	v_or_b32_e32 v0, 32, v22
	v_sub_co_u32_e32 v0, vcc, v0, v24
	v_not_b32_e32 v3, v9
	s_nop 0
	v_subb_co_u32_e32 v1, vcc, 0, v25, vcc
	v_lshl_add_u64 v[0:1], v[0:1], 0, v[8:9]
	v_cmp_gt_i64_e32 vcc, v[0:1], v[28:29]
	v_not_b32_e32 v2, v8
	v_mov_b32_e32 v32, 0
	v_cndmask_b32_e32 v1, v29, v1, vcc
	v_cndmask_b32_e32 v0, v28, v0, vcc
	v_sub_co_u32_e32 v4, vcc, v24, v22
	s_mov_b64 s[10:11], 0x60
	s_nop 0
	v_subbrev_co_u32_e32 v5, vcc, 0, v25, vcc
	v_lshl_add_u64 v[2:3], v[4:5], 0, v[2:3]
	v_lshl_add_u64 v[0:1], v[2:3], 0, v[0:1]
	v_and_b32_e32 v2, 0x60, v0
	v_mov_b32_e32 v3, v32
	v_mov_b32_e32 v33, v32
	v_cmp_ne_u64_e32 vcc, s[10:11], v[2:3]
	v_mov_b64_e32 v[34:35], v[32:33]
	v_mov_b64_e32 v[10:11], v[26:27]
	;; [unrolled: 1-line block ×3, first 2 shown]
	s_and_saveexec_b64 s[10:11], vcc
	s_cbranch_execz .LBB103_21
; %bb.18:
	v_lshrrev_b32_e32 v2, 5, v0
	v_add_u32_e32 v2, 1, v2
	v_and_b32_e32 v2, 3, v2
	v_sub_co_u32_e32 v2, vcc, 0, v2
	s_mov_b64 s[14:15], 0
	s_nop 0
	v_subb_co_u32_e64 v3, s[18:19], 0, 0, vcc
	v_lshl_add_u64 v[4:5], v[26:27], 3, s[8:9]
	s_mov_b64 s[18:19], 0x400
	s_mov_b64 s[20:21], 0x100
	v_mov_b64_e32 v[12:13], v[30:31]
	v_mov_b64_e32 v[10:11], v[26:27]
	v_mov_b32_e32 v33, v32
	v_mov_b32_e32 v34, v32
	;; [unrolled: 1-line block ×3, first 2 shown]
.LBB103_19:                             ; =>This Inner Loop Header: Depth=1
	global_load_dwordx2 v[6:7], v[4:5], off
	global_load_dwordx4 v[14:17], v[12:13], off
	global_load_dwordx4 v[36:39], v[12:13], off offset:16
	v_lshl_add_u64 v[2:3], v[2:3], 0, 1
	v_lshl_add_u64 v[12:13], v[12:13], 0, s[18:19]
	;; [unrolled: 1-line block ×4, first 2 shown]
	s_waitcnt vmcnt(2)
	v_sub_co_u32_e32 v6, vcc, v6, v24
	s_nop 1
	v_subb_co_u32_e32 v7, vcc, v7, v25, vcc
	v_lshl_add_u64 v[6:7], v[6:7], 3, s[4:5]
	global_load_dwordx2 v[6:7], v[6:7], off
	s_waitcnt vmcnt(2)
	v_cvt_f32_f16_e32 v41, v16
	v_cvt_f32_f16_e32 v40, v14
	s_waitcnt vmcnt(1)
	v_cvt_f32_f16_e32 v45, v38
	v_cvt_f32_f16_e32 v44, v36
	v_cvt_f32_f16_sdwa v46, v36 dst_sel:DWORD dst_unused:UNUSED_PAD src0_sel:WORD_1
	v_cvt_f32_f16_sdwa v43, v16 dst_sel:DWORD dst_unused:UNUSED_PAD src0_sel:WORD_1
	v_cvt_f32_f16_sdwa v42, v14 dst_sel:DWORD dst_unused:UNUSED_PAD src0_sel:WORD_1
	v_cvt_f32_f16_sdwa v47, v38 dst_sel:DWORD dst_unused:UNUSED_PAD src0_sel:WORD_1
	v_cvt_f32_f16_e32 v18, v15
	v_cvt_f32_f16_e32 v19, v17
	v_cvt_f32_f16_sdwa v16, v15 dst_sel:DWORD dst_unused:UNUSED_PAD src0_sel:WORD_1
	v_cvt_f32_f16_e32 v14, v37
	v_cvt_f32_f16_e32 v15, v39
	v_cvt_f32_f16_sdwa v17, v17 dst_sel:DWORD dst_unused:UNUSED_PAD src0_sel:WORD_1
	v_cvt_f32_f16_sdwa v39, v39 dst_sel:DWORD dst_unused:UNUSED_PAD src0_sel:WORD_1
	v_cvt_f32_f16_sdwa v38, v37 dst_sel:DWORD dst_unused:UNUSED_PAD src0_sel:WORD_1
	v_cmp_eq_u64_e32 vcc, 0, v[2:3]
	s_or_b64 s[14:15], vcc, s[14:15]
	s_waitcnt vmcnt(0)
	v_cvt_f32_f16_e32 v36, v6
	v_cvt_f32_f16_sdwa v6, v6 dst_sel:DWORD dst_unused:UNUSED_PAD src0_sel:WORD_1
	v_cvt_f32_f16_e32 v48, v7
	v_cvt_f32_f16_sdwa v50, v7 dst_sel:DWORD dst_unused:UNUSED_PAD src0_sel:WORD_1
	v_pk_fma_f32 v[34:35], v[40:41], v[36:37], v[34:35] op_sel_hi:[1,0,1]
	v_pk_fma_f32 v[32:33], v[44:45], v[36:37], v[32:33] op_sel_hi:[1,0,1]
	;; [unrolled: 1-line block ×8, first 2 shown]
	s_andn2_b64 exec, exec, s[14:15]
	s_cbranch_execnz .LBB103_19
; %bb.20:
	s_or_b64 exec, exec, s[14:15]
.LBB103_21:
	s_or_b64 exec, exec, s[10:11]
	s_mov_b64 s[10:11], 0x5f
	v_cmp_lt_u64_e32 vcc, s[10:11], v[0:1]
	s_and_saveexec_b64 s[10:11], vcc
	s_cbranch_execz .LBB103_25
; %bb.22:
	v_lshl_add_u64 v[0:1], v[10:11], 3, s[8:9]
	s_mov_b64 s[14:15], 0x200
	v_lshl_add_u64 v[14:15], v[0:1], 0, s[14:15]
	s_mov_b64 s[14:15], 0
	s_mov_b64 s[18:19], 0x1000
	;; [unrolled: 1-line block ×4, first 2 shown]
.LBB103_23:                             ; =>This Inner Loop Header: Depth=1
	global_load_dwordx2 v[56:57], v[14:15], off offset:-512
	global_load_dwordx4 v[4:7], v[12:13], off
	global_load_dwordx4 v[0:3], v[12:13], off offset:16
	global_load_dwordx2 v[58:59], v[14:15], off offset:-256
	global_load_dwordx2 v[60:61], v[14:15], off
	global_load_dwordx2 v[62:63], v[14:15], off offset:256
	global_load_dwordx4 v[16:19], v[12:13], off offset:3072
	global_load_dwordx4 v[36:39], v[12:13], off offset:1024
	;; [unrolled: 1-line block ×6, first 2 shown]
	v_lshl_add_u64 v[10:11], v[10:11], 0, s[20:21]
	v_cmp_ge_i64_e32 vcc, v[10:11], v[28:29]
	s_or_b64 s[14:15], vcc, s[14:15]
	v_lshl_add_u64 v[12:13], v[12:13], 0, s[18:19]
	v_lshl_add_u64 v[14:15], v[14:15], 0, s[22:23]
	s_waitcnt vmcnt(11)
	v_sub_co_u32_e32 v56, vcc, v56, v24
	s_nop 1
	v_subb_co_u32_e32 v57, vcc, v57, v25, vcc
	s_waitcnt vmcnt(8)
	v_sub_co_u32_e32 v58, vcc, v58, v24
	v_lshl_add_u64 v[56:57], v[56:57], 3, s[4:5]
	s_nop 0
	v_subb_co_u32_e32 v59, vcc, v59, v25, vcc
	s_waitcnt vmcnt(7)
	v_sub_co_u32_e32 v60, vcc, v60, v24
	v_lshl_add_u64 v[58:59], v[58:59], 3, s[4:5]
	;; [unrolled: 5-line block ×3, first 2 shown]
	s_nop 0
	v_subb_co_u32_e32 v63, vcc, v63, v25, vcc
	v_lshl_add_u64 v[62:63], v[62:63], 3, s[4:5]
	global_load_dwordx2 v[82:83], v[56:57], off
	global_load_dwordx2 v[84:85], v[58:59], off
	;; [unrolled: 1-line block ×4, first 2 shown]
	v_cvt_f32_f16_e32 v67, v6
	v_cvt_f32_f16_e32 v66, v4
	v_cvt_f32_f16_sdwa v68, v4 dst_sel:DWORD dst_unused:UNUSED_PAD src0_sel:WORD_1
	v_cvt_f32_f16_e32 v73, v2
	v_cvt_f32_f16_e32 v72, v0
	v_cvt_f32_f16_sdwa v74, v0 dst_sel:DWORD dst_unused:UNUSED_PAD src0_sel:WORD_1
	s_waitcnt vmcnt(9)
	v_cvt_f32_f16_sdwa v4, v16 dst_sel:DWORD dst_unused:UNUSED_PAD src0_sel:WORD_1
	s_waitcnt vmcnt(8)
	v_cvt_f32_f16_e32 v76, v36
	v_cvt_f32_f16_sdwa v78, v36 dst_sel:DWORD dst_unused:UNUSED_PAD src0_sel:WORD_1
	s_waitcnt vmcnt(7)
	v_cvt_f32_f16_e32 v36, v40
	v_cvt_f32_f16_sdwa v56, v40 dst_sel:DWORD dst_unused:UNUSED_PAD src0_sel:WORD_1
	v_cvt_f32_f16_e32 v40, v16
	s_waitcnt vmcnt(6)
	v_cvt_f32_f16_sdwa v0, v44 dst_sel:DWORD dst_unused:UNUSED_PAD src0_sel:WORD_1
	s_waitcnt vmcnt(5)
	v_cvt_f32_f16_e32 v16, v48
	v_cvt_f32_f16_sdwa v62, v48 dst_sel:DWORD dst_unused:UNUSED_PAD src0_sel:WORD_1
	s_waitcnt vmcnt(4)
	v_cvt_f32_f16_e32 v48, v52
	v_cvt_f32_f16_sdwa v92, v52 dst_sel:DWORD dst_unused:UNUSED_PAD src0_sel:WORD_1
	v_cvt_f32_f16_e32 v52, v44
	v_cvt_f32_f16_sdwa v69, v6 dst_sel:DWORD dst_unused:UNUSED_PAD src0_sel:WORD_1
	v_cvt_f32_f16_sdwa v75, v2 dst_sel:DWORD dst_unused:UNUSED_PAD src0_sel:WORD_1
	v_cvt_f32_f16_e32 v64, v5
	v_cvt_f32_f16_e32 v65, v7
	v_cvt_f32_f16_e32 v70, v1
	v_cvt_f32_f16_e32 v71, v3
	v_cvt_f32_f16_sdwa v7, v7 dst_sel:DWORD dst_unused:UNUSED_PAD src0_sel:WORD_1
	v_cvt_f32_f16_sdwa v6, v5 dst_sel:DWORD dst_unused:UNUSED_PAD src0_sel:WORD_1
	;; [unrolled: 1-line block ×4, first 2 shown]
	v_cvt_f32_f16_e32 v77, v38
	v_cvt_f32_f16_sdwa v79, v38 dst_sel:DWORD dst_unused:UNUSED_PAD src0_sel:WORD_1
	v_cvt_f32_f16_e32 v80, v37
	v_cvt_f32_f16_sdwa v38, v37 dst_sel:DWORD dst_unused:UNUSED_PAD src0_sel:WORD_1
	v_cvt_f32_f16_e32 v37, v42
	v_cvt_f32_f16_sdwa v57, v42 dst_sel:DWORD dst_unused:UNUSED_PAD src0_sel:WORD_1
	v_cvt_f32_f16_e32 v58, v41
	v_cvt_f32_f16_sdwa v42, v41 dst_sel:DWORD dst_unused:UNUSED_PAD src0_sel:WORD_1
	v_cvt_f32_f16_e32 v41, v18
	v_cvt_f32_f16_sdwa v5, v18 dst_sel:DWORD dst_unused:UNUSED_PAD src0_sel:WORD_1
	v_cvt_f32_f16_e32 v60, v17
	v_cvt_f32_f16_sdwa v18, v17 dst_sel:DWORD dst_unused:UNUSED_PAD src0_sel:WORD_1
	v_cvt_f32_f16_e32 v17, v50
	v_cvt_f32_f16_sdwa v63, v50 dst_sel:DWORD dst_unused:UNUSED_PAD src0_sel:WORD_1
	v_cvt_f32_f16_e32 v81, v39
	v_cvt_f32_f16_e32 v91, v51
	;; [unrolled: 1-line block ×3, first 2 shown]
	v_cvt_f32_f16_sdwa v39, v39 dst_sel:DWORD dst_unused:UNUSED_PAD src0_sel:WORD_1
	v_cvt_f32_f16_sdwa v51, v51 dst_sel:DWORD dst_unused:UNUSED_PAD src0_sel:WORD_1
	;; [unrolled: 1-line block ×3, first 2 shown]
	v_cvt_f32_f16_e32 v49, v54
	v_cvt_f32_f16_sdwa v93, v54 dst_sel:DWORD dst_unused:UNUSED_PAD src0_sel:WORD_1
	v_cvt_f32_f16_e32 v59, v43
	v_cvt_f32_f16_e32 v95, v55
	;; [unrolled: 1-line block ×3, first 2 shown]
	v_cvt_f32_f16_sdwa v43, v43 dst_sel:DWORD dst_unused:UNUSED_PAD src0_sel:WORD_1
	v_cvt_f32_f16_sdwa v55, v55 dst_sel:DWORD dst_unused:UNUSED_PAD src0_sel:WORD_1
	;; [unrolled: 1-line block ×3, first 2 shown]
	v_cvt_f32_f16_e32 v53, v46
	v_cvt_f32_f16_sdwa v1, v46 dst_sel:DWORD dst_unused:UNUSED_PAD src0_sel:WORD_1
	v_cvt_f32_f16_e32 v61, v19
	v_cvt_f32_f16_e32 v97, v47
	;; [unrolled: 1-line block ×3, first 2 shown]
	v_cvt_f32_f16_sdwa v19, v19 dst_sel:DWORD dst_unused:UNUSED_PAD src0_sel:WORD_1
	v_cvt_f32_f16_sdwa v47, v47 dst_sel:DWORD dst_unused:UNUSED_PAD src0_sel:WORD_1
	;; [unrolled: 1-line block ×3, first 2 shown]
	s_waitcnt vmcnt(3)
	v_cvt_f32_f16_e32 v44, v82
	v_cvt_f32_f16_sdwa v82, v82 dst_sel:DWORD dst_unused:UNUSED_PAD src0_sel:WORD_1
	v_cvt_f32_f16_e32 v98, v83
	v_cvt_f32_f16_sdwa v100, v83 dst_sel:DWORD dst_unused:UNUSED_PAD src0_sel:WORD_1
	v_pk_fma_f32 v[34:35], v[66:67], v[44:45], v[34:35] op_sel_hi:[1,0,1]
	s_waitcnt vmcnt(2)
	v_cvt_f32_f16_e32 v66, v84
	v_pk_fma_f32 v[32:33], v[72:73], v[44:45], v[32:33] op_sel_hi:[1,0,1]
	v_cvt_f32_f16_sdwa v44, v84 dst_sel:DWORD dst_unused:UNUSED_PAD src0_sel:WORD_1
	v_pk_fma_f32 v[34:35], v[68:69], v[82:83], v[34:35] op_sel_hi:[1,0,1]
	v_pk_fma_f32 v[32:33], v[74:75], v[82:83], v[32:33] op_sel_hi:[1,0,1]
	v_cvt_f32_f16_e32 v72, v85
	v_pk_fma_f32 v[34:35], v[64:65], v[98:99], v[34:35] op_sel_hi:[1,0,1]
	v_pk_fma_f32 v[32:33], v[70:71], v[98:99], v[32:33] op_sel_hi:[1,0,1]
	v_cvt_f32_f16_sdwa v84, v85 dst_sel:DWORD dst_unused:UNUSED_PAD src0_sel:WORD_1
	v_pk_fma_f32 v[6:7], v[6:7], v[100:101], v[34:35] op_sel_hi:[1,0,1]
	v_pk_fma_f32 v[2:3], v[2:3], v[100:101], v[32:33] op_sel_hi:[1,0,1]
	s_waitcnt vmcnt(1)
	v_cvt_f32_f16_e32 v68, v86
	v_pk_fma_f32 v[6:7], v[76:77], v[66:67], v[6:7] op_sel_hi:[1,0,1]
	v_pk_fma_f32 v[2:3], v[16:17], v[66:67], v[2:3] op_sel_hi:[1,0,1]
	v_cvt_f32_f16_sdwa v74, v86 dst_sel:DWORD dst_unused:UNUSED_PAD src0_sel:WORD_1
	v_pk_fma_f32 v[6:7], v[78:79], v[44:45], v[6:7] op_sel_hi:[1,0,1]
	v_pk_fma_f32 v[2:3], v[62:63], v[44:45], v[2:3] op_sel_hi:[1,0,1]
	v_cvt_f32_f16_e32 v82, v87
	v_pk_fma_f32 v[6:7], v[80:81], v[72:73], v[6:7] op_sel_hi:[1,0,1]
	v_pk_fma_f32 v[2:3], v[90:91], v[72:73], v[2:3] op_sel_hi:[1,0,1]
	v_cvt_f32_f16_sdwa v86, v87 dst_sel:DWORD dst_unused:UNUSED_PAD src0_sel:WORD_1
	v_pk_fma_f32 v[6:7], v[38:39], v[84:85], v[6:7] op_sel_hi:[1,0,1]
	v_pk_fma_f32 v[2:3], v[50:51], v[84:85], v[2:3] op_sel_hi:[1,0,1]
	s_waitcnt vmcnt(0)
	v_cvt_f32_f16_e32 v64, v88
	v_pk_fma_f32 v[6:7], v[36:37], v[68:69], v[6:7] op_sel_hi:[1,0,1]
	v_pk_fma_f32 v[2:3], v[48:49], v[68:69], v[2:3] op_sel_hi:[1,0,1]
	v_cvt_f32_f16_sdwa v70, v88 dst_sel:DWORD dst_unused:UNUSED_PAD src0_sel:WORD_1
	v_pk_fma_f32 v[6:7], v[56:57], v[74:75], v[6:7] op_sel_hi:[1,0,1]
	v_pk_fma_f32 v[2:3], v[92:93], v[74:75], v[2:3] op_sel_hi:[1,0,1]
	v_cvt_f32_f16_e32 v88, v89
	v_pk_fma_f32 v[6:7], v[58:59], v[82:83], v[6:7] op_sel_hi:[1,0,1]
	v_pk_fma_f32 v[2:3], v[94:95], v[82:83], v[2:3] op_sel_hi:[1,0,1]
	v_cvt_f32_f16_sdwa v98, v89 dst_sel:DWORD dst_unused:UNUSED_PAD src0_sel:WORD_1
	v_pk_fma_f32 v[6:7], v[42:43], v[86:87], v[6:7] op_sel_hi:[1,0,1]
	v_pk_fma_f32 v[2:3], v[54:55], v[86:87], v[2:3] op_sel_hi:[1,0,1]
	;; [unrolled: 1-line block ×10, first 2 shown]
	s_andn2_b64 exec, exec, s[14:15]
	s_cbranch_execnz .LBB103_23
; %bb.24:
	s_or_b64 exec, exec, s[14:15]
.LBB103_25:
	s_or_b64 exec, exec, s[10:11]
	v_mov_b32_e32 v23, v33
.LBB103_26:
	s_or_b64 exec, exec, s[6:7]
	v_mov_b32_e32 v33, v23
	s_cbranch_execz .LBB103_28
	s_branch .LBB103_39
.LBB103_27:
                                        ; implicit-def: $vgpr33
                                        ; implicit-def: $vgpr35
.LBB103_28:
	v_mov_b32_e32 v33, 0
	v_mov_b32_e32 v32, 0
	;; [unrolled: 1-line block ×4, first 2 shown]
	s_and_saveexec_b64 s[6:7], s[2:3]
	s_cbranch_execz .LBB103_38
; %bb.29:
	v_or_b32_e32 v0, 32, v22
	v_sub_co_u32_e32 v0, vcc, v0, v24
	v_not_b32_e32 v3, v9
	s_nop 0
	v_subb_co_u32_e32 v1, vcc, 0, v25, vcc
	v_lshl_add_u64 v[0:1], v[0:1], 0, v[8:9]
	v_cmp_gt_i64_e32 vcc, v[0:1], v[28:29]
	v_not_b32_e32 v2, v8
	v_mov_b32_e32 v32, 0
	v_cndmask_b32_e32 v1, v29, v1, vcc
	v_cndmask_b32_e32 v0, v28, v0, vcc
	v_sub_co_u32_e32 v4, vcc, v24, v22
	s_mov_b64 s[2:3], 0x60
	s_nop 0
	v_subbrev_co_u32_e32 v5, vcc, 0, v25, vcc
	v_lshl_add_u64 v[2:3], v[4:5], 0, v[2:3]
	v_lshl_add_u64 v[0:1], v[2:3], 0, v[0:1]
	v_and_b32_e32 v2, 0x60, v0
	v_mov_b32_e32 v3, v32
	v_mov_b32_e32 v33, v32
	v_cmp_ne_u64_e32 vcc, s[2:3], v[2:3]
	v_mov_b64_e32 v[34:35], v[32:33]
	s_and_saveexec_b64 s[2:3], vcc
	s_cbranch_execz .LBB103_33
; %bb.30:
	v_lshrrev_b32_e32 v2, 5, v0
	v_add_u32_e32 v2, 1, v2
	v_and_b32_e32 v4, 3, v2
	v_sub_co_u32_e32 v4, vcc, 0, v4
	v_lshl_add_u64 v[2:3], v[26:27], 3, s[8:9]
	s_nop 0
	v_subb_co_u32_e64 v5, s[14:15], 0, 0, vcc
	s_mov_b64 s[10:11], 0
	s_mov_b64 s[14:15], 0x400
	;; [unrolled: 1-line block ×3, first 2 shown]
	v_mov_b32_e32 v33, v32
	v_mov_b32_e32 v34, v32
	;; [unrolled: 1-line block ×3, first 2 shown]
.LBB103_31:                             ; =>This Inner Loop Header: Depth=1
	global_load_dwordx2 v[10:11], v[2:3], off
	global_load_dwordx4 v[6:9], v[30:31], off
	v_lshl_add_u64 v[4:5], v[4:5], 0, 1
	v_lshl_add_u64 v[26:27], v[26:27], 0, 32
	;; [unrolled: 1-line block ×3, first 2 shown]
	s_waitcnt vmcnt(1)
	v_sub_co_u32_e32 v10, vcc, v10, v24
	s_nop 1
	v_subb_co_u32_e32 v11, vcc, v11, v25, vcc
	v_lshl_add_u64 v[14:15], v[10:11], 3, s[4:5]
	global_load_dwordx2 v[16:17], v[14:15], off
	global_load_dwordx4 v[10:13], v[30:31], off offset:16
	s_waitcnt vmcnt(2)
	v_cvt_f32_f16_sdwa v15, v6 dst_sel:DWORD dst_unused:UNUSED_PAD src0_sel:WORD_1
	v_cvt_f32_f16_e32 v14, v6
	v_cvt_f32_f16_sdwa v19, v8 dst_sel:DWORD dst_unused:UNUSED_PAD src0_sel:WORD_1
	v_cvt_f32_f16_e32 v18, v8
	;; [unrolled: 2-line block ×4, first 2 shown]
	v_cmp_eq_u64_e32 vcc, 0, v[4:5]
	v_lshl_add_u64 v[30:31], v[30:31], 0, s[14:15]
	s_or_b64 s[10:11], vcc, s[10:11]
	s_waitcnt vmcnt(1)
	v_cvt_f32_f16_e32 v42, v17
	s_waitcnt vmcnt(0)
	v_cvt_f32_f16_sdwa v9, v10 dst_sel:DWORD dst_unused:UNUSED_PAD src0_sel:WORD_1
	v_cvt_f32_f16_e32 v8, v10
	v_cvt_f32_f16_sdwa v39, v11 dst_sel:DWORD dst_unused:UNUSED_PAD src0_sel:WORD_1
	v_cvt_f32_f16_e32 v38, v11
	v_cvt_f32_f16_sdwa v11, v12 dst_sel:DWORD dst_unused:UNUSED_PAD src0_sel:WORD_1
	v_cvt_f32_f16_e32 v10, v12
	v_cvt_f32_f16_e32 v12, v16
	v_cvt_f32_f16_sdwa v16, v16 dst_sel:DWORD dst_unused:UNUSED_PAD src0_sel:WORD_1
	v_cvt_f32_f16_sdwa v41, v13 dst_sel:DWORD dst_unused:UNUSED_PAD src0_sel:WORD_1
	v_cvt_f32_f16_e32 v40, v13
	v_cvt_f32_f16_sdwa v44, v17 dst_sel:DWORD dst_unused:UNUSED_PAD src0_sel:WORD_1
	v_pk_fma_f32 v[14:15], v[14:15], v[12:13], v[34:35] op_sel_hi:[1,0,1]
	v_pk_fma_f32 v[12:13], v[36:37], v[12:13], v[32:33] op_sel_hi:[1,0,1]
	;; [unrolled: 1-line block ×8, first 2 shown]
	s_andn2_b64 exec, exec, s[10:11]
	s_cbranch_execnz .LBB103_31
; %bb.32:
	s_or_b64 exec, exec, s[10:11]
.LBB103_33:
	s_or_b64 exec, exec, s[2:3]
	s_mov_b64 s[2:3], 0x5f
	v_cmp_lt_u64_e32 vcc, s[2:3], v[0:1]
	s_and_saveexec_b64 s[2:3], vcc
	s_cbranch_execz .LBB103_37
; %bb.34:
	v_lshl_add_u64 v[0:1], v[26:27], 3, s[8:9]
	s_mov_b64 s[8:9], 0x200
	v_lshl_add_u64 v[36:37], v[0:1], 0, s[8:9]
	s_mov_b64 s[8:9], 0
	s_mov_b64 s[10:11], 0x1000
	;; [unrolled: 1-line block ×4, first 2 shown]
.LBB103_35:                             ; =>This Inner Loop Header: Depth=1
	global_load_dwordx4 v[4:7], v[30:31], off
	global_load_dwordx4 v[0:3], v[30:31], off offset:16
	global_load_dwordx4 v[8:11], v[30:31], off offset:1024
	;; [unrolled: 1-line block ×4, first 2 shown]
	global_load_dwordx2 v[50:51], v[36:37], off offset:-512
	global_load_dwordx2 v[52:53], v[36:37], off offset:-256
	global_load_dwordx2 v[54:55], v[36:37], off
	global_load_dwordx2 v[56:57], v[36:37], off offset:256
	global_load_dwordx4 v[38:41], v[30:31], off offset:2064
	global_load_dwordx4 v[42:45], v[30:31], off offset:3072
	;; [unrolled: 1-line block ×3, first 2 shown]
	v_lshl_add_u64 v[26:27], v[26:27], 0, s[14:15]
	v_cmp_ge_i64_e32 vcc, v[26:27], v[28:29]
	s_or_b64 s[8:9], vcc, s[8:9]
	v_lshl_add_u64 v[30:31], v[30:31], 0, s[10:11]
	v_lshl_add_u64 v[36:37], v[36:37], 0, s[18:19]
	s_waitcnt vmcnt(11)
	v_cvt_f32_f16_sdwa v59, v4 dst_sel:DWORD dst_unused:UNUSED_PAD src0_sel:WORD_1
	v_cvt_f32_f16_e32 v58, v4
	v_cvt_f32_f16_sdwa v63, v5 dst_sel:DWORD dst_unused:UNUSED_PAD src0_sel:WORD_1
	v_cvt_f32_f16_e32 v62, v5
	v_cvt_f32_f16_sdwa v61, v6 dst_sel:DWORD dst_unused:UNUSED_PAD src0_sel:WORD_1
	s_waitcnt vmcnt(6)
	v_sub_co_u32_e32 v50, vcc, v50, v24
	v_cvt_f32_f16_e32 v60, v6
	s_nop 0
	v_subb_co_u32_e32 v51, vcc, v51, v25, vcc
	s_waitcnt vmcnt(5)
	v_sub_co_u32_e32 v52, vcc, v52, v24
	v_lshl_add_u64 v[50:51], v[50:51], 3, s[4:5]
	s_nop 0
	v_subb_co_u32_e32 v53, vcc, v53, v25, vcc
	s_waitcnt vmcnt(4)
	v_sub_co_u32_e32 v54, vcc, v54, v24
	v_lshl_add_u64 v[52:53], v[52:53], 3, s[4:5]
	;; [unrolled: 5-line block ×3, first 2 shown]
	s_nop 0
	v_subb_co_u32_e32 v57, vcc, v57, v25, vcc
	v_lshl_add_u64 v[56:57], v[56:57], 3, s[4:5]
	global_load_dwordx2 v[78:79], v[50:51], off
	global_load_dwordx2 v[80:81], v[52:53], off
	;; [unrolled: 1-line block ×4, first 2 shown]
	s_waitcnt vmcnt(4)
	v_cvt_f32_f16_sdwa v89, v48 dst_sel:DWORD dst_unused:UNUSED_PAD src0_sel:WORD_1
	v_cvt_f32_f16_e32 v88, v48
	v_cvt_f32_f16_sdwa v5, v7 dst_sel:DWORD dst_unused:UNUSED_PAD src0_sel:WORD_1
	v_cvt_f32_f16_e32 v4, v7
	;; [unrolled: 2-line block ×29, first 2 shown]
	s_waitcnt vmcnt(3)
	v_cvt_f32_f16_e32 v48, v78
	v_cvt_f32_f16_sdwa v78, v78 dst_sel:DWORD dst_unused:UNUSED_PAD src0_sel:WORD_1
	v_cvt_f32_f16_e32 v92, v79
	v_cvt_f32_f16_sdwa v94, v79 dst_sel:DWORD dst_unused:UNUSED_PAD src0_sel:WORD_1
	v_pk_fma_f32 v[34:35], v[58:59], v[48:49], v[34:35] op_sel_hi:[1,0,1]
	s_waitcnt vmcnt(2)
	v_cvt_f32_f16_e32 v58, v80
	v_pk_fma_f32 v[32:33], v[62:63], v[48:49], v[32:33] op_sel_hi:[1,0,1]
	v_cvt_f32_f16_sdwa v48, v80 dst_sel:DWORD dst_unused:UNUSED_PAD src0_sel:WORD_1
	v_pk_fma_f32 v[34:35], v[60:61], v[78:79], v[34:35] op_sel_hi:[1,0,1]
	v_pk_fma_f32 v[4:5], v[4:5], v[78:79], v[32:33] op_sel_hi:[1,0,1]
	v_cvt_f32_f16_e32 v62, v81
	v_pk_fma_f32 v[6:7], v[6:7], v[92:93], v[34:35] op_sel_hi:[1,0,1]
	v_pk_fma_f32 v[4:5], v[64:65], v[92:93], v[4:5] op_sel_hi:[1,0,1]
	v_cvt_f32_f16_sdwa v80, v81 dst_sel:DWORD dst_unused:UNUSED_PAD src0_sel:WORD_1
	v_pk_fma_f32 v[0:1], v[0:1], v[94:95], v[6:7] op_sel_hi:[1,0,1]
	v_pk_fma_f32 v[4:5], v[76:77], v[94:95], v[4:5] op_sel_hi:[1,0,1]
	s_waitcnt vmcnt(1)
	v_cvt_f32_f16_e32 v60, v82
	v_pk_fma_f32 v[0:1], v[66:67], v[58:59], v[0:1] op_sel_hi:[1,0,1]
	v_pk_fma_f32 v[2:3], v[2:3], v[58:59], v[4:5] op_sel_hi:[1,0,1]
	v_cvt_f32_f16_sdwa v32, v82 dst_sel:DWORD dst_unused:UNUSED_PAD src0_sel:WORD_1
	v_pk_fma_f32 v[0:1], v[68:69], v[48:49], v[0:1] op_sel_hi:[1,0,1]
	v_pk_fma_f32 v[2:3], v[8:9], v[48:49], v[2:3] op_sel_hi:[1,0,1]
	v_cvt_f32_f16_e32 v78, v83
	v_pk_fma_f32 v[0:1], v[70:71], v[62:63], v[0:1] op_sel_hi:[1,0,1]
	v_pk_fma_f32 v[2:3], v[10:11], v[62:63], v[2:3] op_sel_hi:[1,0,1]
	v_cvt_f32_f16_sdwa v82, v83 dst_sel:DWORD dst_unused:UNUSED_PAD src0_sel:WORD_1
	v_pk_fma_f32 v[0:1], v[72:73], v[80:81], v[0:1] op_sel_hi:[1,0,1]
	v_pk_fma_f32 v[2:3], v[12:13], v[80:81], v[2:3] op_sel_hi:[1,0,1]
	s_waitcnt vmcnt(0)
	v_cvt_f32_f16_e32 v34, v84
	v_pk_fma_f32 v[0:1], v[74:75], v[60:61], v[0:1] op_sel_hi:[1,0,1]
	v_pk_fma_f32 v[2:3], v[50:51], v[60:61], v[2:3] op_sel_hi:[1,0,1]
	v_cvt_f32_f16_sdwa v64, v84 dst_sel:DWORD dst_unused:UNUSED_PAD src0_sel:WORD_1
	v_pk_fma_f32 v[0:1], v[14:15], v[32:33], v[0:1] op_sel_hi:[1,0,1]
	v_pk_fma_f32 v[2:3], v[16:17], v[32:33], v[2:3] op_sel_hi:[1,0,1]
	v_cvt_f32_f16_e32 v84, v85
	v_pk_fma_f32 v[0:1], v[18:19], v[78:79], v[0:1] op_sel_hi:[1,0,1]
	v_pk_fma_f32 v[2:3], v[54:55], v[78:79], v[2:3] op_sel_hi:[1,0,1]
	v_cvt_f32_f16_sdwa v92, v85 dst_sel:DWORD dst_unused:UNUSED_PAD src0_sel:WORD_1
	v_pk_fma_f32 v[0:1], v[52:53], v[82:83], v[0:1] op_sel_hi:[1,0,1]
	v_pk_fma_f32 v[2:3], v[38:39], v[82:83], v[2:3] op_sel_hi:[1,0,1]
	v_pk_fma_f32 v[0:1], v[40:41], v[34:35], v[0:1] op_sel_hi:[1,0,1]
	v_pk_fma_f32 v[2:3], v[56:57], v[34:35], v[2:3] op_sel_hi:[1,0,1]
	v_pk_fma_f32 v[0:1], v[42:43], v[64:65], v[0:1] op_sel_hi:[1,0,1]
	v_pk_fma_f32 v[2:3], v[86:87], v[64:65], v[2:3] op_sel_hi:[1,0,1]
	v_pk_fma_f32 v[0:1], v[44:45], v[84:85], v[0:1] op_sel_hi:[1,0,1]
	v_pk_fma_f32 v[2:3], v[90:91], v[84:85], v[2:3] op_sel_hi:[1,0,1]
	v_pk_fma_f32 v[34:35], v[88:89], v[92:93], v[0:1] op_sel_hi:[1,0,1]
	v_pk_fma_f32 v[32:33], v[46:47], v[92:93], v[2:3] op_sel_hi:[1,0,1]
	s_andn2_b64 exec, exec, s[8:9]
	s_cbranch_execnz .LBB103_35
; %bb.36:
	s_or_b64 exec, exec, s[8:9]
.LBB103_37:
	s_or_b64 exec, exec, s[2:3]
.LBB103_38:
	s_or_b64 exec, exec, s[6:7]
.LBB103_39:
	v_mov_b32_dpp v0, v34 row_shr:1 row_mask:0xf bank_mask:0xf
	v_mov_b32_dpp v1, v35 row_shr:1 row_mask:0xf bank_mask:0xf
	v_mov_b32_dpp v4, v32 row_shr:1 row_mask:0xf bank_mask:0xf
	v_mov_b32_dpp v5, v33 row_shr:1 row_mask:0xf bank_mask:0xf
	v_pk_add_f32 v[0:1], v[34:35], v[0:1]
	v_pk_add_f32 v[4:5], v[32:33], v[4:5]
	v_cmp_eq_u32_e32 vcc, 31, v22
	v_mov_b32_dpp v2, v0 row_shr:2 row_mask:0xf bank_mask:0xf
	v_mov_b32_dpp v3, v1 row_shr:2 row_mask:0xf bank_mask:0xf
	v_mov_b32_dpp v6, v4 row_shr:2 row_mask:0xf bank_mask:0xf
	v_mov_b32_dpp v7, v5 row_shr:2 row_mask:0xf bank_mask:0xf
	v_pk_add_f32 v[0:1], v[0:1], v[2:3]
	v_pk_add_f32 v[4:5], v[4:5], v[6:7]
	s_nop 0
	v_mov_b32_dpp v2, v0 row_shr:4 row_mask:0xf bank_mask:0xe
	v_mov_b32_dpp v3, v1 row_shr:4 row_mask:0xf bank_mask:0xe
	v_mov_b32_dpp v6, v4 row_shr:4 row_mask:0xf bank_mask:0xe
	v_mov_b32_dpp v7, v5 row_shr:4 row_mask:0xf bank_mask:0xe
	v_pk_add_f32 v[0:1], v[0:1], v[2:3]
	v_pk_add_f32 v[4:5], v[4:5], v[6:7]
	s_nop 0
	;; [unrolled: 7-line block ×3, first 2 shown]
	v_mov_b32_dpp v2, v0 row_bcast:15 row_mask:0xa bank_mask:0xf
	v_mov_b32_dpp v3, v1 row_bcast:15 row_mask:0xa bank_mask:0xf
	;; [unrolled: 1-line block ×4, first 2 shown]
	s_and_b64 exec, exec, vcc
	s_cbranch_execz .LBB103_10
; %bb.40:
	s_load_dwordx2 s[0:1], s[0:1], 0x58
	v_cmp_eq_f32_e64 s[2:3], s16, 0
	v_pk_add_f32 v[4:5], v[0:1], v[2:3]
	v_pk_add_f32 v[2:3], v[6:7], v[8:9]
	s_and_b64 vcc, exec, s[2:3]
	s_waitcnt lgkmcnt(0)
	v_lshl_add_u64 v[0:1], v[20:21], 4, s[0:1]
	s_cbranch_vccz .LBB103_42
; %bb.41:
	v_pk_mul_f32 v[6:7], s[12:13], v[4:5] op_sel_hi:[0,1]
	v_pk_mul_f32 v[8:9], s[12:13], v[2:3] op_sel_hi:[0,1]
	global_store_dwordx4 v[0:1], v[6:9], off
	s_cbranch_execnz .LBB103_10
	s_branch .LBB103_43
.LBB103_42:
.LBB103_43:
	global_load_dwordx4 v[6:9], v[0:1], off
	v_pk_mul_f32 v[4:5], s[12:13], v[4:5] op_sel_hi:[0,1]
	v_pk_mul_f32 v[10:11], s[12:13], v[2:3] op_sel_hi:[0,1]
	s_waitcnt vmcnt(0)
	v_pk_fma_f32 v[2:3], s[16:17], v[6:7], v[4:5] op_sel_hi:[0,1,1]
	v_pk_fma_f32 v[4:5], s[16:17], v[8:9], v[10:11] op_sel_hi:[0,1,1]
	global_store_dwordx4 v[0:1], v[2:5], off
	s_endpgm
	.section	.rodata,"a",@progbits
	.p2align	6, 0x0
	.amdhsa_kernel _ZN9rocsparseL18bsrxmvn_4x4_kernelILj128ELj32EfllDF16_DF16_fEEvT3_20rocsparse_direction_NS_24const_host_device_scalarIT1_EES1_PKS1_PKT2_SA_S7_PKT4_PKT5_S5_PT6_21rocsparse_index_base_b
		.amdhsa_group_segment_fixed_size 0
		.amdhsa_private_segment_fixed_size 0
		.amdhsa_kernarg_size 104
		.amdhsa_user_sgpr_count 2
		.amdhsa_user_sgpr_dispatch_ptr 0
		.amdhsa_user_sgpr_queue_ptr 0
		.amdhsa_user_sgpr_kernarg_segment_ptr 1
		.amdhsa_user_sgpr_dispatch_id 0
		.amdhsa_user_sgpr_kernarg_preload_length 0
		.amdhsa_user_sgpr_kernarg_preload_offset 0
		.amdhsa_user_sgpr_private_segment_size 0
		.amdhsa_uses_dynamic_stack 0
		.amdhsa_enable_private_segment 0
		.amdhsa_system_sgpr_workgroup_id_x 1
		.amdhsa_system_sgpr_workgroup_id_y 0
		.amdhsa_system_sgpr_workgroup_id_z 0
		.amdhsa_system_sgpr_workgroup_info 0
		.amdhsa_system_vgpr_workitem_id 0
		.amdhsa_next_free_vgpr 102
		.amdhsa_next_free_sgpr 24
		.amdhsa_accum_offset 104
		.amdhsa_reserve_vcc 1
		.amdhsa_float_round_mode_32 0
		.amdhsa_float_round_mode_16_64 0
		.amdhsa_float_denorm_mode_32 3
		.amdhsa_float_denorm_mode_16_64 3
		.amdhsa_dx10_clamp 1
		.amdhsa_ieee_mode 1
		.amdhsa_fp16_overflow 0
		.amdhsa_tg_split 0
		.amdhsa_exception_fp_ieee_invalid_op 0
		.amdhsa_exception_fp_denorm_src 0
		.amdhsa_exception_fp_ieee_div_zero 0
		.amdhsa_exception_fp_ieee_overflow 0
		.amdhsa_exception_fp_ieee_underflow 0
		.amdhsa_exception_fp_ieee_inexact 0
		.amdhsa_exception_int_div_zero 0
	.end_amdhsa_kernel
	.section	.text._ZN9rocsparseL18bsrxmvn_4x4_kernelILj128ELj32EfllDF16_DF16_fEEvT3_20rocsparse_direction_NS_24const_host_device_scalarIT1_EES1_PKS1_PKT2_SA_S7_PKT4_PKT5_S5_PT6_21rocsparse_index_base_b,"axG",@progbits,_ZN9rocsparseL18bsrxmvn_4x4_kernelILj128ELj32EfllDF16_DF16_fEEvT3_20rocsparse_direction_NS_24const_host_device_scalarIT1_EES1_PKS1_PKT2_SA_S7_PKT4_PKT5_S5_PT6_21rocsparse_index_base_b,comdat
.Lfunc_end103:
	.size	_ZN9rocsparseL18bsrxmvn_4x4_kernelILj128ELj32EfllDF16_DF16_fEEvT3_20rocsparse_direction_NS_24const_host_device_scalarIT1_EES1_PKS1_PKT2_SA_S7_PKT4_PKT5_S5_PT6_21rocsparse_index_base_b, .Lfunc_end103-_ZN9rocsparseL18bsrxmvn_4x4_kernelILj128ELj32EfllDF16_DF16_fEEvT3_20rocsparse_direction_NS_24const_host_device_scalarIT1_EES1_PKS1_PKT2_SA_S7_PKT4_PKT5_S5_PT6_21rocsparse_index_base_b
                                        ; -- End function
	.set _ZN9rocsparseL18bsrxmvn_4x4_kernelILj128ELj32EfllDF16_DF16_fEEvT3_20rocsparse_direction_NS_24const_host_device_scalarIT1_EES1_PKS1_PKT2_SA_S7_PKT4_PKT5_S5_PT6_21rocsparse_index_base_b.num_vgpr, 102
	.set _ZN9rocsparseL18bsrxmvn_4x4_kernelILj128ELj32EfllDF16_DF16_fEEvT3_20rocsparse_direction_NS_24const_host_device_scalarIT1_EES1_PKS1_PKT2_SA_S7_PKT4_PKT5_S5_PT6_21rocsparse_index_base_b.num_agpr, 0
	.set _ZN9rocsparseL18bsrxmvn_4x4_kernelILj128ELj32EfllDF16_DF16_fEEvT3_20rocsparse_direction_NS_24const_host_device_scalarIT1_EES1_PKS1_PKT2_SA_S7_PKT4_PKT5_S5_PT6_21rocsparse_index_base_b.numbered_sgpr, 24
	.set _ZN9rocsparseL18bsrxmvn_4x4_kernelILj128ELj32EfllDF16_DF16_fEEvT3_20rocsparse_direction_NS_24const_host_device_scalarIT1_EES1_PKS1_PKT2_SA_S7_PKT4_PKT5_S5_PT6_21rocsparse_index_base_b.num_named_barrier, 0
	.set _ZN9rocsparseL18bsrxmvn_4x4_kernelILj128ELj32EfllDF16_DF16_fEEvT3_20rocsparse_direction_NS_24const_host_device_scalarIT1_EES1_PKS1_PKT2_SA_S7_PKT4_PKT5_S5_PT6_21rocsparse_index_base_b.private_seg_size, 0
	.set _ZN9rocsparseL18bsrxmvn_4x4_kernelILj128ELj32EfllDF16_DF16_fEEvT3_20rocsparse_direction_NS_24const_host_device_scalarIT1_EES1_PKS1_PKT2_SA_S7_PKT4_PKT5_S5_PT6_21rocsparse_index_base_b.uses_vcc, 1
	.set _ZN9rocsparseL18bsrxmvn_4x4_kernelILj128ELj32EfllDF16_DF16_fEEvT3_20rocsparse_direction_NS_24const_host_device_scalarIT1_EES1_PKS1_PKT2_SA_S7_PKT4_PKT5_S5_PT6_21rocsparse_index_base_b.uses_flat_scratch, 0
	.set _ZN9rocsparseL18bsrxmvn_4x4_kernelILj128ELj32EfllDF16_DF16_fEEvT3_20rocsparse_direction_NS_24const_host_device_scalarIT1_EES1_PKS1_PKT2_SA_S7_PKT4_PKT5_S5_PT6_21rocsparse_index_base_b.has_dyn_sized_stack, 0
	.set _ZN9rocsparseL18bsrxmvn_4x4_kernelILj128ELj32EfllDF16_DF16_fEEvT3_20rocsparse_direction_NS_24const_host_device_scalarIT1_EES1_PKS1_PKT2_SA_S7_PKT4_PKT5_S5_PT6_21rocsparse_index_base_b.has_recursion, 0
	.set _ZN9rocsparseL18bsrxmvn_4x4_kernelILj128ELj32EfllDF16_DF16_fEEvT3_20rocsparse_direction_NS_24const_host_device_scalarIT1_EES1_PKS1_PKT2_SA_S7_PKT4_PKT5_S5_PT6_21rocsparse_index_base_b.has_indirect_call, 0
	.section	.AMDGPU.csdata,"",@progbits
; Kernel info:
; codeLenInByte = 4128
; TotalNumSgprs: 30
; NumVgprs: 102
; NumAgprs: 0
; TotalNumVgprs: 102
; ScratchSize: 0
; MemoryBound: 0
; FloatMode: 240
; IeeeMode: 1
; LDSByteSize: 0 bytes/workgroup (compile time only)
; SGPRBlocks: 3
; VGPRBlocks: 12
; NumSGPRsForWavesPerEU: 30
; NumVGPRsForWavesPerEU: 102
; AccumOffset: 104
; Occupancy: 4
; WaveLimiterHint : 1
; COMPUTE_PGM_RSRC2:SCRATCH_EN: 0
; COMPUTE_PGM_RSRC2:USER_SGPR: 2
; COMPUTE_PGM_RSRC2:TRAP_HANDLER: 0
; COMPUTE_PGM_RSRC2:TGID_X_EN: 1
; COMPUTE_PGM_RSRC2:TGID_Y_EN: 0
; COMPUTE_PGM_RSRC2:TGID_Z_EN: 0
; COMPUTE_PGM_RSRC2:TIDIG_COMP_CNT: 0
; COMPUTE_PGM_RSRC3_GFX90A:ACCUM_OFFSET: 25
; COMPUTE_PGM_RSRC3_GFX90A:TG_SPLIT: 0
	.section	.text._ZN9rocsparseL18bsrxmvn_4x4_kernelILj128ELj64EfllDF16_DF16_fEEvT3_20rocsparse_direction_NS_24const_host_device_scalarIT1_EES1_PKS1_PKT2_SA_S7_PKT4_PKT5_S5_PT6_21rocsparse_index_base_b,"axG",@progbits,_ZN9rocsparseL18bsrxmvn_4x4_kernelILj128ELj64EfllDF16_DF16_fEEvT3_20rocsparse_direction_NS_24const_host_device_scalarIT1_EES1_PKS1_PKT2_SA_S7_PKT4_PKT5_S5_PT6_21rocsparse_index_base_b,comdat
	.globl	_ZN9rocsparseL18bsrxmvn_4x4_kernelILj128ELj64EfllDF16_DF16_fEEvT3_20rocsparse_direction_NS_24const_host_device_scalarIT1_EES1_PKS1_PKT2_SA_S7_PKT4_PKT5_S5_PT6_21rocsparse_index_base_b ; -- Begin function _ZN9rocsparseL18bsrxmvn_4x4_kernelILj128ELj64EfllDF16_DF16_fEEvT3_20rocsparse_direction_NS_24const_host_device_scalarIT1_EES1_PKS1_PKT2_SA_S7_PKT4_PKT5_S5_PT6_21rocsparse_index_base_b
	.p2align	8
	.type	_ZN9rocsparseL18bsrxmvn_4x4_kernelILj128ELj64EfllDF16_DF16_fEEvT3_20rocsparse_direction_NS_24const_host_device_scalarIT1_EES1_PKS1_PKT2_SA_S7_PKT4_PKT5_S5_PT6_21rocsparse_index_base_b,@function
_ZN9rocsparseL18bsrxmvn_4x4_kernelILj128ELj64EfllDF16_DF16_fEEvT3_20rocsparse_direction_NS_24const_host_device_scalarIT1_EES1_PKS1_PKT2_SA_S7_PKT4_PKT5_S5_PT6_21rocsparse_index_base_b: ; @_ZN9rocsparseL18bsrxmvn_4x4_kernelILj128ELj64EfllDF16_DF16_fEEvT3_20rocsparse_direction_NS_24const_host_device_scalarIT1_EES1_PKS1_PKT2_SA_S7_PKT4_PKT5_S5_PT6_21rocsparse_index_base_b
; %bb.0:
	s_load_dwordx2 s[4:5], s[0:1], 0x60
	s_load_dwordx4 s[12:15], s[0:1], 0x10
	s_load_dwordx2 s[16:17], s[0:1], 0x50
	s_waitcnt lgkmcnt(0)
	s_bitcmp1_b32 s5, 0
	s_cselect_b64 s[8:9], -1, 0
	s_xor_b64 s[6:7], s[8:9], -1
	s_and_b64 vcc, exec, s[8:9]
	s_cbranch_vccnz .LBB104_2
; %bb.1:
	s_load_dword s12, s[12:13], 0x0
.LBB104_2:
	s_andn2_b64 vcc, exec, s[6:7]
	s_cbranch_vccnz .LBB104_4
; %bb.3:
	s_load_dword s16, s[16:17], 0x0
.LBB104_4:
	s_waitcnt lgkmcnt(0)
	v_cmp_neq_f32_e64 s[6:7], s12, 0
	v_cmp_neq_f32_e64 s[8:9], s16, 1.0
	s_or_b64 s[6:7], s[6:7], s[8:9]
	s_andn2_b64 vcc, exec, s[6:7]
	s_cbranch_vccnz .LBB104_10
; %bb.5:
	s_load_dwordx2 s[6:7], s[0:1], 0x20
	v_lshrrev_b32_e32 v1, 6, v0
	v_lshl_or_b32 v2, s2, 1, v1
	v_mov_b32_e32 v3, 0
	s_mov_b64 s[2:3], 0
	s_waitcnt lgkmcnt(0)
	s_cmp_lg_u64 s[6:7], 0
	s_cbranch_scc0 .LBB104_11
; %bb.6:
	v_cmp_gt_i64_e32 vcc, s[14:15], v[2:3]
                                        ; implicit-def: $vgpr16_vgpr17
                                        ; implicit-def: $vgpr20_vgpr21
	s_and_saveexec_b64 s[8:9], vcc
	s_xor_b64 s[8:9], exec, s[8:9]
	s_cbranch_execz .LBB104_8
; %bb.7:
	v_lshl_add_u64 v[4:5], v[2:3], 3, s[6:7]
	global_load_dwordx2 v[4:5], v[4:5], off
	s_mov_b32 s5, 0
	s_mov_b64 s[2:3], exec
	v_mov_b64_e32 v[20:21], s[4:5]
	s_waitcnt vmcnt(0)
	v_subrev_co_u32_e32 v16, vcc, s4, v4
	s_nop 1
	v_subbrev_co_u32_e32 v17, vcc, 0, v5, vcc
.LBB104_8:
	s_or_b64 exec, exec, s[8:9]
.LBB104_9:
	s_and_saveexec_b64 s[4:5], s[2:3]
	s_cbranch_execnz .LBB104_15
.LBB104_10:
	s_endpgm
.LBB104_11:
                                        ; implicit-def: $vgpr16_vgpr17
                                        ; implicit-def: $vgpr20_vgpr21
	s_cbranch_execz .LBB104_9
; %bb.12:
	s_load_dwordx2 s[6:7], s[0:1], 0x0
	s_waitcnt lgkmcnt(0)
	v_cmp_gt_i64_e32 vcc, s[6:7], v[2:3]
	s_and_saveexec_b64 s[6:7], vcc
; %bb.13:
	s_mov_b32 s5, 0
	s_or_b64 s[2:3], s[2:3], exec
; %bb.14:
	s_or_b64 exec, exec, s[6:7]
	v_mov_b64_e32 v[20:21], s[4:5]
	v_mov_b64_e32 v[16:17], v[2:3]
	s_and_saveexec_b64 s[4:5], s[2:3]
	s_cbranch_execz .LBB104_10
.LBB104_15:
	s_load_dwordx8 s[4:11], s[0:1], 0x28
	v_lshlrev_b64 v[2:3], 3, v[16:17]
	v_and_b32_e32 v18, 63, v0
	v_mov_b32_e32 v19, 0
	s_waitcnt lgkmcnt(0)
	v_lshl_add_u64 v[4:5], s[4:5], 0, v[2:3]
	s_cmp_eq_u64 s[6:7], 0
	v_lshl_add_u64 v[6:7], s[6:7], 0, v[2:3]
	global_load_dwordx2 v[2:3], v[4:5], off
	v_lshl_add_u64 v[4:5], v[4:5], 0, 8
	s_cselect_b64 vcc, -1, 0
	v_cndmask_b32_e32 v5, v7, v5, vcc
	v_cndmask_b32_e32 v4, v6, v4, vcc
	global_load_dwordx2 v[4:5], v[4:5], off
	s_load_dword s2, s[0:1], 0x8
	s_load_dwordx2 s[4:5], s[0:1], 0x48
	s_waitcnt lgkmcnt(0)
	s_cmp_eq_u32 s2, 1
	s_waitcnt vmcnt(1)
	v_sub_co_u32_e32 v0, vcc, v2, v20
	s_nop 1
	v_subb_co_u32_e32 v1, vcc, v3, v21, vcc
	v_lshl_add_u64 v[22:23], v[0:1], 0, v[18:19]
	s_waitcnt vmcnt(0)
	v_sub_co_u32_e32 v24, vcc, v4, v20
	v_lshlrev_b64 v[0:1], 5, v[22:23]
	s_nop 0
	v_subb_co_u32_e32 v25, vcc, v5, v21, vcc
	v_lshl_add_u64 v[26:27], s[10:11], 0, v[0:1]
	v_cmp_lt_i64_e64 s[2:3], v[22:23], v[24:25]
	s_cbranch_scc1 .LBB104_27
; %bb.16:
	v_mov_b32_e32 v28, v19
	v_mov_b32_e32 v31, v19
	;; [unrolled: 1-line block ×3, first 2 shown]
	s_and_saveexec_b64 s[6:7], s[2:3]
	s_cbranch_execz .LBB104_26
; %bb.17:
	v_or_b32_e32 v0, 64, v18
	v_sub_co_u32_e32 v0, vcc, v0, v20
	v_not_b32_e32 v5, v3
	s_nop 0
	v_subb_co_u32_e32 v1, vcc, 0, v21, vcc
	v_lshl_add_u64 v[0:1], v[0:1], 0, v[2:3]
	v_cmp_gt_i64_e32 vcc, v[0:1], v[24:25]
	v_not_b32_e32 v4, v2
	v_mov_b32_e32 v28, 0
	v_cndmask_b32_e32 v1, v25, v1, vcc
	v_cndmask_b32_e32 v0, v24, v0, vcc
	v_sub_co_u32_e32 v6, vcc, v20, v18
	s_mov_b64 s[10:11], 0xc0
	s_nop 0
	v_subbrev_co_u32_e32 v7, vcc, 0, v21, vcc
	v_lshl_add_u64 v[4:5], v[6:7], 0, v[4:5]
	v_lshl_add_u64 v[4:5], v[4:5], 0, v[0:1]
	v_and_b32_e32 v0, 0xc0, v4
	v_mov_b32_e32 v1, v28
	v_mov_b32_e32 v29, v28
	v_cmp_ne_u64_e32 vcc, s[10:11], v[0:1]
	v_mov_b64_e32 v[30:31], v[28:29]
	v_mov_b64_e32 v[0:1], v[22:23]
	;; [unrolled: 1-line block ×3, first 2 shown]
	s_and_saveexec_b64 s[10:11], vcc
	s_cbranch_execz .LBB104_21
; %bb.18:
	v_lshrrev_b32_e32 v0, 6, v4
	v_add_u32_e32 v0, 1, v0
	v_and_b32_e32 v0, 3, v0
	v_sub_co_u32_e32 v8, vcc, 0, v0
	s_mov_b64 s[14:15], 0
	s_nop 0
	v_subb_co_u32_e64 v9, s[18:19], 0, 0, vcc
	v_lshl_add_u64 v[10:11], v[22:23], 3, s[8:9]
	s_mov_b64 s[18:19], 0x800
	s_mov_b64 s[20:21], 0x200
	v_mov_b64_e32 v[6:7], v[26:27]
	v_mov_b64_e32 v[0:1], v[22:23]
	v_mov_b32_e32 v29, v28
	v_mov_b32_e32 v30, v28
	;; [unrolled: 1-line block ×3, first 2 shown]
.LBB104_19:                             ; =>This Inner Loop Header: Depth=1
	global_load_dwordx2 v[36:37], v[10:11], off
	global_load_dwordx4 v[12:15], v[6:7], off
	global_load_dwordx4 v[32:35], v[6:7], off offset:16
	v_lshl_add_u64 v[8:9], v[8:9], 0, 1
	v_lshl_add_u64 v[6:7], v[6:7], 0, s[18:19]
	;; [unrolled: 1-line block ×4, first 2 shown]
	s_waitcnt vmcnt(2)
	v_sub_co_u32_e32 v36, vcc, v36, v20
	s_nop 1
	v_subb_co_u32_e32 v37, vcc, v37, v21, vcc
	v_lshl_add_u64 v[36:37], v[36:37], 3, s[4:5]
	global_load_dwordx2 v[36:37], v[36:37], off
	s_waitcnt vmcnt(2)
	v_cvt_f32_f16_e32 v41, v14
	v_cvt_f32_f16_e32 v40, v12
	v_cvt_f32_f16_sdwa v43, v14 dst_sel:DWORD dst_unused:UNUSED_PAD src0_sel:WORD_1
	v_cvt_f32_f16_e32 v45, v15
	v_cvt_f32_f16_sdwa v39, v15 dst_sel:DWORD dst_unused:UNUSED_PAD src0_sel:WORD_1
	s_waitcnt vmcnt(1)
	v_cvt_f32_f16_e32 v15, v34
	v_cvt_f32_f16_e32 v14, v32
	v_cvt_f32_f16_sdwa v46, v32 dst_sel:DWORD dst_unused:UNUSED_PAD src0_sel:WORD_1
	v_cvt_f32_f16_sdwa v42, v12 dst_sel:DWORD dst_unused:UNUSED_PAD src0_sel:WORD_1
	;; [unrolled: 1-line block ×3, first 2 shown]
	v_cvt_f32_f16_e32 v44, v13
	v_cvt_f32_f16_e32 v49, v35
	;; [unrolled: 1-line block ×3, first 2 shown]
	v_cvt_f32_f16_sdwa v38, v13 dst_sel:DWORD dst_unused:UNUSED_PAD src0_sel:WORD_1
	v_cvt_f32_f16_sdwa v12, v33 dst_sel:DWORD dst_unused:UNUSED_PAD src0_sel:WORD_1
	v_cvt_f32_f16_sdwa v13, v35 dst_sel:DWORD dst_unused:UNUSED_PAD src0_sel:WORD_1
	v_cmp_eq_u64_e32 vcc, 0, v[8:9]
	s_or_b64 s[14:15], vcc, s[14:15]
	s_waitcnt vmcnt(0)
	v_cvt_f32_f16_e32 v32, v36
	v_cvt_f32_f16_sdwa v34, v36 dst_sel:DWORD dst_unused:UNUSED_PAD src0_sel:WORD_1
	v_cvt_f32_f16_e32 v36, v37
	v_cvt_f32_f16_sdwa v50, v37 dst_sel:DWORD dst_unused:UNUSED_PAD src0_sel:WORD_1
	v_pk_fma_f32 v[30:31], v[40:41], v[32:33], v[30:31] op_sel_hi:[1,0,1]
	v_pk_fma_f32 v[14:15], v[14:15], v[32:33], v[28:29] op_sel_hi:[1,0,1]
	;; [unrolled: 1-line block ×8, first 2 shown]
	s_andn2_b64 exec, exec, s[14:15]
	s_cbranch_execnz .LBB104_19
; %bb.20:
	s_or_b64 exec, exec, s[14:15]
.LBB104_21:
	s_or_b64 exec, exec, s[10:11]
	s_mov_b64 s[10:11], 0xbf
	v_cmp_lt_u64_e32 vcc, s[10:11], v[4:5]
	s_and_saveexec_b64 s[10:11], vcc
	s_cbranch_execz .LBB104_25
; %bb.22:
	s_mov_b64 s[14:15], 0x1000
	v_lshl_add_u64 v[4:5], v[6:7], 0, s[14:15]
	v_lshl_add_u64 v[6:7], v[0:1], 3, s[8:9]
	s_mov_b64 s[14:15], 0x400
	v_lshl_add_u64 v[6:7], v[6:7], 0, s[14:15]
	s_mov_b64 s[14:15], 0
	s_mov_b64 s[18:19], 0x100
	;; [unrolled: 1-line block ×4, first 2 shown]
.LBB104_23:                             ; =>This Inner Loop Header: Depth=1
	global_load_dwordx2 v[56:57], v[6:7], off offset:-1024
	global_load_dwordx4 v[8:11], v[4:5], off offset:-4096
	global_load_dwordx4 v[12:15], v[4:5], off offset:-4080
	global_load_dwordx2 v[58:59], v[6:7], off offset:-512
	global_load_dwordx2 v[60:61], v[6:7], off
	global_load_dwordx2 v[62:63], v[6:7], off offset:512
	global_load_dwordx4 v[32:35], v[4:5], off offset:2048
	global_load_dwordx4 v[36:39], v[4:5], off offset:-2048
	global_load_dwordx4 v[40:43], v[4:5], off offset:2064
	global_load_dwordx4 v[44:47], v[4:5], off offset:-2032
	global_load_dwordx4 v[48:51], v[4:5], off
	global_load_dwordx4 v[52:55], v[4:5], off offset:16
	v_lshl_add_u64 v[0:1], v[0:1], 0, s[18:19]
	v_cmp_ge_i64_e32 vcc, v[0:1], v[24:25]
	s_or_b64 s[14:15], vcc, s[14:15]
	v_lshl_add_u64 v[4:5], v[4:5], 0, s[20:21]
	v_lshl_add_u64 v[6:7], v[6:7], 0, s[22:23]
	s_waitcnt vmcnt(11)
	v_sub_co_u32_e32 v56, vcc, v56, v20
	s_nop 1
	v_subb_co_u32_e32 v57, vcc, v57, v21, vcc
	s_waitcnt vmcnt(10)
	v_cvt_f32_f16_e32 v67, v10
	v_cvt_f32_f16_sdwa v69, v10 dst_sel:DWORD dst_unused:UNUSED_PAD src0_sel:WORD_1
	s_waitcnt vmcnt(9)
	v_cvt_f32_f16_e32 v10, v12
	v_cvt_f32_f16_sdwa v72, v12 dst_sel:DWORD dst_unused:UNUSED_PAD src0_sel:WORD_1
	s_waitcnt vmcnt(8)
	v_sub_co_u32_e32 v12, vcc, v58, v20
	v_cvt_f32_f16_e32 v66, v8
	v_cvt_f32_f16_sdwa v68, v8 dst_sel:DWORD dst_unused:UNUSED_PAD src0_sel:WORD_1
	v_cvt_f32_f16_sdwa v8, v13 dst_sel:DWORD dst_unused:UNUSED_PAD src0_sel:WORD_1
	v_cvt_f32_f16_e32 v74, v13
	v_subb_co_u32_e32 v13, vcc, v59, v21, vcc
	v_cvt_f32_f16_e32 v71, v11
	v_cvt_f32_f16_sdwa v65, v11 dst_sel:DWORD dst_unused:UNUSED_PAD src0_sel:WORD_1
	v_cvt_f32_f16_e32 v11, v14
	v_cvt_f32_f16_sdwa v73, v14 dst_sel:DWORD dst_unused:UNUSED_PAD src0_sel:WORD_1
	s_waitcnt vmcnt(7)
	v_sub_co_u32_e32 v14, vcc, v60, v20
	v_cvt_f32_f16_sdwa v64, v9 dst_sel:DWORD dst_unused:UNUSED_PAD src0_sel:WORD_1
	v_cvt_f32_f16_e32 v70, v9
	v_cvt_f32_f16_e32 v75, v15
	v_cvt_f32_f16_sdwa v9, v15 dst_sel:DWORD dst_unused:UNUSED_PAD src0_sel:WORD_1
	v_subb_co_u32_e32 v15, vcc, v61, v21, vcc
	s_waitcnt vmcnt(6)
	v_sub_co_u32_e32 v58, vcc, v62, v20
	s_waitcnt vmcnt(4)
	v_cvt_f32_f16_e32 v62, v36
	v_subb_co_u32_e32 v59, vcc, v63, v21, vcc
	v_cvt_f32_f16_e32 v63, v38
	v_cvt_f32_f16_sdwa v77, v38 dst_sel:DWORD dst_unused:UNUSED_PAD src0_sel:WORD_1
	v_cvt_f32_f16_sdwa v76, v36 dst_sel:DWORD dst_unused:UNUSED_PAD src0_sel:WORD_1
	v_cvt_f32_f16_e32 v78, v37
	v_cvt_f32_f16_sdwa v38, v37 dst_sel:DWORD dst_unused:UNUSED_PAD src0_sel:WORD_1
	v_lshl_add_u64 v[36:37], v[56:57], 3, s[4:5]
	v_lshl_add_u64 v[12:13], v[12:13], 3, s[4:5]
	v_lshl_add_u64 v[14:15], v[14:15], 3, s[4:5]
	v_lshl_add_u64 v[56:57], v[58:59], 3, s[4:5]
	global_load_dwordx2 v[58:59], v[36:37], off
	global_load_dwordx2 v[80:81], v[12:13], off
	;; [unrolled: 1-line block ×4, first 2 shown]
	s_waitcnt vmcnt(6)
	v_cvt_f32_f16_e32 v86, v44
	v_cvt_f32_f16_sdwa v88, v44 dst_sel:DWORD dst_unused:UNUSED_PAD src0_sel:WORD_1
	s_waitcnt vmcnt(4)
	v_cvt_f32_f16_e32 v44, v52
	v_cvt_f32_f16_sdwa v92, v52 dst_sel:DWORD dst_unused:UNUSED_PAD src0_sel:WORD_1
	v_cvt_f32_f16_e32 v52, v40
	v_cvt_f32_f16_sdwa v96, v40 dst_sel:DWORD dst_unused:UNUSED_PAD src0_sel:WORD_1
	;; [unrolled: 2-line block ×3, first 2 shown]
	v_cvt_f32_f16_e32 v79, v39
	v_cvt_f32_f16_e32 v91, v47
	;; [unrolled: 1-line block ×3, first 2 shown]
	v_cvt_f32_f16_sdwa v39, v39 dst_sel:DWORD dst_unused:UNUSED_PAD src0_sel:WORD_1
	v_cvt_f32_f16_sdwa v47, v47 dst_sel:DWORD dst_unused:UNUSED_PAD src0_sel:WORD_1
	;; [unrolled: 1-line block ×3, first 2 shown]
	v_cvt_f32_f16_e32 v13, v50
	v_cvt_f32_f16_e32 v12, v48
	;; [unrolled: 1-line block ×3, first 2 shown]
	v_cvt_f32_f16_sdwa v15, v50 dst_sel:DWORD dst_unused:UNUSED_PAD src0_sel:WORD_1
	v_cvt_f32_f16_sdwa v14, v48 dst_sel:DWORD dst_unused:UNUSED_PAD src0_sel:WORD_1
	;; [unrolled: 1-line block ×3, first 2 shown]
	v_cvt_f32_f16_e32 v37, v51
	v_cvt_f32_f16_e32 v36, v49
	;; [unrolled: 1-line block ×4, first 2 shown]
	v_cvt_f32_f16_sdwa v51, v51 dst_sel:DWORD dst_unused:UNUSED_PAD src0_sel:WORD_1
	v_cvt_f32_f16_sdwa v50, v49 dst_sel:DWORD dst_unused:UNUSED_PAD src0_sel:WORD_1
	;; [unrolled: 1-line block ×4, first 2 shown]
	v_cvt_f32_f16_e32 v49, v34
	v_cvt_f32_f16_e32 v48, v32
	;; [unrolled: 1-line block ×3, first 2 shown]
	v_cvt_f32_f16_sdwa v57, v34 dst_sel:DWORD dst_unused:UNUSED_PAD src0_sel:WORD_1
	v_cvt_f32_f16_sdwa v56, v32 dst_sel:DWORD dst_unused:UNUSED_PAD src0_sel:WORD_1
	;; [unrolled: 1-line block ×3, first 2 shown]
	v_cvt_f32_f16_e32 v60, v33
	v_cvt_f32_f16_e32 v61, v35
	v_cvt_f32_f16_sdwa v34, v33 dst_sel:DWORD dst_unused:UNUSED_PAD src0_sel:WORD_1
	v_cvt_f32_f16_e32 v32, v41
	v_cvt_f32_f16_e32 v33, v43
	v_cvt_f32_f16_sdwa v35, v35 dst_sel:DWORD dst_unused:UNUSED_PAD src0_sel:WORD_1
	v_cvt_f32_f16_sdwa v43, v43 dst_sel:DWORD dst_unused:UNUSED_PAD src0_sel:WORD_1
	;; [unrolled: 1-line block ×3, first 2 shown]
	s_waitcnt vmcnt(3)
	v_cvt_f32_f16_e32 v40, v58
	v_cvt_f32_f16_sdwa v58, v58 dst_sel:DWORD dst_unused:UNUSED_PAD src0_sel:WORD_1
	v_cvt_f32_f16_e32 v98, v59
	v_cvt_f32_f16_sdwa v100, v59 dst_sel:DWORD dst_unused:UNUSED_PAD src0_sel:WORD_1
	v_pk_fma_f32 v[30:31], v[66:67], v[40:41], v[30:31] op_sel_hi:[1,0,1]
	s_waitcnt vmcnt(2)
	v_cvt_f32_f16_e32 v66, v80
	v_pk_fma_f32 v[10:11], v[10:11], v[40:41], v[28:29] op_sel_hi:[1,0,1]
	v_cvt_f32_f16_sdwa v28, v80 dst_sel:DWORD dst_unused:UNUSED_PAD src0_sel:WORD_1
	v_pk_fma_f32 v[30:31], v[68:69], v[58:59], v[30:31] op_sel_hi:[1,0,1]
	v_pk_fma_f32 v[10:11], v[72:73], v[58:59], v[10:11] op_sel_hi:[1,0,1]
	v_cvt_f32_f16_e32 v40, v81
	v_pk_fma_f32 v[30:31], v[70:71], v[98:99], v[30:31] op_sel_hi:[1,0,1]
	v_pk_fma_f32 v[10:11], v[74:75], v[98:99], v[10:11] op_sel_hi:[1,0,1]
	v_cvt_f32_f16_sdwa v80, v81 dst_sel:DWORD dst_unused:UNUSED_PAD src0_sel:WORD_1
	v_pk_fma_f32 v[30:31], v[64:65], v[100:101], v[30:31] op_sel_hi:[1,0,1]
	v_pk_fma_f32 v[8:9], v[8:9], v[100:101], v[10:11] op_sel_hi:[1,0,1]
	s_waitcnt vmcnt(1)
	v_cvt_f32_f16_e32 v68, v82
	v_pk_fma_f32 v[10:11], v[62:63], v[66:67], v[30:31] op_sel_hi:[1,0,1]
	v_pk_fma_f32 v[8:9], v[86:87], v[66:67], v[8:9] op_sel_hi:[1,0,1]
	v_cvt_f32_f16_sdwa v58, v82 dst_sel:DWORD dst_unused:UNUSED_PAD src0_sel:WORD_1
	v_pk_fma_f32 v[10:11], v[76:77], v[28:29], v[10:11] op_sel_hi:[1,0,1]
	v_pk_fma_f32 v[8:9], v[88:89], v[28:29], v[8:9] op_sel_hi:[1,0,1]
	v_cvt_f32_f16_e32 v72, v83
	v_pk_fma_f32 v[10:11], v[78:79], v[40:41], v[10:11] op_sel_hi:[1,0,1]
	v_pk_fma_f32 v[8:9], v[90:91], v[40:41], v[8:9] op_sel_hi:[1,0,1]
	v_cvt_f32_f16_sdwa v82, v83 dst_sel:DWORD dst_unused:UNUSED_PAD src0_sel:WORD_1
	v_pk_fma_f32 v[10:11], v[38:39], v[80:81], v[10:11] op_sel_hi:[1,0,1]
	v_pk_fma_f32 v[8:9], v[46:47], v[80:81], v[8:9] op_sel_hi:[1,0,1]
	s_waitcnt vmcnt(0)
	v_cvt_f32_f16_e32 v70, v84
	v_pk_fma_f32 v[10:11], v[12:13], v[68:69], v[10:11] op_sel_hi:[1,0,1]
	v_pk_fma_f32 v[8:9], v[44:45], v[68:69], v[8:9] op_sel_hi:[1,0,1]
	v_cvt_f32_f16_sdwa v74, v84 dst_sel:DWORD dst_unused:UNUSED_PAD src0_sel:WORD_1
	v_pk_fma_f32 v[10:11], v[14:15], v[58:59], v[10:11] op_sel_hi:[1,0,1]
	v_pk_fma_f32 v[8:9], v[92:93], v[58:59], v[8:9] op_sel_hi:[1,0,1]
	v_cvt_f32_f16_e32 v84, v85
	v_pk_fma_f32 v[10:11], v[36:37], v[72:73], v[10:11] op_sel_hi:[1,0,1]
	v_pk_fma_f32 v[8:9], v[94:95], v[72:73], v[8:9] op_sel_hi:[1,0,1]
	v_cvt_f32_f16_sdwa v98, v85 dst_sel:DWORD dst_unused:UNUSED_PAD src0_sel:WORD_1
	v_pk_fma_f32 v[10:11], v[50:51], v[82:83], v[10:11] op_sel_hi:[1,0,1]
	v_pk_fma_f32 v[8:9], v[54:55], v[82:83], v[8:9] op_sel_hi:[1,0,1]
	;; [unrolled: 1-line block ×10, first 2 shown]
	s_andn2_b64 exec, exec, s[14:15]
	s_cbranch_execnz .LBB104_23
; %bb.24:
	s_or_b64 exec, exec, s[14:15]
.LBB104_25:
	s_or_b64 exec, exec, s[10:11]
	v_mov_b32_e32 v19, v29
.LBB104_26:
	s_or_b64 exec, exec, s[6:7]
	v_mov_b32_e32 v29, v19
	s_cbranch_execz .LBB104_28
	s_branch .LBB104_39
.LBB104_27:
                                        ; implicit-def: $vgpr29
                                        ; implicit-def: $vgpr31
.LBB104_28:
	v_mov_b32_e32 v29, 0
	v_mov_b32_e32 v28, 0
	;; [unrolled: 1-line block ×4, first 2 shown]
	s_and_saveexec_b64 s[6:7], s[2:3]
	s_cbranch_execz .LBB104_38
; %bb.29:
	v_or_b32_e32 v0, 64, v18
	v_sub_co_u32_e32 v0, vcc, v0, v20
	v_mov_b32_e32 v28, 0
	s_nop 0
	v_subb_co_u32_e32 v1, vcc, 0, v21, vcc
	v_lshl_add_u64 v[0:1], v[0:1], 0, v[2:3]
	v_cmp_gt_i64_e32 vcc, v[0:1], v[24:25]
	v_not_b32_e32 v3, v3
	v_not_b32_e32 v2, v2
	v_cndmask_b32_e32 v1, v25, v1, vcc
	v_cndmask_b32_e32 v0, v24, v0, vcc
	v_sub_co_u32_e32 v4, vcc, v20, v18
	s_mov_b64 s[2:3], 0xc0
	s_nop 0
	v_subbrev_co_u32_e32 v5, vcc, 0, v21, vcc
	v_lshl_add_u64 v[2:3], v[4:5], 0, v[2:3]
	v_lshl_add_u64 v[0:1], v[2:3], 0, v[0:1]
	v_and_b32_e32 v2, 0xc0, v0
	v_mov_b32_e32 v3, v28
	v_mov_b32_e32 v29, v28
	v_cmp_ne_u64_e32 vcc, s[2:3], v[2:3]
	v_mov_b64_e32 v[30:31], v[28:29]
	s_and_saveexec_b64 s[2:3], vcc
	s_cbranch_execz .LBB104_33
; %bb.30:
	v_lshrrev_b32_e32 v2, 6, v0
	v_add_u32_e32 v2, 1, v2
	v_and_b32_e32 v4, 3, v2
	v_sub_co_u32_e32 v4, vcc, 0, v4
	v_lshl_add_u64 v[2:3], v[22:23], 3, s[8:9]
	s_nop 0
	v_subb_co_u32_e64 v5, s[14:15], 0, 0, vcc
	s_mov_b64 s[10:11], 0
	s_mov_b64 s[14:15], 0x800
	;; [unrolled: 1-line block ×3, first 2 shown]
	v_mov_b32_e32 v29, v28
	v_mov_b32_e32 v30, v28
	;; [unrolled: 1-line block ×3, first 2 shown]
.LBB104_31:                             ; =>This Inner Loop Header: Depth=1
	global_load_dwordx2 v[10:11], v[2:3], off
	global_load_dwordx4 v[6:9], v[26:27], off
	v_lshl_add_u64 v[4:5], v[4:5], 0, 1
	v_lshl_add_u64 v[22:23], v[22:23], 0, 64
	;; [unrolled: 1-line block ×3, first 2 shown]
	s_waitcnt vmcnt(1)
	v_sub_co_u32_e32 v10, vcc, v10, v20
	s_nop 1
	v_subb_co_u32_e32 v11, vcc, v11, v21, vcc
	v_lshl_add_u64 v[14:15], v[10:11], 3, s[4:5]
	global_load_dwordx2 v[32:33], v[14:15], off
	global_load_dwordx4 v[10:13], v[26:27], off offset:16
	s_waitcnt vmcnt(2)
	v_cvt_f32_f16_sdwa v15, v6 dst_sel:DWORD dst_unused:UNUSED_PAD src0_sel:WORD_1
	v_cvt_f32_f16_e32 v14, v6
	v_cvt_f32_f16_sdwa v35, v8 dst_sel:DWORD dst_unused:UNUSED_PAD src0_sel:WORD_1
	v_cvt_f32_f16_e32 v34, v8
	;; [unrolled: 2-line block ×4, first 2 shown]
	v_cmp_eq_u64_e32 vcc, 0, v[4:5]
	v_lshl_add_u64 v[26:27], v[26:27], 0, s[14:15]
	s_or_b64 s[10:11], vcc, s[10:11]
	s_waitcnt vmcnt(1)
	v_cvt_f32_f16_e32 v42, v33
	s_waitcnt vmcnt(0)
	v_cvt_f32_f16_sdwa v37, v10 dst_sel:DWORD dst_unused:UNUSED_PAD src0_sel:WORD_1
	v_cvt_f32_f16_e32 v36, v10
	v_cvt_f32_f16_sdwa v9, v11 dst_sel:DWORD dst_unused:UNUSED_PAD src0_sel:WORD_1
	v_cvt_f32_f16_e32 v8, v11
	;; [unrolled: 2-line block ×3, first 2 shown]
	v_cvt_f32_f16_e32 v12, v32
	v_cvt_f32_f16_sdwa v32, v32 dst_sel:DWORD dst_unused:UNUSED_PAD src0_sel:WORD_1
	v_cvt_f32_f16_sdwa v41, v13 dst_sel:DWORD dst_unused:UNUSED_PAD src0_sel:WORD_1
	v_cvt_f32_f16_e32 v40, v13
	v_cvt_f32_f16_sdwa v44, v33 dst_sel:DWORD dst_unused:UNUSED_PAD src0_sel:WORD_1
	v_pk_fma_f32 v[14:15], v[14:15], v[12:13], v[30:31] op_sel_hi:[1,0,1]
	v_pk_fma_f32 v[12:13], v[38:39], v[12:13], v[28:29] op_sel_hi:[1,0,1]
	;; [unrolled: 1-line block ×8, first 2 shown]
	s_andn2_b64 exec, exec, s[10:11]
	s_cbranch_execnz .LBB104_31
; %bb.32:
	s_or_b64 exec, exec, s[10:11]
.LBB104_33:
	s_or_b64 exec, exec, s[2:3]
	s_mov_b64 s[2:3], 0xbf
	v_cmp_lt_u64_e32 vcc, s[2:3], v[0:1]
	s_and_saveexec_b64 s[2:3], vcc
	s_cbranch_execz .LBB104_37
; %bb.34:
	v_lshl_add_u64 v[0:1], v[22:23], 3, s[8:9]
	s_mov_b64 s[8:9], 0x400
	v_lshl_add_u64 v[32:33], v[0:1], 0, s[8:9]
	s_mov_b64 s[8:9], 0
	s_mov_b64 s[10:11], 0x1000
	s_movk_i32 s13, 0x1000
	s_mov_b64 s[14:15], 0x100
	s_mov_b64 s[18:19], 0x800
	;; [unrolled: 1-line block ×3, first 2 shown]
.LBB104_35:                             ; =>This Inner Loop Header: Depth=1
	global_load_dwordx4 v[0:3], v[26:27], off
	global_load_dwordx4 v[4:7], v[26:27], off offset:16
	global_load_dwordx4 v[8:11], v[26:27], off offset:2048
	;; [unrolled: 1-line block ×3, first 2 shown]
	global_load_dwordx2 v[50:51], v[32:33], off offset:-1024
	global_load_dwordx2 v[52:53], v[32:33], off offset:-512
	global_load_dwordx2 v[54:55], v[32:33], off
	global_load_dwordx2 v[56:57], v[32:33], off offset:512
	v_add_co_u32_e32 v60, vcc, s13, v26
	v_lshl_add_u64 v[22:23], v[22:23], 0, s[14:15]
	s_nop 0
	v_addc_co_u32_e32 v61, vcc, 0, v27, vcc
	v_cmp_ge_i64_e32 vcc, v[22:23], v[24:25]
	s_or_b64 s[8:9], vcc, s[8:9]
	v_lshl_add_u64 v[58:59], v[26:27], 0, s[10:11]
	global_load_dwordx4 v[34:37], v[60:61], off
	global_load_dwordx4 v[38:41], v[58:59], off offset:2064
	global_load_dwordx4 v[42:45], v[58:59], off offset:16
	;; [unrolled: 1-line block ×3, first 2 shown]
	v_lshl_add_u64 v[32:33], v[32:33], 0, s[18:19]
	v_lshl_add_u64 v[26:27], v[26:27], 0, s[20:21]
	s_waitcnt vmcnt(11)
	v_cvt_f32_f16_sdwa v59, v0 dst_sel:DWORD dst_unused:UNUSED_PAD src0_sel:WORD_1
	v_cvt_f32_f16_e32 v58, v0
	v_cvt_f32_f16_sdwa v65, v1 dst_sel:DWORD dst_unused:UNUSED_PAD src0_sel:WORD_1
	v_cvt_f32_f16_e32 v64, v1
	s_waitcnt vmcnt(7)
	v_sub_co_u32_e32 v50, vcc, v50, v20
	v_cvt_f32_f16_sdwa v61, v2 dst_sel:DWORD dst_unused:UNUSED_PAD src0_sel:WORD_1
	s_nop 0
	v_subb_co_u32_e32 v51, vcc, v51, v21, vcc
	s_waitcnt vmcnt(6)
	v_sub_co_u32_e32 v52, vcc, v52, v20
	v_lshl_add_u64 v[50:51], v[50:51], 3, s[4:5]
	s_nop 0
	v_subb_co_u32_e32 v53, vcc, v53, v21, vcc
	s_waitcnt vmcnt(5)
	v_sub_co_u32_e32 v54, vcc, v54, v20
	v_lshl_add_u64 v[52:53], v[52:53], 3, s[4:5]
	;; [unrolled: 5-line block ×3, first 2 shown]
	s_nop 0
	v_subb_co_u32_e32 v57, vcc, v57, v21, vcc
	v_lshl_add_u64 v[56:57], v[56:57], 3, s[4:5]
	global_load_dwordx2 v[76:77], v[50:51], off
	global_load_dwordx2 v[78:79], v[52:53], off
	;; [unrolled: 1-line block ×4, first 2 shown]
	v_cvt_f32_f16_e32 v60, v2
	v_cvt_f32_f16_sdwa v1, v3 dst_sel:DWORD dst_unused:UNUSED_PAD src0_sel:WORD_1
	v_cvt_f32_f16_e32 v0, v3
	v_cvt_f32_f16_sdwa v63, v4 dst_sel:DWORD dst_unused:UNUSED_PAD src0_sel:WORD_1
	;; [unrolled: 2-line block ×13, first 2 shown]
	v_cvt_f32_f16_e32 v12, v15
	s_waitcnt vmcnt(7)
	v_cvt_f32_f16_e32 v14, v34
	v_cvt_f32_f16_sdwa v15, v34 dst_sel:DWORD dst_unused:UNUSED_PAD src0_sel:WORD_1
	v_cvt_f32_f16_e32 v34, v35
	v_cvt_f32_f16_sdwa v35, v35 dst_sel:DWORD dst_unused:UNUSED_PAD src0_sel:WORD_1
	v_cvt_f32_f16_e32 v50, v36
	v_cvt_f32_f16_sdwa v51, v36 dst_sel:DWORD dst_unused:UNUSED_PAD src0_sel:WORD_1
	v_cvt_f32_f16_e32 v36, v37
	v_cvt_f32_f16_sdwa v37, v37 dst_sel:DWORD dst_unused:UNUSED_PAD src0_sel:WORD_1
	s_waitcnt vmcnt(5)
	v_cvt_f32_f16_e32 v52, v42
	v_cvt_f32_f16_sdwa v53, v42 dst_sel:DWORD dst_unused:UNUSED_PAD src0_sel:WORD_1
	v_cvt_f32_f16_e32 v42, v43
	v_cvt_f32_f16_sdwa v43, v43 dst_sel:DWORD dst_unused:UNUSED_PAD src0_sel:WORD_1
	v_cvt_f32_f16_e32 v54, v44
	v_cvt_f32_f16_sdwa v55, v44 dst_sel:DWORD dst_unused:UNUSED_PAD src0_sel:WORD_1
	v_cvt_f32_f16_e32 v44, v45
	v_cvt_f32_f16_sdwa v45, v45 dst_sel:DWORD dst_unused:UNUSED_PAD src0_sel:WORD_1
	s_waitcnt vmcnt(4)
	v_cvt_f32_f16_e32 v56, v46
	v_cvt_f32_f16_sdwa v57, v46 dst_sel:DWORD dst_unused:UNUSED_PAD src0_sel:WORD_1
	v_cvt_f32_f16_e32 v46, v47
	v_cvt_f32_f16_sdwa v47, v47 dst_sel:DWORD dst_unused:UNUSED_PAD src0_sel:WORD_1
	v_cvt_f32_f16_e32 v84, v48
	v_cvt_f32_f16_sdwa v85, v48 dst_sel:DWORD dst_unused:UNUSED_PAD src0_sel:WORD_1
	v_cvt_f32_f16_e32 v48, v49
	v_cvt_f32_f16_sdwa v49, v49 dst_sel:DWORD dst_unused:UNUSED_PAD src0_sel:WORD_1
	v_cvt_f32_f16_e32 v86, v38
	v_cvt_f32_f16_sdwa v87, v38 dst_sel:DWORD dst_unused:UNUSED_PAD src0_sel:WORD_1
	v_cvt_f32_f16_e32 v38, v39
	v_cvt_f32_f16_sdwa v39, v39 dst_sel:DWORD dst_unused:UNUSED_PAD src0_sel:WORD_1
	;; [unrolled: 2-line block ×4, first 2 shown]
	s_waitcnt vmcnt(3)
	v_cvt_f32_f16_e32 v90, v76
	v_cvt_f32_f16_sdwa v76, v76 dst_sel:DWORD dst_unused:UNUSED_PAD src0_sel:WORD_1
	v_cvt_f32_f16_e32 v92, v77
	v_cvt_f32_f16_sdwa v94, v77 dst_sel:DWORD dst_unused:UNUSED_PAD src0_sel:WORD_1
	v_pk_fma_f32 v[30:31], v[58:59], v[90:91], v[30:31] op_sel_hi:[1,0,1]
	s_waitcnt vmcnt(2)
	v_cvt_f32_f16_e32 v58, v78
	v_pk_fma_f32 v[28:29], v[64:65], v[90:91], v[28:29] op_sel_hi:[1,0,1]
	v_cvt_f32_f16_sdwa v64, v78 dst_sel:DWORD dst_unused:UNUSED_PAD src0_sel:WORD_1
	v_pk_fma_f32 v[30:31], v[60:61], v[76:77], v[30:31] op_sel_hi:[1,0,1]
	v_pk_fma_f32 v[0:1], v[0:1], v[76:77], v[28:29] op_sel_hi:[1,0,1]
	v_cvt_f32_f16_e32 v78, v79
	v_pk_fma_f32 v[30:31], v[62:63], v[92:93], v[30:31] op_sel_hi:[1,0,1]
	v_pk_fma_f32 v[0:1], v[2:3], v[92:93], v[0:1] op_sel_hi:[1,0,1]
	v_cvt_f32_f16_sdwa v90, v79 dst_sel:DWORD dst_unused:UNUSED_PAD src0_sel:WORD_1
	v_pk_fma_f32 v[4:5], v[4:5], v[94:95], v[30:31] op_sel_hi:[1,0,1]
	v_pk_fma_f32 v[0:1], v[66:67], v[94:95], v[0:1] op_sel_hi:[1,0,1]
	s_waitcnt vmcnt(1)
	v_cvt_f32_f16_e32 v60, v80
	v_pk_fma_f32 v[4:5], v[6:7], v[58:59], v[4:5] op_sel_hi:[1,0,1]
	v_pk_fma_f32 v[0:1], v[74:75], v[58:59], v[0:1] op_sel_hi:[1,0,1]
	v_cvt_f32_f16_sdwa v28, v80 dst_sel:DWORD dst_unused:UNUSED_PAD src0_sel:WORD_1
	v_pk_fma_f32 v[4:5], v[68:69], v[64:65], v[4:5] op_sel_hi:[1,0,1]
	v_pk_fma_f32 v[0:1], v[8:9], v[64:65], v[0:1] op_sel_hi:[1,0,1]
	v_cvt_f32_f16_e32 v76, v81
	v_pk_fma_f32 v[4:5], v[70:71], v[78:79], v[4:5] op_sel_hi:[1,0,1]
	v_pk_fma_f32 v[0:1], v[10:11], v[78:79], v[0:1] op_sel_hi:[1,0,1]
	v_cvt_f32_f16_sdwa v80, v81 dst_sel:DWORD dst_unused:UNUSED_PAD src0_sel:WORD_1
	v_pk_fma_f32 v[4:5], v[72:73], v[90:91], v[4:5] op_sel_hi:[1,0,1]
	v_pk_fma_f32 v[0:1], v[12:13], v[90:91], v[0:1] op_sel_hi:[1,0,1]
	s_waitcnt vmcnt(0)
	v_cvt_f32_f16_e32 v62, v82
	v_pk_fma_f32 v[4:5], v[14:15], v[60:61], v[4:5] op_sel_hi:[1,0,1]
	v_pk_fma_f32 v[0:1], v[34:35], v[60:61], v[0:1] op_sel_hi:[1,0,1]
	v_cvt_f32_f16_sdwa v2, v82 dst_sel:DWORD dst_unused:UNUSED_PAD src0_sel:WORD_1
	v_pk_fma_f32 v[4:5], v[50:51], v[28:29], v[4:5] op_sel_hi:[1,0,1]
	v_pk_fma_f32 v[0:1], v[36:37], v[28:29], v[0:1] op_sel_hi:[1,0,1]
	v_cvt_f32_f16_e32 v82, v83
	v_pk_fma_f32 v[4:5], v[52:53], v[76:77], v[4:5] op_sel_hi:[1,0,1]
	v_pk_fma_f32 v[0:1], v[42:43], v[76:77], v[0:1] op_sel_hi:[1,0,1]
	v_cvt_f32_f16_sdwa v92, v83 dst_sel:DWORD dst_unused:UNUSED_PAD src0_sel:WORD_1
	v_pk_fma_f32 v[4:5], v[54:55], v[80:81], v[4:5] op_sel_hi:[1,0,1]
	v_pk_fma_f32 v[0:1], v[44:45], v[80:81], v[0:1] op_sel_hi:[1,0,1]
	;; [unrolled: 1-line block ×10, first 2 shown]
	s_andn2_b64 exec, exec, s[8:9]
	s_cbranch_execnz .LBB104_35
; %bb.36:
	s_or_b64 exec, exec, s[8:9]
.LBB104_37:
	s_or_b64 exec, exec, s[2:3]
.LBB104_38:
	s_or_b64 exec, exec, s[6:7]
.LBB104_39:
	v_mov_b32_dpp v0, v30 row_shr:1 row_mask:0xf bank_mask:0xf
	v_mov_b32_dpp v1, v31 row_shr:1 row_mask:0xf bank_mask:0xf
	;; [unrolled: 1-line block ×4, first 2 shown]
	v_pk_add_f32 v[0:1], v[30:31], v[0:1]
	v_pk_add_f32 v[4:5], v[28:29], v[4:5]
	v_cmp_eq_u32_e32 vcc, 63, v18
	v_mov_b32_dpp v2, v0 row_shr:2 row_mask:0xf bank_mask:0xf
	v_mov_b32_dpp v3, v1 row_shr:2 row_mask:0xf bank_mask:0xf
	v_mov_b32_dpp v6, v4 row_shr:2 row_mask:0xf bank_mask:0xf
	v_mov_b32_dpp v7, v5 row_shr:2 row_mask:0xf bank_mask:0xf
	v_pk_add_f32 v[0:1], v[0:1], v[2:3]
	v_pk_add_f32 v[4:5], v[4:5], v[6:7]
	s_nop 0
	v_mov_b32_dpp v2, v0 row_shr:4 row_mask:0xf bank_mask:0xe
	v_mov_b32_dpp v3, v1 row_shr:4 row_mask:0xf bank_mask:0xe
	v_mov_b32_dpp v6, v4 row_shr:4 row_mask:0xf bank_mask:0xe
	v_mov_b32_dpp v7, v5 row_shr:4 row_mask:0xf bank_mask:0xe
	v_pk_add_f32 v[0:1], v[0:1], v[2:3]
	v_pk_add_f32 v[4:5], v[4:5], v[6:7]
	s_nop 0
	;; [unrolled: 7-line block ×3, first 2 shown]
	v_mov_b32_dpp v2, v0 row_bcast:15 row_mask:0xa bank_mask:0xf
	v_mov_b32_dpp v3, v1 row_bcast:15 row_mask:0xa bank_mask:0xf
	;; [unrolled: 1-line block ×4, first 2 shown]
	v_pk_add_f32 v[0:1], v[0:1], v[2:3]
	v_pk_add_f32 v[6:7], v[4:5], v[6:7]
	s_nop 0
	v_mov_b32_dpp v2, v0 row_bcast:31 row_mask:0xc bank_mask:0xf
	v_mov_b32_dpp v3, v1 row_bcast:31 row_mask:0xc bank_mask:0xf
	;; [unrolled: 1-line block ×4, first 2 shown]
	s_and_b64 exec, exec, vcc
	s_cbranch_execz .LBB104_10
; %bb.40:
	s_load_dwordx2 s[0:1], s[0:1], 0x58
	v_cmp_eq_f32_e64 s[2:3], s16, 0
	v_pk_add_f32 v[4:5], v[0:1], v[2:3]
	v_pk_add_f32 v[2:3], v[6:7], v[8:9]
	s_and_b64 vcc, exec, s[2:3]
	s_waitcnt lgkmcnt(0)
	v_lshl_add_u64 v[0:1], v[16:17], 4, s[0:1]
	s_cbranch_vccz .LBB104_42
; %bb.41:
	v_pk_mul_f32 v[6:7], s[12:13], v[4:5] op_sel_hi:[0,1]
	v_pk_mul_f32 v[8:9], s[12:13], v[2:3] op_sel_hi:[0,1]
	global_store_dwordx4 v[0:1], v[6:9], off
	s_cbranch_execnz .LBB104_10
	s_branch .LBB104_43
.LBB104_42:
.LBB104_43:
	global_load_dwordx4 v[6:9], v[0:1], off
	v_pk_mul_f32 v[4:5], s[12:13], v[4:5] op_sel_hi:[0,1]
	v_pk_mul_f32 v[10:11], s[12:13], v[2:3] op_sel_hi:[0,1]
	s_waitcnt vmcnt(0)
	v_pk_fma_f32 v[2:3], s[16:17], v[6:7], v[4:5] op_sel_hi:[0,1,1]
	v_pk_fma_f32 v[4:5], s[16:17], v[8:9], v[10:11] op_sel_hi:[0,1,1]
	global_store_dwordx4 v[0:1], v[2:5], off
	s_endpgm
	.section	.rodata,"a",@progbits
	.p2align	6, 0x0
	.amdhsa_kernel _ZN9rocsparseL18bsrxmvn_4x4_kernelILj128ELj64EfllDF16_DF16_fEEvT3_20rocsparse_direction_NS_24const_host_device_scalarIT1_EES1_PKS1_PKT2_SA_S7_PKT4_PKT5_S5_PT6_21rocsparse_index_base_b
		.amdhsa_group_segment_fixed_size 0
		.amdhsa_private_segment_fixed_size 0
		.amdhsa_kernarg_size 104
		.amdhsa_user_sgpr_count 2
		.amdhsa_user_sgpr_dispatch_ptr 0
		.amdhsa_user_sgpr_queue_ptr 0
		.amdhsa_user_sgpr_kernarg_segment_ptr 1
		.amdhsa_user_sgpr_dispatch_id 0
		.amdhsa_user_sgpr_kernarg_preload_length 0
		.amdhsa_user_sgpr_kernarg_preload_offset 0
		.amdhsa_user_sgpr_private_segment_size 0
		.amdhsa_uses_dynamic_stack 0
		.amdhsa_enable_private_segment 0
		.amdhsa_system_sgpr_workgroup_id_x 1
		.amdhsa_system_sgpr_workgroup_id_y 0
		.amdhsa_system_sgpr_workgroup_id_z 0
		.amdhsa_system_sgpr_workgroup_info 0
		.amdhsa_system_vgpr_workitem_id 0
		.amdhsa_next_free_vgpr 102
		.amdhsa_next_free_sgpr 24
		.amdhsa_accum_offset 104
		.amdhsa_reserve_vcc 1
		.amdhsa_float_round_mode_32 0
		.amdhsa_float_round_mode_16_64 0
		.amdhsa_float_denorm_mode_32 3
		.amdhsa_float_denorm_mode_16_64 3
		.amdhsa_dx10_clamp 1
		.amdhsa_ieee_mode 1
		.amdhsa_fp16_overflow 0
		.amdhsa_tg_split 0
		.amdhsa_exception_fp_ieee_invalid_op 0
		.amdhsa_exception_fp_denorm_src 0
		.amdhsa_exception_fp_ieee_div_zero 0
		.amdhsa_exception_fp_ieee_overflow 0
		.amdhsa_exception_fp_ieee_underflow 0
		.amdhsa_exception_fp_ieee_inexact 0
		.amdhsa_exception_int_div_zero 0
	.end_amdhsa_kernel
	.section	.text._ZN9rocsparseL18bsrxmvn_4x4_kernelILj128ELj64EfllDF16_DF16_fEEvT3_20rocsparse_direction_NS_24const_host_device_scalarIT1_EES1_PKS1_PKT2_SA_S7_PKT4_PKT5_S5_PT6_21rocsparse_index_base_b,"axG",@progbits,_ZN9rocsparseL18bsrxmvn_4x4_kernelILj128ELj64EfllDF16_DF16_fEEvT3_20rocsparse_direction_NS_24const_host_device_scalarIT1_EES1_PKS1_PKT2_SA_S7_PKT4_PKT5_S5_PT6_21rocsparse_index_base_b,comdat
.Lfunc_end104:
	.size	_ZN9rocsparseL18bsrxmvn_4x4_kernelILj128ELj64EfllDF16_DF16_fEEvT3_20rocsparse_direction_NS_24const_host_device_scalarIT1_EES1_PKS1_PKT2_SA_S7_PKT4_PKT5_S5_PT6_21rocsparse_index_base_b, .Lfunc_end104-_ZN9rocsparseL18bsrxmvn_4x4_kernelILj128ELj64EfllDF16_DF16_fEEvT3_20rocsparse_direction_NS_24const_host_device_scalarIT1_EES1_PKS1_PKT2_SA_S7_PKT4_PKT5_S5_PT6_21rocsparse_index_base_b
                                        ; -- End function
	.set _ZN9rocsparseL18bsrxmvn_4x4_kernelILj128ELj64EfllDF16_DF16_fEEvT3_20rocsparse_direction_NS_24const_host_device_scalarIT1_EES1_PKS1_PKT2_SA_S7_PKT4_PKT5_S5_PT6_21rocsparse_index_base_b.num_vgpr, 102
	.set _ZN9rocsparseL18bsrxmvn_4x4_kernelILj128ELj64EfllDF16_DF16_fEEvT3_20rocsparse_direction_NS_24const_host_device_scalarIT1_EES1_PKS1_PKT2_SA_S7_PKT4_PKT5_S5_PT6_21rocsparse_index_base_b.num_agpr, 0
	.set _ZN9rocsparseL18bsrxmvn_4x4_kernelILj128ELj64EfllDF16_DF16_fEEvT3_20rocsparse_direction_NS_24const_host_device_scalarIT1_EES1_PKS1_PKT2_SA_S7_PKT4_PKT5_S5_PT6_21rocsparse_index_base_b.numbered_sgpr, 24
	.set _ZN9rocsparseL18bsrxmvn_4x4_kernelILj128ELj64EfllDF16_DF16_fEEvT3_20rocsparse_direction_NS_24const_host_device_scalarIT1_EES1_PKS1_PKT2_SA_S7_PKT4_PKT5_S5_PT6_21rocsparse_index_base_b.num_named_barrier, 0
	.set _ZN9rocsparseL18bsrxmvn_4x4_kernelILj128ELj64EfllDF16_DF16_fEEvT3_20rocsparse_direction_NS_24const_host_device_scalarIT1_EES1_PKS1_PKT2_SA_S7_PKT4_PKT5_S5_PT6_21rocsparse_index_base_b.private_seg_size, 0
	.set _ZN9rocsparseL18bsrxmvn_4x4_kernelILj128ELj64EfllDF16_DF16_fEEvT3_20rocsparse_direction_NS_24const_host_device_scalarIT1_EES1_PKS1_PKT2_SA_S7_PKT4_PKT5_S5_PT6_21rocsparse_index_base_b.uses_vcc, 1
	.set _ZN9rocsparseL18bsrxmvn_4x4_kernelILj128ELj64EfllDF16_DF16_fEEvT3_20rocsparse_direction_NS_24const_host_device_scalarIT1_EES1_PKS1_PKT2_SA_S7_PKT4_PKT5_S5_PT6_21rocsparse_index_base_b.uses_flat_scratch, 0
	.set _ZN9rocsparseL18bsrxmvn_4x4_kernelILj128ELj64EfllDF16_DF16_fEEvT3_20rocsparse_direction_NS_24const_host_device_scalarIT1_EES1_PKS1_PKT2_SA_S7_PKT4_PKT5_S5_PT6_21rocsparse_index_base_b.has_dyn_sized_stack, 0
	.set _ZN9rocsparseL18bsrxmvn_4x4_kernelILj128ELj64EfllDF16_DF16_fEEvT3_20rocsparse_direction_NS_24const_host_device_scalarIT1_EES1_PKS1_PKT2_SA_S7_PKT4_PKT5_S5_PT6_21rocsparse_index_base_b.has_recursion, 0
	.set _ZN9rocsparseL18bsrxmvn_4x4_kernelILj128ELj64EfllDF16_DF16_fEEvT3_20rocsparse_direction_NS_24const_host_device_scalarIT1_EES1_PKS1_PKT2_SA_S7_PKT4_PKT5_S5_PT6_21rocsparse_index_base_b.has_indirect_call, 0
	.section	.AMDGPU.csdata,"",@progbits
; Kernel info:
; codeLenInByte = 4220
; TotalNumSgprs: 30
; NumVgprs: 102
; NumAgprs: 0
; TotalNumVgprs: 102
; ScratchSize: 0
; MemoryBound: 0
; FloatMode: 240
; IeeeMode: 1
; LDSByteSize: 0 bytes/workgroup (compile time only)
; SGPRBlocks: 3
; VGPRBlocks: 12
; NumSGPRsForWavesPerEU: 30
; NumVGPRsForWavesPerEU: 102
; AccumOffset: 104
; Occupancy: 4
; WaveLimiterHint : 1
; COMPUTE_PGM_RSRC2:SCRATCH_EN: 0
; COMPUTE_PGM_RSRC2:USER_SGPR: 2
; COMPUTE_PGM_RSRC2:TRAP_HANDLER: 0
; COMPUTE_PGM_RSRC2:TGID_X_EN: 1
; COMPUTE_PGM_RSRC2:TGID_Y_EN: 0
; COMPUTE_PGM_RSRC2:TGID_Z_EN: 0
; COMPUTE_PGM_RSRC2:TIDIG_COMP_CNT: 0
; COMPUTE_PGM_RSRC3_GFX90A:ACCUM_OFFSET: 25
; COMPUTE_PGM_RSRC3_GFX90A:TG_SPLIT: 0
	.section	.text._ZN9rocsparseL18bsrxmvn_4x4_kernelILj128ELj4Efii18rocsparse_bfloat16S1_fEEvT3_20rocsparse_direction_NS_24const_host_device_scalarIT1_EES2_PKS2_PKT2_SB_S8_PKT4_PKT5_S6_PT6_21rocsparse_index_base_b,"axG",@progbits,_ZN9rocsparseL18bsrxmvn_4x4_kernelILj128ELj4Efii18rocsparse_bfloat16S1_fEEvT3_20rocsparse_direction_NS_24const_host_device_scalarIT1_EES2_PKS2_PKT2_SB_S8_PKT4_PKT5_S6_PT6_21rocsparse_index_base_b,comdat
	.globl	_ZN9rocsparseL18bsrxmvn_4x4_kernelILj128ELj4Efii18rocsparse_bfloat16S1_fEEvT3_20rocsparse_direction_NS_24const_host_device_scalarIT1_EES2_PKS2_PKT2_SB_S8_PKT4_PKT5_S6_PT6_21rocsparse_index_base_b ; -- Begin function _ZN9rocsparseL18bsrxmvn_4x4_kernelILj128ELj4Efii18rocsparse_bfloat16S1_fEEvT3_20rocsparse_direction_NS_24const_host_device_scalarIT1_EES2_PKS2_PKT2_SB_S8_PKT4_PKT5_S6_PT6_21rocsparse_index_base_b
	.p2align	8
	.type	_ZN9rocsparseL18bsrxmvn_4x4_kernelILj128ELj4Efii18rocsparse_bfloat16S1_fEEvT3_20rocsparse_direction_NS_24const_host_device_scalarIT1_EES2_PKS2_PKT2_SB_S8_PKT4_PKT5_S6_PT6_21rocsparse_index_base_b,@function
_ZN9rocsparseL18bsrxmvn_4x4_kernelILj128ELj4Efii18rocsparse_bfloat16S1_fEEvT3_20rocsparse_direction_NS_24const_host_device_scalarIT1_EES2_PKS2_PKT2_SB_S8_PKT4_PKT5_S6_PT6_21rocsparse_index_base_b: ; @_ZN9rocsparseL18bsrxmvn_4x4_kernelILj128ELj4Efii18rocsparse_bfloat16S1_fEEvT3_20rocsparse_direction_NS_24const_host_device_scalarIT1_EES2_PKS2_PKT2_SB_S8_PKT4_PKT5_S6_PT6_21rocsparse_index_base_b
; %bb.0:
	s_load_dwordx2 s[16:17], s[0:1], 0x58
	s_load_dwordx2 s[12:13], s[0:1], 0x8
	;; [unrolled: 1-line block ×3, first 2 shown]
	s_waitcnt lgkmcnt(0)
	s_bitcmp1_b32 s17, 0
	s_cselect_b64 s[6:7], -1, 0
	s_xor_b64 s[4:5], s[6:7], -1
	s_and_b64 vcc, exec, s[6:7]
	s_cbranch_vccnz .LBB105_2
; %bb.1:
	s_load_dword s12, s[12:13], 0x0
.LBB105_2:
	s_andn2_b64 vcc, exec, s[4:5]
	s_cbranch_vccnz .LBB105_4
; %bb.3:
	s_load_dword s14, s[14:15], 0x0
.LBB105_4:
	s_waitcnt lgkmcnt(0)
	v_cmp_neq_f32_e64 s[4:5], s12, 0
	v_cmp_neq_f32_e64 s[6:7], s14, 1.0
	s_or_b64 s[4:5], s[4:5], s[6:7]
	s_andn2_b64 vcc, exec, s[4:5]
	s_cbranch_vccnz .LBB105_10
; %bb.5:
	s_load_dwordx2 s[4:5], s[0:1], 0x18
	s_load_dwordx2 s[18:19], s[0:1], 0x0
	v_lshrrev_b32_e32 v1, 2, v0
	v_lshl_or_b32 v28, s2, 5, v1
	s_mov_b64 s[2:3], 0
	s_waitcnt lgkmcnt(0)
	s_cmp_lg_u64 s[4:5], 0
	s_cbranch_scc0 .LBB105_11
; %bb.6:
	s_load_dword s6, s[0:1], 0x10
                                        ; implicit-def: $vgpr1
	s_waitcnt lgkmcnt(0)
	v_cmp_gt_i32_e32 vcc, s6, v28
	s_and_saveexec_b64 s[6:7], vcc
	s_xor_b64 s[6:7], exec, s[6:7]
	s_cbranch_execz .LBB105_8
; %bb.7:
	v_ashrrev_i32_e32 v29, 31, v28
	v_lshl_add_u64 v[2:3], v[28:29], 2, s[4:5]
	global_load_dword v1, v[2:3], off
	s_mov_b64 s[2:3], exec
	s_waitcnt vmcnt(0)
	v_subrev_u32_e32 v1, s16, v1
.LBB105_8:
	s_or_b64 exec, exec, s[6:7]
	s_branch .LBB105_12
.LBB105_9:
	v_cmp_gt_i32_e32 vcc, s18, v28
	s_andn2_b64 s[2:3], s[2:3], exec
	s_and_b64 s[4:5], vcc, exec
	s_or_b64 s[2:3], s[2:3], s[4:5]
	s_and_saveexec_b64 s[4:5], s[2:3]
	s_cbranch_execnz .LBB105_13
.LBB105_10:
	s_endpgm
.LBB105_11:
                                        ; implicit-def: $vgpr1
	s_cbranch_execnz .LBB105_9
.LBB105_12:
	v_mov_b32_e32 v28, v1
	s_and_saveexec_b64 s[4:5], s[2:3]
	s_cbranch_execz .LBB105_10
.LBB105_13:
	s_load_dwordx8 s[4:11], s[0:1], 0x20
	v_ashrrev_i32_e32 v29, 31, v28
	v_lshlrev_b64 v[2:3], 2, v[28:29]
	v_and_b32_e32 v29, 3, v0
	s_waitcnt lgkmcnt(0)
	v_lshl_add_u64 v[6:7], s[4:5], 0, v[2:3]
	s_cmp_eq_u64 s[6:7], 0
	global_load_dword v4, v[6:7], off
	v_lshl_add_u64 v[6:7], v[6:7], 0, 4
	v_lshl_add_u64 v[2:3], s[6:7], 0, v[2:3]
	s_cselect_b64 vcc, -1, 0
	v_cndmask_b32_e32 v3, v3, v7, vcc
	v_cndmask_b32_e32 v2, v2, v6, vcc
	global_load_dword v1, v[2:3], off
	s_load_dwordx2 s[4:5], s[0:1], 0x40
	s_cmp_eq_u32 s19, 1
	s_waitcnt vmcnt(1)
	v_subrev_u32_e32 v0, s16, v4
	v_add_u32_e32 v30, v0, v29
	v_ashrrev_i32_e32 v31, 31, v30
	s_waitcnt vmcnt(0)
	v_subrev_u32_e32 v38, s16, v1
	v_lshlrev_b64 v[0:1], 5, v[30:31]
	v_lshl_add_u64 v[32:33], s[10:11], 0, v[0:1]
	v_cmp_lt_i32_e64 s[2:3], v30, v38
	s_cbranch_scc1 .LBB105_25
; %bb.14:
	v_mov_b32_e32 v37, 0
	v_mov_b32_e32 v36, 0
	v_mov_b32_e32 v35, 0
	v_mov_b32_e32 v34, 0
	s_and_saveexec_b64 s[6:7], s[2:3]
	s_cbranch_execz .LBB105_24
; %bb.15:
	v_add_u32_e32 v0, v4, v29
	v_subrev_u32_e32 v0, s16, v0
	v_add_u32_e32 v0, 4, v0
	v_max_i32_e32 v0, v0, v38
	v_not_b32_e32 v1, v4
	v_add3_u32 v0, s16, v0, v1
	v_sub_u32_e32 v5, v0, v29
	v_mov_b32_e32 v34, 0
	v_and_b32_e32 v0, 12, v5
	v_mov_b32_e32 v35, v34
	v_cmp_ne_u32_e32 vcc, 12, v0
	v_mov_b64_e32 v[36:37], v[34:35]
	v_mov_b32_e32 v0, v30
	v_mov_b64_e32 v[2:3], v[32:33]
	s_and_saveexec_b64 s[10:11], vcc
	s_cbranch_execz .LBB105_19
; %bb.16:
	v_lshrrev_b32_e32 v0, 2, v5
	v_add_u32_e32 v0, 1, v0
	v_and_b32_e32 v0, 3, v0
	v_sub_u32_e32 v6, 0, v0
	s_mov_b64 s[18:19], 0
	s_mov_b64 s[20:21], 0x80
	v_mov_b64_e32 v[2:3], v[32:33]
	v_mov_b32_e32 v0, v30
	v_mov_b32_e32 v35, v34
	;; [unrolled: 1-line block ×4, first 2 shown]
.LBB105_17:                             ; =>This Inner Loop Header: Depth=1
	v_ashrrev_i32_e32 v1, 31, v0
	v_lshl_add_u64 v[16:17], v[0:1], 2, s[8:9]
	global_load_dword v1, v[16:17], off
	global_load_dwordx4 v[8:11], v[2:3], off
	global_load_dwordx4 v[12:15], v[2:3], off offset:16
	v_add_co_u32_e32 v6, vcc, 1, v6
	v_lshl_add_u64 v[2:3], v[2:3], 0, s[20:21]
	v_add_u32_e32 v0, 4, v0
	s_or_b64 s[18:19], vcc, s[18:19]
	s_waitcnt vmcnt(2)
	v_subrev_u32_e32 v1, s16, v1
	v_lshlrev_b32_e32 v16, 2, v1
	v_ashrrev_i32_e32 v17, 31, v16
	s_waitcnt lgkmcnt(0)
	v_lshl_add_u64 v[16:17], v[16:17], 1, s[4:5]
	global_load_dwordx2 v[16:17], v[16:17], off
	s_waitcnt vmcnt(2)
	v_lshlrev_b32_e32 v19, 16, v10
	v_lshlrev_b32_e32 v18, 16, v8
	v_and_b32_e32 v21, 0xffff0000, v10
	v_and_b32_e32 v20, 0xffff0000, v8
	v_lshlrev_b32_e32 v22, 16, v9
	v_and_b32_e32 v10, 0xffff0000, v9
	s_waitcnt vmcnt(1)
	v_lshlrev_b32_e32 v9, 16, v14
	v_lshlrev_b32_e32 v8, 16, v12
	v_and_b32_e32 v24, 0xffff0000, v12
	v_and_b32_e32 v25, 0xffff0000, v14
	v_lshlrev_b32_e32 v23, 16, v11
	v_lshlrev_b32_e32 v27, 16, v15
	;; [unrolled: 1-line block ×3, first 2 shown]
	v_and_b32_e32 v14, 0xffff0000, v13
	v_and_b32_e32 v11, 0xffff0000, v11
	;; [unrolled: 1-line block ×3, first 2 shown]
	s_waitcnt vmcnt(0)
	v_lshlrev_b32_e32 v12, 16, v16
	v_and_b32_e32 v16, 0xffff0000, v16
	v_pk_fma_f32 v[18:19], v[18:19], v[12:13], v[34:35] op_sel_hi:[1,0,1]
	v_pk_fma_f32 v[8:9], v[8:9], v[12:13], v[36:37] op_sel_hi:[1,0,1]
	v_lshlrev_b32_e32 v40, 16, v17
	v_pk_fma_f32 v[12:13], v[20:21], v[16:17], v[18:19] op_sel_hi:[1,0,1]
	v_pk_fma_f32 v[8:9], v[24:25], v[16:17], v[8:9] op_sel_hi:[1,0,1]
	v_and_b32_e32 v42, 0xffff0000, v17
	v_pk_fma_f32 v[12:13], v[22:23], v[40:41], v[12:13] op_sel_hi:[1,0,1]
	v_pk_fma_f32 v[8:9], v[26:27], v[40:41], v[8:9] op_sel_hi:[1,0,1]
	;; [unrolled: 1-line block ×4, first 2 shown]
	s_andn2_b64 exec, exec, s[18:19]
	s_cbranch_execnz .LBB105_17
; %bb.18:
	s_or_b64 exec, exec, s[18:19]
.LBB105_19:
	s_or_b64 exec, exec, s[10:11]
	v_cmp_lt_u32_e32 vcc, 11, v5
	s_and_saveexec_b64 s[10:11], vcc
	s_cbranch_execz .LBB105_23
; %bb.20:
	s_mov_b64 s[18:19], 0
	s_mov_b64 s[20:21], 0x200
.LBB105_21:                             ; =>This Inner Loop Header: Depth=1
	v_ashrrev_i32_e32 v1, 31, v0
	v_lshl_add_u64 v[26:27], v[0:1], 2, s[8:9]
	global_load_dwordx4 v[6:9], v[2:3], off
	global_load_dwordx4 v[10:13], v[2:3], off offset:16
	global_load_dwordx4 v[14:17], v[2:3], off offset:128
	;; [unrolled: 1-line block ×7, first 2 shown]
	global_load_dword v1, v[26:27], off
	global_load_dword v5, v[26:27], off offset:16
	global_load_dword v31, v[26:27], off offset:32
	;; [unrolled: 1-line block ×3, first 2 shown]
	v_add_u32_e32 v0, 16, v0
	v_cmp_ge_i32_e32 vcc, v0, v38
	v_lshl_add_u64 v[2:3], v[2:3], 0, s[20:21]
	s_or_b64 s[18:19], vcc, s[18:19]
	s_waitcnt vmcnt(8)
	v_and_b32_e32 v65, 0xffff0000, v20
	v_lshlrev_b32_e32 v27, 16, v8
	s_waitcnt vmcnt(3)
	v_subrev_u32_e32 v1, s16, v1
	v_lshlrev_b32_e32 v26, 16, v6
	v_and_b32_e32 v53, 0xffff0000, v8
	v_and_b32_e32 v52, 0xffff0000, v6
	v_lshlrev_b32_e32 v54, 16, v7
	v_and_b32_e32 v8, 0xffff0000, v7
	v_lshlrev_b32_e32 v7, 16, v12
	v_lshlrev_b32_e32 v6, 16, v10
	v_and_b32_e32 v57, 0xffff0000, v12
	v_and_b32_e32 v56, 0xffff0000, v10
	v_lshlrev_b32_e32 v58, 16, v11
	v_and_b32_e32 v12, 0xffff0000, v11
	v_lshlrev_b32_e32 v11, 16, v16
	v_lshlrev_b32_e32 v10, 16, v14
	v_and_b32_e32 v61, 0xffff0000, v16
	v_and_b32_e32 v60, 0xffff0000, v14
	v_lshlrev_b32_e32 v62, 16, v15
	v_and_b32_e32 v16, 0xffff0000, v15
	v_lshlrev_b32_e32 v15, 16, v20
	v_lshlrev_b32_e32 v14, 16, v18
	v_and_b32_e32 v64, 0xffff0000, v18
	s_waitcnt vmcnt(2)
	v_subrev_u32_e32 v5, s16, v5
	s_waitcnt vmcnt(1)
	v_subrev_u32_e32 v18, s16, v31
	;; [unrolled: 2-line block ×3, first 2 shown]
	v_lshlrev_b32_e32 v66, 2, v1
	v_lshlrev_b32_e32 v68, 2, v5
	;; [unrolled: 1-line block ×4, first 2 shown]
	v_ashrrev_i32_e32 v67, 31, v66
	v_ashrrev_i32_e32 v69, 31, v68
	;; [unrolled: 1-line block ×4, first 2 shown]
	s_waitcnt lgkmcnt(0)
	v_lshl_add_u64 v[66:67], v[66:67], 1, s[4:5]
	v_lshl_add_u64 v[68:69], v[68:69], 1, s[4:5]
	;; [unrolled: 1-line block ×4, first 2 shown]
	global_load_dwordx2 v[74:75], v[66:67], off
	global_load_dwordx2 v[76:77], v[68:69], off
	;; [unrolled: 1-line block ×4, first 2 shown]
	v_lshlrev_b32_e32 v18, 16, v22
	v_and_b32_e32 v68, 0xffff0000, v22
	v_lshlrev_b32_e32 v22, 16, v40
	v_and_b32_e32 v72, 0xffff0000, v40
	;; [unrolled: 2-line block ×4, first 2 shown]
	v_lshlrev_b32_e32 v55, 16, v9
	v_lshlrev_b32_e32 v59, 16, v13
	v_and_b32_e32 v9, 0xffff0000, v9
	v_and_b32_e32 v13, 0xffff0000, v13
	v_lshlrev_b32_e32 v63, 16, v17
	v_lshlrev_b32_e32 v67, 16, v21
	;; [unrolled: 1-line block ×3, first 2 shown]
	v_and_b32_e32 v17, 0xffff0000, v17
	v_and_b32_e32 v21, 0xffff0000, v21
	;; [unrolled: 1-line block ×3, first 2 shown]
	v_lshlrev_b32_e32 v19, 16, v24
	v_and_b32_e32 v69, 0xffff0000, v24
	v_lshlrev_b32_e32 v70, 16, v23
	v_and_b32_e32 v24, 0xffff0000, v23
	;; [unrolled: 2-line block ×3, first 2 shown]
	v_lshlrev_b32_e32 v71, 16, v25
	v_lshlrev_b32_e32 v83, 16, v43
	;; [unrolled: 1-line block ×3, first 2 shown]
	v_and_b32_e32 v25, 0xffff0000, v25
	v_and_b32_e32 v43, 0xffff0000, v43
	;; [unrolled: 1-line block ×3, first 2 shown]
	v_lshlrev_b32_e32 v41, 16, v46
	v_and_b32_e32 v85, 0xffff0000, v46
	v_lshlrev_b32_e32 v86, 16, v45
	v_and_b32_e32 v46, 0xffff0000, v45
	;; [unrolled: 2-line block ×3, first 2 shown]
	v_lshlrev_b32_e32 v87, 16, v47
	v_lshlrev_b32_e32 v91, 16, v51
	;; [unrolled: 1-line block ×3, first 2 shown]
	v_and_b32_e32 v47, 0xffff0000, v47
	v_and_b32_e32 v51, 0xffff0000, v51
	;; [unrolled: 1-line block ×3, first 2 shown]
	s_waitcnt vmcnt(3)
	v_lshlrev_b32_e32 v48, 16, v74
	v_and_b32_e32 v74, 0xffff0000, v74
	v_pk_fma_f32 v[26:27], v[26:27], v[48:49], v[34:35] op_sel_hi:[1,0,1]
	v_pk_fma_f32 v[6:7], v[6:7], v[48:49], v[36:37] op_sel_hi:[1,0,1]
	v_lshlrev_b32_e32 v92, 16, v75
	v_pk_fma_f32 v[26:27], v[52:53], v[74:75], v[26:27] op_sel_hi:[1,0,1]
	v_pk_fma_f32 v[6:7], v[56:57], v[74:75], v[6:7] op_sel_hi:[1,0,1]
	v_and_b32_e32 v94, 0xffff0000, v75
	v_pk_fma_f32 v[26:27], v[54:55], v[92:93], v[26:27] op_sel_hi:[1,0,1]
	v_pk_fma_f32 v[6:7], v[58:59], v[92:93], v[6:7] op_sel_hi:[1,0,1]
	s_waitcnt vmcnt(2)
	v_lshlrev_b32_e32 v96, 16, v76
	v_pk_fma_f32 v[8:9], v[8:9], v[94:95], v[26:27] op_sel_hi:[1,0,1]
	v_pk_fma_f32 v[6:7], v[12:13], v[94:95], v[6:7] op_sel_hi:[1,0,1]
	v_and_b32_e32 v76, 0xffff0000, v76
	v_pk_fma_f32 v[8:9], v[10:11], v[96:97], v[8:9] op_sel_hi:[1,0,1]
	v_pk_fma_f32 v[6:7], v[14:15], v[96:97], v[6:7] op_sel_hi:[1,0,1]
	v_lshlrev_b32_e32 v34, 16, v77
	v_pk_fma_f32 v[8:9], v[60:61], v[76:77], v[8:9] op_sel_hi:[1,0,1]
	v_pk_fma_f32 v[6:7], v[64:65], v[76:77], v[6:7] op_sel_hi:[1,0,1]
	v_and_b32_e32 v98, 0xffff0000, v77
	v_pk_fma_f32 v[8:9], v[62:63], v[34:35], v[8:9] op_sel_hi:[1,0,1]
	v_pk_fma_f32 v[6:7], v[66:67], v[34:35], v[6:7] op_sel_hi:[1,0,1]
	s_waitcnt vmcnt(1)
	v_lshlrev_b32_e32 v36, 16, v78
	v_pk_fma_f32 v[8:9], v[16:17], v[98:99], v[8:9] op_sel_hi:[1,0,1]
	v_pk_fma_f32 v[6:7], v[20:21], v[98:99], v[6:7] op_sel_hi:[1,0,1]
	v_and_b32_e32 v48, 0xffff0000, v78
	v_pk_fma_f32 v[8:9], v[18:19], v[36:37], v[8:9] op_sel_hi:[1,0,1]
	v_pk_fma_f32 v[6:7], v[22:23], v[36:37], v[6:7] op_sel_hi:[1,0,1]
	v_lshlrev_b32_e32 v52, 16, v79
	v_pk_fma_f32 v[8:9], v[68:69], v[48:49], v[8:9] op_sel_hi:[1,0,1]
	v_pk_fma_f32 v[6:7], v[72:73], v[48:49], v[6:7] op_sel_hi:[1,0,1]
	v_and_b32_e32 v78, 0xffff0000, v79
	v_pk_fma_f32 v[8:9], v[70:71], v[52:53], v[8:9] op_sel_hi:[1,0,1]
	v_pk_fma_f32 v[6:7], v[82:83], v[52:53], v[6:7] op_sel_hi:[1,0,1]
	s_waitcnt vmcnt(0)
	v_lshlrev_b32_e32 v56, 16, v80
	v_pk_fma_f32 v[8:9], v[24:25], v[78:79], v[8:9] op_sel_hi:[1,0,1]
	v_pk_fma_f32 v[6:7], v[42:43], v[78:79], v[6:7] op_sel_hi:[1,0,1]
	v_and_b32_e32 v74, 0xffff0000, v80
	v_pk_fma_f32 v[8:9], v[40:41], v[56:57], v[8:9] op_sel_hi:[1,0,1]
	v_pk_fma_f32 v[6:7], v[44:45], v[56:57], v[6:7] op_sel_hi:[1,0,1]
	v_lshlrev_b32_e32 v54, 16, v81
	v_pk_fma_f32 v[8:9], v[84:85], v[74:75], v[8:9] op_sel_hi:[1,0,1]
	v_pk_fma_f32 v[6:7], v[88:89], v[74:75], v[6:7] op_sel_hi:[1,0,1]
	v_and_b32_e32 v80, 0xffff0000, v81
	v_pk_fma_f32 v[8:9], v[86:87], v[54:55], v[8:9] op_sel_hi:[1,0,1]
	v_pk_fma_f32 v[6:7], v[90:91], v[54:55], v[6:7] op_sel_hi:[1,0,1]
	;; [unrolled: 1-line block ×4, first 2 shown]
	s_andn2_b64 exec, exec, s[18:19]
	s_cbranch_execnz .LBB105_21
; %bb.22:
	s_or_b64 exec, exec, s[18:19]
.LBB105_23:
	s_or_b64 exec, exec, s[10:11]
.LBB105_24:
	s_or_b64 exec, exec, s[6:7]
	s_cbranch_execz .LBB105_26
	s_branch .LBB105_37
.LBB105_25:
                                        ; implicit-def: $vgpr37
                                        ; implicit-def: $vgpr35
.LBB105_26:
	v_mov_b32_e32 v37, 0
	v_mov_b32_e32 v36, 0
	;; [unrolled: 1-line block ×4, first 2 shown]
	s_and_saveexec_b64 s[6:7], s[2:3]
	s_cbranch_execz .LBB105_36
; %bb.27:
	v_add_u32_e32 v0, v4, v29
	v_subrev_u32_e32 v0, s16, v0
	v_add_u32_e32 v0, 4, v0
	v_max_i32_e32 v0, v0, v38
	v_not_b32_e32 v1, v4
	v_add3_u32 v0, s16, v0, v1
	v_sub_u32_e32 v0, v0, v29
	v_mov_b32_e32 v34, 0
	v_and_b32_e32 v1, 12, v0
	v_mov_b32_e32 v35, v34
	v_cmp_ne_u32_e32 vcc, 12, v1
	v_mov_b64_e32 v[36:37], v[34:35]
	s_and_saveexec_b64 s[2:3], vcc
	s_cbranch_execz .LBB105_31
; %bb.28:
	v_lshrrev_b32_e32 v1, 2, v0
	v_add_u32_e32 v1, 1, v1
	v_and_b32_e32 v1, 3, v1
	v_sub_u32_e32 v1, 0, v1
	s_mov_b64 s[10:11], 0
	s_mov_b64 s[18:19], 0x80
	v_mov_b32_e32 v35, v34
	v_mov_b32_e32 v36, v34
	;; [unrolled: 1-line block ×3, first 2 shown]
.LBB105_29:                             ; =>This Inner Loop Header: Depth=1
	v_ashrrev_i32_e32 v31, 31, v30
	v_lshl_add_u64 v[6:7], v[30:31], 2, s[8:9]
	global_load_dword v8, v[6:7], off
	global_load_dwordx4 v[2:5], v[32:33], off
	v_add_co_u32_e32 v1, vcc, 1, v1
	v_add_u32_e32 v30, 4, v30
	s_or_b64 s[10:11], vcc, s[10:11]
	s_waitcnt vmcnt(1)
	v_subrev_u32_e32 v6, s16, v8
	v_lshlrev_b32_e32 v6, 2, v6
	v_ashrrev_i32_e32 v7, 31, v6
	s_waitcnt lgkmcnt(0)
	v_lshl_add_u64 v[10:11], v[6:7], 1, s[4:5]
	global_load_dwordx2 v[12:13], v[10:11], off
	global_load_dwordx4 v[6:9], v[32:33], off offset:16
	s_waitcnt vmcnt(2)
	v_and_b32_e32 v11, 0xffff0000, v2
	v_lshlrev_b32_e32 v10, 16, v2
	v_and_b32_e32 v21, 0xffff0000, v3
	v_lshlrev_b32_e32 v20, 16, v3
	;; [unrolled: 2-line block ×4, first 2 shown]
	v_lshl_add_u64 v[32:33], v[32:33], 0, s[18:19]
	s_waitcnt vmcnt(1)
	v_lshlrev_b32_e32 v22, 16, v13
	s_waitcnt vmcnt(0)
	v_and_b32_e32 v19, 0xffff0000, v8
	v_lshlrev_b32_e32 v18, 16, v8
	v_lshlrev_b32_e32 v8, 16, v12
	v_and_b32_e32 v17, 0xffff0000, v6
	v_lshlrev_b32_e32 v16, 16, v6
	v_and_b32_e32 v5, 0xffff0000, v7
	;; [unrolled: 2-line block ×4, first 2 shown]
	v_pk_fma_f32 v[10:11], v[10:11], v[8:9], v[34:35] op_sel_hi:[1,0,1]
	v_pk_fma_f32 v[8:9], v[20:21], v[8:9], v[36:37] op_sel_hi:[1,0,1]
	;; [unrolled: 1-line block ×4, first 2 shown]
	v_and_b32_e32 v24, 0xffff0000, v13
	v_pk_fma_f32 v[8:9], v[16:17], v[22:23], v[10:11] op_sel_hi:[1,0,1]
	v_pk_fma_f32 v[2:3], v[4:5], v[22:23], v[2:3] op_sel_hi:[1,0,1]
	;; [unrolled: 1-line block ×4, first 2 shown]
	s_andn2_b64 exec, exec, s[10:11]
	s_cbranch_execnz .LBB105_29
; %bb.30:
	s_or_b64 exec, exec, s[10:11]
.LBB105_31:
	s_or_b64 exec, exec, s[2:3]
	v_cmp_lt_u32_e32 vcc, 11, v0
	s_and_saveexec_b64 s[2:3], vcc
	s_cbranch_execz .LBB105_35
; %bb.32:
	s_mov_b64 s[10:11], 0
	s_mov_b64 s[18:19], 0x200
.LBB105_33:                             ; =>This Inner Loop Header: Depth=1
	v_ashrrev_i32_e32 v31, 31, v30
	v_lshl_add_u64 v[44:45], v[30:31], 2, s[8:9]
	global_load_dwordx4 v[0:3], v[32:33], off
	global_load_dwordx4 v[4:7], v[32:33], off offset:16
	global_load_dwordx4 v[12:15], v[32:33], off offset:128
	;; [unrolled: 1-line block ×7, first 2 shown]
	global_load_dword v31, v[44:45], off
	global_load_dword v39, v[44:45], off offset:16
	global_load_dword v62, v[44:45], off offset:32
	;; [unrolled: 1-line block ×3, first 2 shown]
	v_add_u32_e32 v30, 16, v30
	v_cmp_ge_i32_e32 vcc, v30, v38
	v_lshl_add_u64 v[32:33], v[32:33], 0, s[18:19]
	s_or_b64 s[10:11], vcc, s[10:11]
	s_waitcnt vmcnt(11)
	v_and_b32_e32 v45, 0xffff0000, v0
	v_lshlrev_b32_e32 v44, 16, v0
	v_and_b32_e32 v47, 0xffff0000, v2
	s_waitcnt vmcnt(8)
	v_and_b32_e32 v57, 0xffff0000, v8
	v_lshlrev_b32_e32 v56, 16, v8
	s_waitcnt vmcnt(3)
	v_subrev_u32_e32 v8, s16, v31
	v_lshlrev_b32_e32 v46, 16, v2
	v_and_b32_e32 v49, 0xffff0000, v4
	v_lshlrev_b32_e32 v48, 16, v4
	v_and_b32_e32 v51, 0xffff0000, v6
	;; [unrolled: 2-line block ×11, first 2 shown]
	v_lshlrev_b32_e32 v12, 16, v15
	s_waitcnt vmcnt(2)
	v_subrev_u32_e32 v10, s16, v39
	s_waitcnt vmcnt(1)
	v_subrev_u32_e32 v15, s16, v62
	;; [unrolled: 2-line block ×3, first 2 shown]
	v_lshlrev_b32_e32 v14, 2, v8
	v_lshlrev_b32_e32 v62, 2, v10
	;; [unrolled: 1-line block ×4, first 2 shown]
	v_ashrrev_i32_e32 v15, 31, v14
	v_ashrrev_i32_e32 v63, 31, v62
	;; [unrolled: 1-line block ×4, first 2 shown]
	s_waitcnt lgkmcnt(0)
	v_lshl_add_u64 v[14:15], v[14:15], 1, s[4:5]
	v_lshl_add_u64 v[62:63], v[62:63], 1, s[4:5]
	;; [unrolled: 1-line block ×4, first 2 shown]
	global_load_dwordx2 v[68:69], v[14:15], off
	global_load_dwordx2 v[70:71], v[62:63], off
	;; [unrolled: 1-line block ×4, first 2 shown]
	v_and_b32_e32 v83, 0xffff0000, v42
	v_lshlrev_b32_e32 v82, 16, v42
	v_and_b32_e32 v15, 0xffff0000, v9
	v_lshlrev_b32_e32 v14, 16, v9
	;; [unrolled: 2-line block ×18, first 2 shown]
	s_waitcnt vmcnt(3)
	v_lshlrev_b32_e32 v42, 16, v68
	v_and_b32_e32 v68, 0xffff0000, v68
	v_pk_fma_f32 v[34:35], v[44:45], v[42:43], v[34:35] op_sel_hi:[1,0,1]
	v_pk_fma_f32 v[36:37], v[52:53], v[42:43], v[36:37] op_sel_hi:[1,0,1]
	v_lshlrev_b32_e32 v86, 16, v69
	v_pk_fma_f32 v[34:35], v[46:47], v[68:69], v[34:35] op_sel_hi:[1,0,1]
	v_pk_fma_f32 v[0:1], v[0:1], v[68:69], v[36:37] op_sel_hi:[1,0,1]
	v_and_b32_e32 v88, 0xffff0000, v69
	v_pk_fma_f32 v[34:35], v[48:49], v[86:87], v[34:35] op_sel_hi:[1,0,1]
	v_pk_fma_f32 v[0:1], v[2:3], v[86:87], v[0:1] op_sel_hi:[1,0,1]
	s_waitcnt vmcnt(2)
	v_lshlrev_b32_e32 v90, 16, v70
	v_pk_fma_f32 v[2:3], v[50:51], v[88:89], v[34:35] op_sel_hi:[1,0,1]
	v_pk_fma_f32 v[0:1], v[4:5], v[88:89], v[0:1] op_sel_hi:[1,0,1]
	v_and_b32_e32 v70, 0xffff0000, v70
	v_pk_fma_f32 v[2:3], v[6:7], v[90:91], v[2:3] op_sel_hi:[1,0,1]
	v_pk_fma_f32 v[0:1], v[60:61], v[90:91], v[0:1] op_sel_hi:[1,0,1]
	v_lshlrev_b32_e32 v44, 16, v71
	v_pk_fma_f32 v[2:3], v[54:55], v[70:71], v[2:3] op_sel_hi:[1,0,1]
	v_pk_fma_f32 v[0:1], v[12:13], v[70:71], v[0:1] op_sel_hi:[1,0,1]
	v_and_b32_e32 v92, 0xffff0000, v71
	v_pk_fma_f32 v[2:3], v[56:57], v[44:45], v[2:3] op_sel_hi:[1,0,1]
	v_pk_fma_f32 v[0:1], v[14:15], v[44:45], v[0:1] op_sel_hi:[1,0,1]
	s_waitcnt vmcnt(1)
	v_lshlrev_b32_e32 v42, 16, v72
	v_pk_fma_f32 v[2:3], v[58:59], v[92:93], v[2:3] op_sel_hi:[1,0,1]
	v_pk_fma_f32 v[0:1], v[8:9], v[92:93], v[0:1] op_sel_hi:[1,0,1]
	;; [unrolled: 13-line block ×3, first 2 shown]
	v_and_b32_e32 v68, 0xffff0000, v74
	v_pk_fma_f32 v[2:3], v[22:23], v[36:37], v[2:3] op_sel_hi:[1,0,1]
	v_pk_fma_f32 v[0:1], v[80:81], v[36:37], v[0:1] op_sel_hi:[1,0,1]
	v_lshlrev_b32_e32 v48, 16, v75
	v_pk_fma_f32 v[2:3], v[78:79], v[68:69], v[2:3] op_sel_hi:[1,0,1]
	v_pk_fma_f32 v[0:1], v[24:25], v[68:69], v[0:1] op_sel_hi:[1,0,1]
	v_and_b32_e32 v74, 0xffff0000, v75
	v_pk_fma_f32 v[2:3], v[26:27], v[48:49], v[2:3] op_sel_hi:[1,0,1]
	v_pk_fma_f32 v[0:1], v[84:85], v[48:49], v[0:1] op_sel_hi:[1,0,1]
	;; [unrolled: 1-line block ×4, first 2 shown]
	s_andn2_b64 exec, exec, s[10:11]
	s_cbranch_execnz .LBB105_33
; %bb.34:
	s_or_b64 exec, exec, s[10:11]
.LBB105_35:
	s_or_b64 exec, exec, s[2:3]
.LBB105_36:
	s_or_b64 exec, exec, s[6:7]
.LBB105_37:
	v_mov_b32_dpp v0, v34 row_shr:1 row_mask:0xf bank_mask:0xf
	v_mov_b32_dpp v1, v35 row_shr:1 row_mask:0xf bank_mask:0xf
	;; [unrolled: 1-line block ×4, first 2 shown]
	v_pk_add_f32 v[0:1], v[34:35], v[0:1]
	v_pk_add_f32 v[4:5], v[36:37], v[4:5]
	v_cmp_eq_u32_e32 vcc, 3, v29
	v_mov_b32_dpp v2, v0 row_shr:2 row_mask:0xf bank_mask:0xf
	v_mov_b32_dpp v3, v1 row_shr:2 row_mask:0xf bank_mask:0xf
	;; [unrolled: 1-line block ×4, first 2 shown]
	s_and_b64 exec, exec, vcc
	s_cbranch_execz .LBB105_10
; %bb.38:
	s_load_dwordx2 s[0:1], s[0:1], 0x50
	v_cmp_eq_f32_e64 s[2:3], s14, 0
	v_pk_add_f32 v[2:3], v[0:1], v[2:3]
	v_pk_add_f32 v[0:1], v[4:5], v[6:7]
	s_and_b64 vcc, exec, s[2:3]
	v_lshlrev_b32_e32 v4, 2, v28
	s_cbranch_vccz .LBB105_40
; %bb.39:
	v_ashrrev_i32_e32 v5, 31, v4
	s_waitcnt lgkmcnt(0)
	v_lshl_add_u64 v[10:11], v[4:5], 2, s[0:1]
	v_pk_mul_f32 v[6:7], s[12:13], v[2:3] op_sel_hi:[0,1]
	v_pk_mul_f32 v[8:9], s[12:13], v[0:1] op_sel_hi:[0,1]
	global_store_dwordx4 v[10:11], v[6:9], off
	s_cbranch_execnz .LBB105_10
	s_branch .LBB105_41
.LBB105_40:
.LBB105_41:
	v_ashrrev_i32_e32 v5, 31, v4
	s_waitcnt lgkmcnt(0)
	v_lshl_add_u64 v[8:9], v[4:5], 2, s[0:1]
	global_load_dwordx4 v[4:7], v[8:9], off
	v_pk_mul_f32 v[2:3], s[12:13], v[2:3] op_sel_hi:[0,1]
	v_pk_mul_f32 v[10:11], s[12:13], v[0:1] op_sel_hi:[0,1]
	s_waitcnt vmcnt(0)
	v_pk_fma_f32 v[0:1], s[14:15], v[4:5], v[2:3] op_sel_hi:[0,1,1]
	v_pk_fma_f32 v[2:3], s[14:15], v[6:7], v[10:11] op_sel_hi:[0,1,1]
	global_store_dwordx4 v[8:9], v[0:3], off
	s_endpgm
	.section	.rodata,"a",@progbits
	.p2align	6, 0x0
	.amdhsa_kernel _ZN9rocsparseL18bsrxmvn_4x4_kernelILj128ELj4Efii18rocsparse_bfloat16S1_fEEvT3_20rocsparse_direction_NS_24const_host_device_scalarIT1_EES2_PKS2_PKT2_SB_S8_PKT4_PKT5_S6_PT6_21rocsparse_index_base_b
		.amdhsa_group_segment_fixed_size 0
		.amdhsa_private_segment_fixed_size 0
		.amdhsa_kernarg_size 96
		.amdhsa_user_sgpr_count 2
		.amdhsa_user_sgpr_dispatch_ptr 0
		.amdhsa_user_sgpr_queue_ptr 0
		.amdhsa_user_sgpr_kernarg_segment_ptr 1
		.amdhsa_user_sgpr_dispatch_id 0
		.amdhsa_user_sgpr_kernarg_preload_length 0
		.amdhsa_user_sgpr_kernarg_preload_offset 0
		.amdhsa_user_sgpr_private_segment_size 0
		.amdhsa_uses_dynamic_stack 0
		.amdhsa_enable_private_segment 0
		.amdhsa_system_sgpr_workgroup_id_x 1
		.amdhsa_system_sgpr_workgroup_id_y 0
		.amdhsa_system_sgpr_workgroup_id_z 0
		.amdhsa_system_sgpr_workgroup_info 0
		.amdhsa_system_vgpr_workitem_id 0
		.amdhsa_next_free_vgpr 100
		.amdhsa_next_free_sgpr 22
		.amdhsa_accum_offset 100
		.amdhsa_reserve_vcc 1
		.amdhsa_float_round_mode_32 0
		.amdhsa_float_round_mode_16_64 0
		.amdhsa_float_denorm_mode_32 3
		.amdhsa_float_denorm_mode_16_64 3
		.amdhsa_dx10_clamp 1
		.amdhsa_ieee_mode 1
		.amdhsa_fp16_overflow 0
		.amdhsa_tg_split 0
		.amdhsa_exception_fp_ieee_invalid_op 0
		.amdhsa_exception_fp_denorm_src 0
		.amdhsa_exception_fp_ieee_div_zero 0
		.amdhsa_exception_fp_ieee_overflow 0
		.amdhsa_exception_fp_ieee_underflow 0
		.amdhsa_exception_fp_ieee_inexact 0
		.amdhsa_exception_int_div_zero 0
	.end_amdhsa_kernel
	.section	.text._ZN9rocsparseL18bsrxmvn_4x4_kernelILj128ELj4Efii18rocsparse_bfloat16S1_fEEvT3_20rocsparse_direction_NS_24const_host_device_scalarIT1_EES2_PKS2_PKT2_SB_S8_PKT4_PKT5_S6_PT6_21rocsparse_index_base_b,"axG",@progbits,_ZN9rocsparseL18bsrxmvn_4x4_kernelILj128ELj4Efii18rocsparse_bfloat16S1_fEEvT3_20rocsparse_direction_NS_24const_host_device_scalarIT1_EES2_PKS2_PKT2_SB_S8_PKT4_PKT5_S6_PT6_21rocsparse_index_base_b,comdat
.Lfunc_end105:
	.size	_ZN9rocsparseL18bsrxmvn_4x4_kernelILj128ELj4Efii18rocsparse_bfloat16S1_fEEvT3_20rocsparse_direction_NS_24const_host_device_scalarIT1_EES2_PKS2_PKT2_SB_S8_PKT4_PKT5_S6_PT6_21rocsparse_index_base_b, .Lfunc_end105-_ZN9rocsparseL18bsrxmvn_4x4_kernelILj128ELj4Efii18rocsparse_bfloat16S1_fEEvT3_20rocsparse_direction_NS_24const_host_device_scalarIT1_EES2_PKS2_PKT2_SB_S8_PKT4_PKT5_S6_PT6_21rocsparse_index_base_b
                                        ; -- End function
	.set _ZN9rocsparseL18bsrxmvn_4x4_kernelILj128ELj4Efii18rocsparse_bfloat16S1_fEEvT3_20rocsparse_direction_NS_24const_host_device_scalarIT1_EES2_PKS2_PKT2_SB_S8_PKT4_PKT5_S6_PT6_21rocsparse_index_base_b.num_vgpr, 100
	.set _ZN9rocsparseL18bsrxmvn_4x4_kernelILj128ELj4Efii18rocsparse_bfloat16S1_fEEvT3_20rocsparse_direction_NS_24const_host_device_scalarIT1_EES2_PKS2_PKT2_SB_S8_PKT4_PKT5_S6_PT6_21rocsparse_index_base_b.num_agpr, 0
	.set _ZN9rocsparseL18bsrxmvn_4x4_kernelILj128ELj4Efii18rocsparse_bfloat16S1_fEEvT3_20rocsparse_direction_NS_24const_host_device_scalarIT1_EES2_PKS2_PKT2_SB_S8_PKT4_PKT5_S6_PT6_21rocsparse_index_base_b.numbered_sgpr, 22
	.set _ZN9rocsparseL18bsrxmvn_4x4_kernelILj128ELj4Efii18rocsparse_bfloat16S1_fEEvT3_20rocsparse_direction_NS_24const_host_device_scalarIT1_EES2_PKS2_PKT2_SB_S8_PKT4_PKT5_S6_PT6_21rocsparse_index_base_b.num_named_barrier, 0
	.set _ZN9rocsparseL18bsrxmvn_4x4_kernelILj128ELj4Efii18rocsparse_bfloat16S1_fEEvT3_20rocsparse_direction_NS_24const_host_device_scalarIT1_EES2_PKS2_PKT2_SB_S8_PKT4_PKT5_S6_PT6_21rocsparse_index_base_b.private_seg_size, 0
	.set _ZN9rocsparseL18bsrxmvn_4x4_kernelILj128ELj4Efii18rocsparse_bfloat16S1_fEEvT3_20rocsparse_direction_NS_24const_host_device_scalarIT1_EES2_PKS2_PKT2_SB_S8_PKT4_PKT5_S6_PT6_21rocsparse_index_base_b.uses_vcc, 1
	.set _ZN9rocsparseL18bsrxmvn_4x4_kernelILj128ELj4Efii18rocsparse_bfloat16S1_fEEvT3_20rocsparse_direction_NS_24const_host_device_scalarIT1_EES2_PKS2_PKT2_SB_S8_PKT4_PKT5_S6_PT6_21rocsparse_index_base_b.uses_flat_scratch, 0
	.set _ZN9rocsparseL18bsrxmvn_4x4_kernelILj128ELj4Efii18rocsparse_bfloat16S1_fEEvT3_20rocsparse_direction_NS_24const_host_device_scalarIT1_EES2_PKS2_PKT2_SB_S8_PKT4_PKT5_S6_PT6_21rocsparse_index_base_b.has_dyn_sized_stack, 0
	.set _ZN9rocsparseL18bsrxmvn_4x4_kernelILj128ELj4Efii18rocsparse_bfloat16S1_fEEvT3_20rocsparse_direction_NS_24const_host_device_scalarIT1_EES2_PKS2_PKT2_SB_S8_PKT4_PKT5_S6_PT6_21rocsparse_index_base_b.has_recursion, 0
	.set _ZN9rocsparseL18bsrxmvn_4x4_kernelILj128ELj4Efii18rocsparse_bfloat16S1_fEEvT3_20rocsparse_direction_NS_24const_host_device_scalarIT1_EES2_PKS2_PKT2_SB_S8_PKT4_PKT5_S6_PT6_21rocsparse_index_base_b.has_indirect_call, 0
	.section	.AMDGPU.csdata,"",@progbits
; Kernel info:
; codeLenInByte = 3668
; TotalNumSgprs: 28
; NumVgprs: 100
; NumAgprs: 0
; TotalNumVgprs: 100
; ScratchSize: 0
; MemoryBound: 0
; FloatMode: 240
; IeeeMode: 1
; LDSByteSize: 0 bytes/workgroup (compile time only)
; SGPRBlocks: 3
; VGPRBlocks: 12
; NumSGPRsForWavesPerEU: 28
; NumVGPRsForWavesPerEU: 100
; AccumOffset: 100
; Occupancy: 4
; WaveLimiterHint : 1
; COMPUTE_PGM_RSRC2:SCRATCH_EN: 0
; COMPUTE_PGM_RSRC2:USER_SGPR: 2
; COMPUTE_PGM_RSRC2:TRAP_HANDLER: 0
; COMPUTE_PGM_RSRC2:TGID_X_EN: 1
; COMPUTE_PGM_RSRC2:TGID_Y_EN: 0
; COMPUTE_PGM_RSRC2:TGID_Z_EN: 0
; COMPUTE_PGM_RSRC2:TIDIG_COMP_CNT: 0
; COMPUTE_PGM_RSRC3_GFX90A:ACCUM_OFFSET: 24
; COMPUTE_PGM_RSRC3_GFX90A:TG_SPLIT: 0
	.section	.text._ZN9rocsparseL18bsrxmvn_4x4_kernelILj128ELj8Efii18rocsparse_bfloat16S1_fEEvT3_20rocsparse_direction_NS_24const_host_device_scalarIT1_EES2_PKS2_PKT2_SB_S8_PKT4_PKT5_S6_PT6_21rocsparse_index_base_b,"axG",@progbits,_ZN9rocsparseL18bsrxmvn_4x4_kernelILj128ELj8Efii18rocsparse_bfloat16S1_fEEvT3_20rocsparse_direction_NS_24const_host_device_scalarIT1_EES2_PKS2_PKT2_SB_S8_PKT4_PKT5_S6_PT6_21rocsparse_index_base_b,comdat
	.globl	_ZN9rocsparseL18bsrxmvn_4x4_kernelILj128ELj8Efii18rocsparse_bfloat16S1_fEEvT3_20rocsparse_direction_NS_24const_host_device_scalarIT1_EES2_PKS2_PKT2_SB_S8_PKT4_PKT5_S6_PT6_21rocsparse_index_base_b ; -- Begin function _ZN9rocsparseL18bsrxmvn_4x4_kernelILj128ELj8Efii18rocsparse_bfloat16S1_fEEvT3_20rocsparse_direction_NS_24const_host_device_scalarIT1_EES2_PKS2_PKT2_SB_S8_PKT4_PKT5_S6_PT6_21rocsparse_index_base_b
	.p2align	8
	.type	_ZN9rocsparseL18bsrxmvn_4x4_kernelILj128ELj8Efii18rocsparse_bfloat16S1_fEEvT3_20rocsparse_direction_NS_24const_host_device_scalarIT1_EES2_PKS2_PKT2_SB_S8_PKT4_PKT5_S6_PT6_21rocsparse_index_base_b,@function
_ZN9rocsparseL18bsrxmvn_4x4_kernelILj128ELj8Efii18rocsparse_bfloat16S1_fEEvT3_20rocsparse_direction_NS_24const_host_device_scalarIT1_EES2_PKS2_PKT2_SB_S8_PKT4_PKT5_S6_PT6_21rocsparse_index_base_b: ; @_ZN9rocsparseL18bsrxmvn_4x4_kernelILj128ELj8Efii18rocsparse_bfloat16S1_fEEvT3_20rocsparse_direction_NS_24const_host_device_scalarIT1_EES2_PKS2_PKT2_SB_S8_PKT4_PKT5_S6_PT6_21rocsparse_index_base_b
; %bb.0:
	s_load_dwordx2 s[16:17], s[0:1], 0x58
	s_load_dwordx2 s[12:13], s[0:1], 0x8
	;; [unrolled: 1-line block ×3, first 2 shown]
	s_waitcnt lgkmcnt(0)
	s_bitcmp1_b32 s17, 0
	s_cselect_b64 s[6:7], -1, 0
	s_xor_b64 s[4:5], s[6:7], -1
	s_and_b64 vcc, exec, s[6:7]
	s_cbranch_vccnz .LBB106_2
; %bb.1:
	s_load_dword s12, s[12:13], 0x0
.LBB106_2:
	s_andn2_b64 vcc, exec, s[4:5]
	s_cbranch_vccnz .LBB106_4
; %bb.3:
	s_load_dword s14, s[14:15], 0x0
.LBB106_4:
	s_waitcnt lgkmcnt(0)
	v_cmp_neq_f32_e64 s[4:5], s12, 0
	v_cmp_neq_f32_e64 s[6:7], s14, 1.0
	s_or_b64 s[4:5], s[4:5], s[6:7]
	s_andn2_b64 vcc, exec, s[4:5]
	s_cbranch_vccnz .LBB106_10
; %bb.5:
	s_load_dwordx2 s[4:5], s[0:1], 0x18
	s_load_dwordx2 s[18:19], s[0:1], 0x0
	v_lshrrev_b32_e32 v1, 3, v0
	v_lshl_or_b32 v28, s2, 4, v1
	s_mov_b64 s[2:3], 0
	s_waitcnt lgkmcnt(0)
	s_cmp_lg_u64 s[4:5], 0
	s_cbranch_scc0 .LBB106_11
; %bb.6:
	s_load_dword s6, s[0:1], 0x10
                                        ; implicit-def: $vgpr1
	s_waitcnt lgkmcnt(0)
	v_cmp_gt_i32_e32 vcc, s6, v28
	s_and_saveexec_b64 s[6:7], vcc
	s_xor_b64 s[6:7], exec, s[6:7]
	s_cbranch_execz .LBB106_8
; %bb.7:
	v_ashrrev_i32_e32 v29, 31, v28
	v_lshl_add_u64 v[2:3], v[28:29], 2, s[4:5]
	global_load_dword v1, v[2:3], off
	s_mov_b64 s[2:3], exec
	s_waitcnt vmcnt(0)
	v_subrev_u32_e32 v1, s16, v1
.LBB106_8:
	s_or_b64 exec, exec, s[6:7]
	s_branch .LBB106_12
.LBB106_9:
	v_cmp_gt_i32_e32 vcc, s18, v28
	s_andn2_b64 s[2:3], s[2:3], exec
	s_and_b64 s[4:5], vcc, exec
	s_or_b64 s[2:3], s[2:3], s[4:5]
	s_and_saveexec_b64 s[4:5], s[2:3]
	s_cbranch_execnz .LBB106_13
.LBB106_10:
	s_endpgm
.LBB106_11:
                                        ; implicit-def: $vgpr1
	s_cbranch_execnz .LBB106_9
.LBB106_12:
	v_mov_b32_e32 v28, v1
	s_and_saveexec_b64 s[4:5], s[2:3]
	s_cbranch_execz .LBB106_10
.LBB106_13:
	s_load_dwordx8 s[4:11], s[0:1], 0x20
	v_ashrrev_i32_e32 v29, 31, v28
	v_lshlrev_b64 v[2:3], 2, v[28:29]
	v_and_b32_e32 v29, 7, v0
	s_waitcnt lgkmcnt(0)
	v_lshl_add_u64 v[6:7], s[4:5], 0, v[2:3]
	s_cmp_eq_u64 s[6:7], 0
	global_load_dword v4, v[6:7], off
	v_lshl_add_u64 v[6:7], v[6:7], 0, 4
	v_lshl_add_u64 v[2:3], s[6:7], 0, v[2:3]
	s_cselect_b64 vcc, -1, 0
	v_cndmask_b32_e32 v3, v3, v7, vcc
	v_cndmask_b32_e32 v2, v2, v6, vcc
	global_load_dword v1, v[2:3], off
	s_load_dwordx2 s[4:5], s[0:1], 0x40
	s_cmp_eq_u32 s19, 1
	s_waitcnt vmcnt(1)
	v_subrev_u32_e32 v0, s16, v4
	v_add_u32_e32 v30, v0, v29
	v_ashrrev_i32_e32 v31, 31, v30
	s_waitcnt vmcnt(0)
	v_subrev_u32_e32 v38, s16, v1
	v_lshlrev_b64 v[0:1], 5, v[30:31]
	v_lshl_add_u64 v[32:33], s[10:11], 0, v[0:1]
	v_cmp_lt_i32_e64 s[2:3], v30, v38
	s_cbranch_scc1 .LBB106_25
; %bb.14:
	v_mov_b32_e32 v37, 0
	v_mov_b32_e32 v36, 0
	;; [unrolled: 1-line block ×4, first 2 shown]
	s_and_saveexec_b64 s[6:7], s[2:3]
	s_cbranch_execz .LBB106_24
; %bb.15:
	v_add_u32_e32 v0, v4, v29
	v_subrev_u32_e32 v0, s16, v0
	v_add_u32_e32 v0, 8, v0
	v_max_i32_e32 v0, v0, v38
	v_not_b32_e32 v1, v4
	v_add3_u32 v0, s16, v0, v1
	v_sub_u32_e32 v5, v0, v29
	v_mov_b32_e32 v34, 0
	v_and_b32_e32 v0, 24, v5
	v_mov_b32_e32 v35, v34
	v_cmp_ne_u32_e32 vcc, 24, v0
	v_mov_b64_e32 v[36:37], v[34:35]
	v_mov_b32_e32 v0, v30
	v_mov_b64_e32 v[2:3], v[32:33]
	s_and_saveexec_b64 s[10:11], vcc
	s_cbranch_execz .LBB106_19
; %bb.16:
	v_lshrrev_b32_e32 v0, 3, v5
	v_add_u32_e32 v0, 1, v0
	v_and_b32_e32 v0, 3, v0
	v_sub_u32_e32 v6, 0, v0
	s_mov_b64 s[18:19], 0
	s_mov_b64 s[20:21], 0x100
	v_mov_b64_e32 v[2:3], v[32:33]
	v_mov_b32_e32 v0, v30
	v_mov_b32_e32 v35, v34
	;; [unrolled: 1-line block ×4, first 2 shown]
.LBB106_17:                             ; =>This Inner Loop Header: Depth=1
	v_ashrrev_i32_e32 v1, 31, v0
	v_lshl_add_u64 v[16:17], v[0:1], 2, s[8:9]
	global_load_dword v1, v[16:17], off
	global_load_dwordx4 v[8:11], v[2:3], off
	global_load_dwordx4 v[12:15], v[2:3], off offset:16
	v_add_co_u32_e32 v6, vcc, 1, v6
	v_lshl_add_u64 v[2:3], v[2:3], 0, s[20:21]
	v_add_u32_e32 v0, 8, v0
	s_or_b64 s[18:19], vcc, s[18:19]
	s_waitcnt vmcnt(2)
	v_subrev_u32_e32 v1, s16, v1
	v_lshlrev_b32_e32 v16, 2, v1
	v_ashrrev_i32_e32 v17, 31, v16
	s_waitcnt lgkmcnt(0)
	v_lshl_add_u64 v[16:17], v[16:17], 1, s[4:5]
	global_load_dwordx2 v[16:17], v[16:17], off
	s_waitcnt vmcnt(2)
	v_lshlrev_b32_e32 v18, 16, v8
	v_lshlrev_b32_e32 v19, 16, v10
	v_and_b32_e32 v21, 0xffff0000, v10
	v_and_b32_e32 v20, 0xffff0000, v8
	v_lshlrev_b32_e32 v22, 16, v9
	v_and_b32_e32 v10, 0xffff0000, v9
	s_waitcnt vmcnt(1)
	v_lshlrev_b32_e32 v8, 16, v12
	v_lshlrev_b32_e32 v9, 16, v14
	v_and_b32_e32 v24, 0xffff0000, v12
	v_and_b32_e32 v25, 0xffff0000, v14
	v_lshlrev_b32_e32 v23, 16, v11
	v_lshlrev_b32_e32 v27, 16, v15
	;; [unrolled: 1-line block ×3, first 2 shown]
	v_and_b32_e32 v14, 0xffff0000, v13
	v_and_b32_e32 v11, 0xffff0000, v11
	;; [unrolled: 1-line block ×3, first 2 shown]
	s_waitcnt vmcnt(0)
	v_lshlrev_b32_e32 v12, 16, v16
	v_and_b32_e32 v16, 0xffff0000, v16
	v_pk_fma_f32 v[18:19], v[18:19], v[12:13], v[34:35] op_sel_hi:[1,0,1]
	v_pk_fma_f32 v[8:9], v[8:9], v[12:13], v[36:37] op_sel_hi:[1,0,1]
	v_lshlrev_b32_e32 v40, 16, v17
	v_pk_fma_f32 v[12:13], v[20:21], v[16:17], v[18:19] op_sel_hi:[1,0,1]
	v_pk_fma_f32 v[8:9], v[24:25], v[16:17], v[8:9] op_sel_hi:[1,0,1]
	v_and_b32_e32 v42, 0xffff0000, v17
	v_pk_fma_f32 v[12:13], v[22:23], v[40:41], v[12:13] op_sel_hi:[1,0,1]
	v_pk_fma_f32 v[8:9], v[26:27], v[40:41], v[8:9] op_sel_hi:[1,0,1]
	;; [unrolled: 1-line block ×4, first 2 shown]
	s_andn2_b64 exec, exec, s[18:19]
	s_cbranch_execnz .LBB106_17
; %bb.18:
	s_or_b64 exec, exec, s[18:19]
.LBB106_19:
	s_or_b64 exec, exec, s[10:11]
	v_cmp_lt_u32_e32 vcc, 23, v5
	s_and_saveexec_b64 s[10:11], vcc
	s_cbranch_execz .LBB106_23
; %bb.20:
	s_mov_b64 s[18:19], 0
	s_mov_b64 s[20:21], 0x400
.LBB106_21:                             ; =>This Inner Loop Header: Depth=1
	v_ashrrev_i32_e32 v1, 31, v0
	v_lshl_add_u64 v[26:27], v[0:1], 2, s[8:9]
	global_load_dwordx4 v[6:9], v[2:3], off
	global_load_dwordx4 v[10:13], v[2:3], off offset:16
	global_load_dwordx4 v[14:17], v[2:3], off offset:256
	;; [unrolled: 1-line block ×7, first 2 shown]
	global_load_dword v1, v[26:27], off
	global_load_dword v5, v[26:27], off offset:32
	global_load_dword v31, v[26:27], off offset:64
	;; [unrolled: 1-line block ×3, first 2 shown]
	v_add_u32_e32 v0, 32, v0
	v_cmp_ge_i32_e32 vcc, v0, v38
	v_lshl_add_u64 v[2:3], v[2:3], 0, s[20:21]
	s_or_b64 s[18:19], vcc, s[18:19]
	s_waitcnt vmcnt(8)
	v_and_b32_e32 v65, 0xffff0000, v20
	v_lshlrev_b32_e32 v26, 16, v6
	s_waitcnt vmcnt(3)
	v_subrev_u32_e32 v1, s16, v1
	v_lshlrev_b32_e32 v27, 16, v8
	v_and_b32_e32 v53, 0xffff0000, v8
	v_and_b32_e32 v52, 0xffff0000, v6
	v_lshlrev_b32_e32 v54, 16, v7
	v_and_b32_e32 v8, 0xffff0000, v7
	v_lshlrev_b32_e32 v6, 16, v10
	v_lshlrev_b32_e32 v7, 16, v12
	v_and_b32_e32 v57, 0xffff0000, v12
	v_and_b32_e32 v56, 0xffff0000, v10
	v_lshlrev_b32_e32 v58, 16, v11
	v_and_b32_e32 v12, 0xffff0000, v11
	v_lshlrev_b32_e32 v10, 16, v14
	;; [unrolled: 6-line block ×3, first 2 shown]
	v_lshlrev_b32_e32 v15, 16, v20
	v_and_b32_e32 v64, 0xffff0000, v18
	s_waitcnt vmcnt(2)
	v_subrev_u32_e32 v5, s16, v5
	s_waitcnt vmcnt(1)
	v_subrev_u32_e32 v18, s16, v31
	;; [unrolled: 2-line block ×3, first 2 shown]
	v_lshlrev_b32_e32 v66, 2, v1
	v_lshlrev_b32_e32 v68, 2, v5
	;; [unrolled: 1-line block ×4, first 2 shown]
	v_ashrrev_i32_e32 v67, 31, v66
	v_ashrrev_i32_e32 v69, 31, v68
	;; [unrolled: 1-line block ×4, first 2 shown]
	s_waitcnt lgkmcnt(0)
	v_lshl_add_u64 v[66:67], v[66:67], 1, s[4:5]
	v_lshl_add_u64 v[68:69], v[68:69], 1, s[4:5]
	;; [unrolled: 1-line block ×4, first 2 shown]
	global_load_dwordx2 v[74:75], v[66:67], off
	global_load_dwordx2 v[76:77], v[68:69], off
	;; [unrolled: 1-line block ×4, first 2 shown]
	v_lshlrev_b32_e32 v18, 16, v22
	v_and_b32_e32 v68, 0xffff0000, v22
	v_lshlrev_b32_e32 v22, 16, v40
	v_and_b32_e32 v72, 0xffff0000, v40
	;; [unrolled: 2-line block ×4, first 2 shown]
	v_lshlrev_b32_e32 v55, 16, v9
	v_lshlrev_b32_e32 v59, 16, v13
	v_and_b32_e32 v9, 0xffff0000, v9
	v_and_b32_e32 v13, 0xffff0000, v13
	v_lshlrev_b32_e32 v63, 16, v17
	v_lshlrev_b32_e32 v67, 16, v21
	;; [unrolled: 1-line block ×3, first 2 shown]
	v_and_b32_e32 v17, 0xffff0000, v17
	v_and_b32_e32 v21, 0xffff0000, v21
	;; [unrolled: 1-line block ×3, first 2 shown]
	v_lshlrev_b32_e32 v19, 16, v24
	v_and_b32_e32 v69, 0xffff0000, v24
	v_lshlrev_b32_e32 v70, 16, v23
	v_and_b32_e32 v24, 0xffff0000, v23
	;; [unrolled: 2-line block ×3, first 2 shown]
	v_lshlrev_b32_e32 v71, 16, v25
	v_lshlrev_b32_e32 v83, 16, v43
	;; [unrolled: 1-line block ×3, first 2 shown]
	v_and_b32_e32 v25, 0xffff0000, v25
	v_and_b32_e32 v43, 0xffff0000, v43
	;; [unrolled: 1-line block ×3, first 2 shown]
	v_lshlrev_b32_e32 v41, 16, v46
	v_and_b32_e32 v85, 0xffff0000, v46
	v_lshlrev_b32_e32 v86, 16, v45
	v_and_b32_e32 v46, 0xffff0000, v45
	;; [unrolled: 2-line block ×3, first 2 shown]
	v_lshlrev_b32_e32 v87, 16, v47
	v_lshlrev_b32_e32 v91, 16, v51
	;; [unrolled: 1-line block ×3, first 2 shown]
	v_and_b32_e32 v47, 0xffff0000, v47
	v_and_b32_e32 v51, 0xffff0000, v51
	;; [unrolled: 1-line block ×3, first 2 shown]
	s_waitcnt vmcnt(3)
	v_lshlrev_b32_e32 v48, 16, v74
	v_and_b32_e32 v74, 0xffff0000, v74
	v_pk_fma_f32 v[26:27], v[26:27], v[48:49], v[34:35] op_sel_hi:[1,0,1]
	v_pk_fma_f32 v[6:7], v[6:7], v[48:49], v[36:37] op_sel_hi:[1,0,1]
	v_lshlrev_b32_e32 v92, 16, v75
	v_pk_fma_f32 v[26:27], v[52:53], v[74:75], v[26:27] op_sel_hi:[1,0,1]
	v_pk_fma_f32 v[6:7], v[56:57], v[74:75], v[6:7] op_sel_hi:[1,0,1]
	v_and_b32_e32 v94, 0xffff0000, v75
	v_pk_fma_f32 v[26:27], v[54:55], v[92:93], v[26:27] op_sel_hi:[1,0,1]
	v_pk_fma_f32 v[6:7], v[58:59], v[92:93], v[6:7] op_sel_hi:[1,0,1]
	s_waitcnt vmcnt(2)
	v_lshlrev_b32_e32 v96, 16, v76
	v_pk_fma_f32 v[8:9], v[8:9], v[94:95], v[26:27] op_sel_hi:[1,0,1]
	v_pk_fma_f32 v[6:7], v[12:13], v[94:95], v[6:7] op_sel_hi:[1,0,1]
	v_and_b32_e32 v76, 0xffff0000, v76
	v_pk_fma_f32 v[8:9], v[10:11], v[96:97], v[8:9] op_sel_hi:[1,0,1]
	v_pk_fma_f32 v[6:7], v[14:15], v[96:97], v[6:7] op_sel_hi:[1,0,1]
	v_lshlrev_b32_e32 v34, 16, v77
	v_pk_fma_f32 v[8:9], v[60:61], v[76:77], v[8:9] op_sel_hi:[1,0,1]
	v_pk_fma_f32 v[6:7], v[64:65], v[76:77], v[6:7] op_sel_hi:[1,0,1]
	v_and_b32_e32 v98, 0xffff0000, v77
	v_pk_fma_f32 v[8:9], v[62:63], v[34:35], v[8:9] op_sel_hi:[1,0,1]
	v_pk_fma_f32 v[6:7], v[66:67], v[34:35], v[6:7] op_sel_hi:[1,0,1]
	s_waitcnt vmcnt(1)
	v_lshlrev_b32_e32 v36, 16, v78
	v_pk_fma_f32 v[8:9], v[16:17], v[98:99], v[8:9] op_sel_hi:[1,0,1]
	v_pk_fma_f32 v[6:7], v[20:21], v[98:99], v[6:7] op_sel_hi:[1,0,1]
	;; [unrolled: 13-line block ×3, first 2 shown]
	v_and_b32_e32 v74, 0xffff0000, v80
	v_pk_fma_f32 v[8:9], v[40:41], v[56:57], v[8:9] op_sel_hi:[1,0,1]
	v_pk_fma_f32 v[6:7], v[44:45], v[56:57], v[6:7] op_sel_hi:[1,0,1]
	v_lshlrev_b32_e32 v54, 16, v81
	v_pk_fma_f32 v[8:9], v[84:85], v[74:75], v[8:9] op_sel_hi:[1,0,1]
	v_pk_fma_f32 v[6:7], v[88:89], v[74:75], v[6:7] op_sel_hi:[1,0,1]
	v_and_b32_e32 v80, 0xffff0000, v81
	v_pk_fma_f32 v[8:9], v[86:87], v[54:55], v[8:9] op_sel_hi:[1,0,1]
	v_pk_fma_f32 v[6:7], v[90:91], v[54:55], v[6:7] op_sel_hi:[1,0,1]
	;; [unrolled: 1-line block ×4, first 2 shown]
	s_andn2_b64 exec, exec, s[18:19]
	s_cbranch_execnz .LBB106_21
; %bb.22:
	s_or_b64 exec, exec, s[18:19]
.LBB106_23:
	s_or_b64 exec, exec, s[10:11]
.LBB106_24:
	s_or_b64 exec, exec, s[6:7]
	s_cbranch_execz .LBB106_26
	s_branch .LBB106_37
.LBB106_25:
                                        ; implicit-def: $vgpr37
                                        ; implicit-def: $vgpr35
.LBB106_26:
	v_mov_b32_e32 v37, 0
	v_mov_b32_e32 v36, 0
	;; [unrolled: 1-line block ×4, first 2 shown]
	s_and_saveexec_b64 s[6:7], s[2:3]
	s_cbranch_execz .LBB106_36
; %bb.27:
	v_add_u32_e32 v0, v4, v29
	v_subrev_u32_e32 v0, s16, v0
	v_add_u32_e32 v0, 8, v0
	v_max_i32_e32 v0, v0, v38
	v_not_b32_e32 v1, v4
	v_add3_u32 v0, s16, v0, v1
	v_sub_u32_e32 v0, v0, v29
	v_mov_b32_e32 v34, 0
	v_and_b32_e32 v1, 24, v0
	v_mov_b32_e32 v35, v34
	v_cmp_ne_u32_e32 vcc, 24, v1
	v_mov_b64_e32 v[36:37], v[34:35]
	s_and_saveexec_b64 s[2:3], vcc
	s_cbranch_execz .LBB106_31
; %bb.28:
	v_lshrrev_b32_e32 v1, 3, v0
	v_add_u32_e32 v1, 1, v1
	v_and_b32_e32 v1, 3, v1
	v_sub_u32_e32 v1, 0, v1
	s_mov_b64 s[10:11], 0
	s_mov_b64 s[18:19], 0x100
	v_mov_b32_e32 v35, v34
	v_mov_b32_e32 v36, v34
	;; [unrolled: 1-line block ×3, first 2 shown]
.LBB106_29:                             ; =>This Inner Loop Header: Depth=1
	v_ashrrev_i32_e32 v31, 31, v30
	v_lshl_add_u64 v[6:7], v[30:31], 2, s[8:9]
	global_load_dword v8, v[6:7], off
	global_load_dwordx4 v[2:5], v[32:33], off
	v_add_co_u32_e32 v1, vcc, 1, v1
	v_add_u32_e32 v30, 8, v30
	s_or_b64 s[10:11], vcc, s[10:11]
	s_waitcnt vmcnt(1)
	v_subrev_u32_e32 v6, s16, v8
	v_lshlrev_b32_e32 v6, 2, v6
	v_ashrrev_i32_e32 v7, 31, v6
	s_waitcnt lgkmcnt(0)
	v_lshl_add_u64 v[10:11], v[6:7], 1, s[4:5]
	global_load_dwordx2 v[12:13], v[10:11], off
	global_load_dwordx4 v[6:9], v[32:33], off offset:16
	s_waitcnt vmcnt(2)
	v_and_b32_e32 v11, 0xffff0000, v2
	v_lshlrev_b32_e32 v10, 16, v2
	v_and_b32_e32 v15, 0xffff0000, v3
	v_lshlrev_b32_e32 v14, 16, v3
	;; [unrolled: 2-line block ×4, first 2 shown]
	v_lshl_add_u64 v[32:33], v[32:33], 0, s[18:19]
	s_waitcnt vmcnt(1)
	v_lshlrev_b32_e32 v22, 16, v13
	s_waitcnt vmcnt(0)
	v_and_b32_e32 v19, 0xffff0000, v8
	v_lshlrev_b32_e32 v18, 16, v8
	v_lshlrev_b32_e32 v8, 16, v12
	v_and_b32_e32 v17, 0xffff0000, v6
	v_lshlrev_b32_e32 v16, 16, v6
	v_and_b32_e32 v5, 0xffff0000, v7
	;; [unrolled: 2-line block ×4, first 2 shown]
	v_pk_fma_f32 v[10:11], v[10:11], v[8:9], v[34:35] op_sel_hi:[1,0,1]
	v_pk_fma_f32 v[8:9], v[14:15], v[8:9], v[36:37] op_sel_hi:[1,0,1]
	;; [unrolled: 1-line block ×4, first 2 shown]
	v_and_b32_e32 v24, 0xffff0000, v13
	v_pk_fma_f32 v[2:3], v[16:17], v[22:23], v[2:3] op_sel_hi:[1,0,1]
	v_pk_fma_f32 v[4:5], v[4:5], v[22:23], v[8:9] op_sel_hi:[1,0,1]
	;; [unrolled: 1-line block ×4, first 2 shown]
	s_andn2_b64 exec, exec, s[10:11]
	s_cbranch_execnz .LBB106_29
; %bb.30:
	s_or_b64 exec, exec, s[10:11]
.LBB106_31:
	s_or_b64 exec, exec, s[2:3]
	v_cmp_lt_u32_e32 vcc, 23, v0
	s_and_saveexec_b64 s[2:3], vcc
	s_cbranch_execz .LBB106_35
; %bb.32:
	s_mov_b64 s[10:11], 0
	s_mov_b64 s[18:19], 0x400
.LBB106_33:                             ; =>This Inner Loop Header: Depth=1
	v_ashrrev_i32_e32 v31, 31, v30
	v_lshl_add_u64 v[44:45], v[30:31], 2, s[8:9]
	global_load_dwordx4 v[0:3], v[32:33], off
	global_load_dwordx4 v[4:7], v[32:33], off offset:16
	global_load_dwordx4 v[12:15], v[32:33], off offset:256
	;; [unrolled: 1-line block ×7, first 2 shown]
	global_load_dword v31, v[44:45], off
	global_load_dword v39, v[44:45], off offset:32
	global_load_dword v62, v[44:45], off offset:64
	;; [unrolled: 1-line block ×3, first 2 shown]
	v_add_u32_e32 v30, 32, v30
	v_cmp_ge_i32_e32 vcc, v30, v38
	v_lshl_add_u64 v[32:33], v[32:33], 0, s[18:19]
	s_or_b64 s[10:11], vcc, s[10:11]
	s_waitcnt vmcnt(11)
	v_and_b32_e32 v45, 0xffff0000, v0
	v_lshlrev_b32_e32 v44, 16, v0
	v_and_b32_e32 v47, 0xffff0000, v1
	s_waitcnt vmcnt(8)
	v_and_b32_e32 v57, 0xffff0000, v8
	v_lshlrev_b32_e32 v56, 16, v8
	s_waitcnt vmcnt(3)
	v_subrev_u32_e32 v8, s16, v31
	v_lshlrev_b32_e32 v46, 16, v1
	v_and_b32_e32 v1, 0xffff0000, v2
	v_lshlrev_b32_e32 v0, 16, v2
	v_and_b32_e32 v49, 0xffff0000, v4
	;; [unrolled: 2-line block ×11, first 2 shown]
	v_lshlrev_b32_e32 v60, 16, v15
	s_waitcnt vmcnt(2)
	v_subrev_u32_e32 v10, s16, v39
	s_waitcnt vmcnt(1)
	v_subrev_u32_e32 v15, s16, v62
	s_waitcnt vmcnt(0)
	v_subrev_u32_e32 v31, s16, v63
	v_lshlrev_b32_e32 v14, 2, v8
	v_lshlrev_b32_e32 v62, 2, v10
	;; [unrolled: 1-line block ×4, first 2 shown]
	v_ashrrev_i32_e32 v15, 31, v14
	v_ashrrev_i32_e32 v63, 31, v62
	;; [unrolled: 1-line block ×4, first 2 shown]
	s_waitcnt lgkmcnt(0)
	v_lshl_add_u64 v[14:15], v[14:15], 1, s[4:5]
	v_lshl_add_u64 v[62:63], v[62:63], 1, s[4:5]
	;; [unrolled: 1-line block ×4, first 2 shown]
	global_load_dwordx2 v[68:69], v[14:15], off
	global_load_dwordx2 v[70:71], v[62:63], off
	;; [unrolled: 1-line block ×4, first 2 shown]
	v_and_b32_e32 v83, 0xffff0000, v42
	v_lshlrev_b32_e32 v82, 16, v42
	v_and_b32_e32 v15, 0xffff0000, v9
	v_lshlrev_b32_e32 v14, 16, v9
	;; [unrolled: 2-line block ×18, first 2 shown]
	s_waitcnt vmcnt(3)
	v_lshlrev_b32_e32 v42, 16, v68
	v_and_b32_e32 v68, 0xffff0000, v68
	v_pk_fma_f32 v[34:35], v[44:45], v[42:43], v[34:35] op_sel_hi:[1,0,1]
	v_pk_fma_f32 v[36:37], v[46:47], v[42:43], v[36:37] op_sel_hi:[1,0,1]
	v_lshlrev_b32_e32 v86, 16, v69
	v_pk_fma_f32 v[0:1], v[0:1], v[68:69], v[34:35] op_sel_hi:[1,0,1]
	v_pk_fma_f32 v[36:37], v[52:53], v[68:69], v[36:37] op_sel_hi:[1,0,1]
	v_and_b32_e32 v88, 0xffff0000, v69
	v_pk_fma_f32 v[0:1], v[48:49], v[86:87], v[0:1] op_sel_hi:[1,0,1]
	v_pk_fma_f32 v[2:3], v[2:3], v[86:87], v[36:37] op_sel_hi:[1,0,1]
	s_waitcnt vmcnt(2)
	v_lshlrev_b32_e32 v90, 16, v70
	v_pk_fma_f32 v[0:1], v[50:51], v[88:89], v[0:1] op_sel_hi:[1,0,1]
	v_pk_fma_f32 v[2:3], v[4:5], v[88:89], v[2:3] op_sel_hi:[1,0,1]
	v_and_b32_e32 v70, 0xffff0000, v70
	v_pk_fma_f32 v[0:1], v[6:7], v[90:91], v[0:1] op_sel_hi:[1,0,1]
	v_pk_fma_f32 v[2:3], v[54:55], v[90:91], v[2:3] op_sel_hi:[1,0,1]
	v_lshlrev_b32_e32 v44, 16, v71
	v_pk_fma_f32 v[0:1], v[12:13], v[70:71], v[0:1] op_sel_hi:[1,0,1]
	v_pk_fma_f32 v[2:3], v[60:61], v[70:71], v[2:3] op_sel_hi:[1,0,1]
	v_and_b32_e32 v92, 0xffff0000, v71
	v_pk_fma_f32 v[0:1], v[56:57], v[44:45], v[0:1] op_sel_hi:[1,0,1]
	v_pk_fma_f32 v[2:3], v[14:15], v[44:45], v[2:3] op_sel_hi:[1,0,1]
	s_waitcnt vmcnt(1)
	v_lshlrev_b32_e32 v42, 16, v72
	v_pk_fma_f32 v[0:1], v[58:59], v[92:93], v[0:1] op_sel_hi:[1,0,1]
	v_pk_fma_f32 v[2:3], v[8:9], v[92:93], v[2:3] op_sel_hi:[1,0,1]
	;; [unrolled: 13-line block ×3, first 2 shown]
	v_and_b32_e32 v68, 0xffff0000, v74
	v_pk_fma_f32 v[0:1], v[22:23], v[52:53], v[0:1] op_sel_hi:[1,0,1]
	v_pk_fma_f32 v[2:3], v[78:79], v[52:53], v[2:3] op_sel_hi:[1,0,1]
	v_lshlrev_b32_e32 v48, 16, v75
	v_pk_fma_f32 v[0:1], v[24:25], v[68:69], v[0:1] op_sel_hi:[1,0,1]
	v_pk_fma_f32 v[2:3], v[80:81], v[68:69], v[2:3] op_sel_hi:[1,0,1]
	v_and_b32_e32 v74, 0xffff0000, v75
	v_pk_fma_f32 v[0:1], v[26:27], v[48:49], v[0:1] op_sel_hi:[1,0,1]
	v_pk_fma_f32 v[2:3], v[84:85], v[48:49], v[2:3] op_sel_hi:[1,0,1]
	;; [unrolled: 1-line block ×4, first 2 shown]
	s_andn2_b64 exec, exec, s[10:11]
	s_cbranch_execnz .LBB106_33
; %bb.34:
	s_or_b64 exec, exec, s[10:11]
.LBB106_35:
	s_or_b64 exec, exec, s[2:3]
.LBB106_36:
	s_or_b64 exec, exec, s[6:7]
.LBB106_37:
	v_mov_b32_dpp v0, v34 row_shr:1 row_mask:0xf bank_mask:0xf
	v_mov_b32_dpp v1, v35 row_shr:1 row_mask:0xf bank_mask:0xf
	;; [unrolled: 1-line block ×4, first 2 shown]
	v_pk_add_f32 v[0:1], v[34:35], v[0:1]
	v_pk_add_f32 v[4:5], v[36:37], v[4:5]
	v_cmp_eq_u32_e32 vcc, 7, v29
	v_mov_b32_dpp v2, v0 row_shr:2 row_mask:0xf bank_mask:0xf
	v_mov_b32_dpp v3, v1 row_shr:2 row_mask:0xf bank_mask:0xf
	;; [unrolled: 1-line block ×4, first 2 shown]
	v_pk_add_f32 v[0:1], v[0:1], v[2:3]
	v_pk_add_f32 v[4:5], v[4:5], v[6:7]
	s_nop 0
	v_mov_b32_dpp v2, v0 row_shr:4 row_mask:0xf bank_mask:0xe
	v_mov_b32_dpp v3, v1 row_shr:4 row_mask:0xf bank_mask:0xe
	;; [unrolled: 1-line block ×4, first 2 shown]
	s_and_b64 exec, exec, vcc
	s_cbranch_execz .LBB106_10
; %bb.38:
	s_load_dwordx2 s[0:1], s[0:1], 0x50
	v_cmp_eq_f32_e64 s[2:3], s14, 0
	v_pk_add_f32 v[2:3], v[0:1], v[2:3]
	v_pk_add_f32 v[0:1], v[4:5], v[6:7]
	s_and_b64 vcc, exec, s[2:3]
	v_lshlrev_b32_e32 v4, 2, v28
	s_cbranch_vccz .LBB106_40
; %bb.39:
	v_ashrrev_i32_e32 v5, 31, v4
	s_waitcnt lgkmcnt(0)
	v_lshl_add_u64 v[10:11], v[4:5], 2, s[0:1]
	v_pk_mul_f32 v[6:7], s[12:13], v[2:3] op_sel_hi:[0,1]
	v_pk_mul_f32 v[8:9], s[12:13], v[0:1] op_sel_hi:[0,1]
	global_store_dwordx4 v[10:11], v[6:9], off
	s_cbranch_execnz .LBB106_10
	s_branch .LBB106_41
.LBB106_40:
.LBB106_41:
	v_ashrrev_i32_e32 v5, 31, v4
	s_waitcnt lgkmcnt(0)
	v_lshl_add_u64 v[8:9], v[4:5], 2, s[0:1]
	global_load_dwordx4 v[4:7], v[8:9], off
	v_pk_mul_f32 v[2:3], s[12:13], v[2:3] op_sel_hi:[0,1]
	v_pk_mul_f32 v[10:11], s[12:13], v[0:1] op_sel_hi:[0,1]
	s_waitcnt vmcnt(0)
	v_pk_fma_f32 v[0:1], s[14:15], v[4:5], v[2:3] op_sel_hi:[0,1,1]
	v_pk_fma_f32 v[2:3], s[14:15], v[6:7], v[10:11] op_sel_hi:[0,1,1]
	global_store_dwordx4 v[8:9], v[0:3], off
	s_endpgm
	.section	.rodata,"a",@progbits
	.p2align	6, 0x0
	.amdhsa_kernel _ZN9rocsparseL18bsrxmvn_4x4_kernelILj128ELj8Efii18rocsparse_bfloat16S1_fEEvT3_20rocsparse_direction_NS_24const_host_device_scalarIT1_EES2_PKS2_PKT2_SB_S8_PKT4_PKT5_S6_PT6_21rocsparse_index_base_b
		.amdhsa_group_segment_fixed_size 0
		.amdhsa_private_segment_fixed_size 0
		.amdhsa_kernarg_size 96
		.amdhsa_user_sgpr_count 2
		.amdhsa_user_sgpr_dispatch_ptr 0
		.amdhsa_user_sgpr_queue_ptr 0
		.amdhsa_user_sgpr_kernarg_segment_ptr 1
		.amdhsa_user_sgpr_dispatch_id 0
		.amdhsa_user_sgpr_kernarg_preload_length 0
		.amdhsa_user_sgpr_kernarg_preload_offset 0
		.amdhsa_user_sgpr_private_segment_size 0
		.amdhsa_uses_dynamic_stack 0
		.amdhsa_enable_private_segment 0
		.amdhsa_system_sgpr_workgroup_id_x 1
		.amdhsa_system_sgpr_workgroup_id_y 0
		.amdhsa_system_sgpr_workgroup_id_z 0
		.amdhsa_system_sgpr_workgroup_info 0
		.amdhsa_system_vgpr_workitem_id 0
		.amdhsa_next_free_vgpr 100
		.amdhsa_next_free_sgpr 22
		.amdhsa_accum_offset 100
		.amdhsa_reserve_vcc 1
		.amdhsa_float_round_mode_32 0
		.amdhsa_float_round_mode_16_64 0
		.amdhsa_float_denorm_mode_32 3
		.amdhsa_float_denorm_mode_16_64 3
		.amdhsa_dx10_clamp 1
		.amdhsa_ieee_mode 1
		.amdhsa_fp16_overflow 0
		.amdhsa_tg_split 0
		.amdhsa_exception_fp_ieee_invalid_op 0
		.amdhsa_exception_fp_denorm_src 0
		.amdhsa_exception_fp_ieee_div_zero 0
		.amdhsa_exception_fp_ieee_overflow 0
		.amdhsa_exception_fp_ieee_underflow 0
		.amdhsa_exception_fp_ieee_inexact 0
		.amdhsa_exception_int_div_zero 0
	.end_amdhsa_kernel
	.section	.text._ZN9rocsparseL18bsrxmvn_4x4_kernelILj128ELj8Efii18rocsparse_bfloat16S1_fEEvT3_20rocsparse_direction_NS_24const_host_device_scalarIT1_EES2_PKS2_PKT2_SB_S8_PKT4_PKT5_S6_PT6_21rocsparse_index_base_b,"axG",@progbits,_ZN9rocsparseL18bsrxmvn_4x4_kernelILj128ELj8Efii18rocsparse_bfloat16S1_fEEvT3_20rocsparse_direction_NS_24const_host_device_scalarIT1_EES2_PKS2_PKT2_SB_S8_PKT4_PKT5_S6_PT6_21rocsparse_index_base_b,comdat
.Lfunc_end106:
	.size	_ZN9rocsparseL18bsrxmvn_4x4_kernelILj128ELj8Efii18rocsparse_bfloat16S1_fEEvT3_20rocsparse_direction_NS_24const_host_device_scalarIT1_EES2_PKS2_PKT2_SB_S8_PKT4_PKT5_S6_PT6_21rocsparse_index_base_b, .Lfunc_end106-_ZN9rocsparseL18bsrxmvn_4x4_kernelILj128ELj8Efii18rocsparse_bfloat16S1_fEEvT3_20rocsparse_direction_NS_24const_host_device_scalarIT1_EES2_PKS2_PKT2_SB_S8_PKT4_PKT5_S6_PT6_21rocsparse_index_base_b
                                        ; -- End function
	.set _ZN9rocsparseL18bsrxmvn_4x4_kernelILj128ELj8Efii18rocsparse_bfloat16S1_fEEvT3_20rocsparse_direction_NS_24const_host_device_scalarIT1_EES2_PKS2_PKT2_SB_S8_PKT4_PKT5_S6_PT6_21rocsparse_index_base_b.num_vgpr, 100
	.set _ZN9rocsparseL18bsrxmvn_4x4_kernelILj128ELj8Efii18rocsparse_bfloat16S1_fEEvT3_20rocsparse_direction_NS_24const_host_device_scalarIT1_EES2_PKS2_PKT2_SB_S8_PKT4_PKT5_S6_PT6_21rocsparse_index_base_b.num_agpr, 0
	.set _ZN9rocsparseL18bsrxmvn_4x4_kernelILj128ELj8Efii18rocsparse_bfloat16S1_fEEvT3_20rocsparse_direction_NS_24const_host_device_scalarIT1_EES2_PKS2_PKT2_SB_S8_PKT4_PKT5_S6_PT6_21rocsparse_index_base_b.numbered_sgpr, 22
	.set _ZN9rocsparseL18bsrxmvn_4x4_kernelILj128ELj8Efii18rocsparse_bfloat16S1_fEEvT3_20rocsparse_direction_NS_24const_host_device_scalarIT1_EES2_PKS2_PKT2_SB_S8_PKT4_PKT5_S6_PT6_21rocsparse_index_base_b.num_named_barrier, 0
	.set _ZN9rocsparseL18bsrxmvn_4x4_kernelILj128ELj8Efii18rocsparse_bfloat16S1_fEEvT3_20rocsparse_direction_NS_24const_host_device_scalarIT1_EES2_PKS2_PKT2_SB_S8_PKT4_PKT5_S6_PT6_21rocsparse_index_base_b.private_seg_size, 0
	.set _ZN9rocsparseL18bsrxmvn_4x4_kernelILj128ELj8Efii18rocsparse_bfloat16S1_fEEvT3_20rocsparse_direction_NS_24const_host_device_scalarIT1_EES2_PKS2_PKT2_SB_S8_PKT4_PKT5_S6_PT6_21rocsparse_index_base_b.uses_vcc, 1
	.set _ZN9rocsparseL18bsrxmvn_4x4_kernelILj128ELj8Efii18rocsparse_bfloat16S1_fEEvT3_20rocsparse_direction_NS_24const_host_device_scalarIT1_EES2_PKS2_PKT2_SB_S8_PKT4_PKT5_S6_PT6_21rocsparse_index_base_b.uses_flat_scratch, 0
	.set _ZN9rocsparseL18bsrxmvn_4x4_kernelILj128ELj8Efii18rocsparse_bfloat16S1_fEEvT3_20rocsparse_direction_NS_24const_host_device_scalarIT1_EES2_PKS2_PKT2_SB_S8_PKT4_PKT5_S6_PT6_21rocsparse_index_base_b.has_dyn_sized_stack, 0
	.set _ZN9rocsparseL18bsrxmvn_4x4_kernelILj128ELj8Efii18rocsparse_bfloat16S1_fEEvT3_20rocsparse_direction_NS_24const_host_device_scalarIT1_EES2_PKS2_PKT2_SB_S8_PKT4_PKT5_S6_PT6_21rocsparse_index_base_b.has_recursion, 0
	.set _ZN9rocsparseL18bsrxmvn_4x4_kernelILj128ELj8Efii18rocsparse_bfloat16S1_fEEvT3_20rocsparse_direction_NS_24const_host_device_scalarIT1_EES2_PKS2_PKT2_SB_S8_PKT4_PKT5_S6_PT6_21rocsparse_index_base_b.has_indirect_call, 0
	.section	.AMDGPU.csdata,"",@progbits
; Kernel info:
; codeLenInByte = 3720
; TotalNumSgprs: 28
; NumVgprs: 100
; NumAgprs: 0
; TotalNumVgprs: 100
; ScratchSize: 0
; MemoryBound: 0
; FloatMode: 240
; IeeeMode: 1
; LDSByteSize: 0 bytes/workgroup (compile time only)
; SGPRBlocks: 3
; VGPRBlocks: 12
; NumSGPRsForWavesPerEU: 28
; NumVGPRsForWavesPerEU: 100
; AccumOffset: 100
; Occupancy: 4
; WaveLimiterHint : 1
; COMPUTE_PGM_RSRC2:SCRATCH_EN: 0
; COMPUTE_PGM_RSRC2:USER_SGPR: 2
; COMPUTE_PGM_RSRC2:TRAP_HANDLER: 0
; COMPUTE_PGM_RSRC2:TGID_X_EN: 1
; COMPUTE_PGM_RSRC2:TGID_Y_EN: 0
; COMPUTE_PGM_RSRC2:TGID_Z_EN: 0
; COMPUTE_PGM_RSRC2:TIDIG_COMP_CNT: 0
; COMPUTE_PGM_RSRC3_GFX90A:ACCUM_OFFSET: 24
; COMPUTE_PGM_RSRC3_GFX90A:TG_SPLIT: 0
	.section	.text._ZN9rocsparseL18bsrxmvn_4x4_kernelILj128ELj16Efii18rocsparse_bfloat16S1_fEEvT3_20rocsparse_direction_NS_24const_host_device_scalarIT1_EES2_PKS2_PKT2_SB_S8_PKT4_PKT5_S6_PT6_21rocsparse_index_base_b,"axG",@progbits,_ZN9rocsparseL18bsrxmvn_4x4_kernelILj128ELj16Efii18rocsparse_bfloat16S1_fEEvT3_20rocsparse_direction_NS_24const_host_device_scalarIT1_EES2_PKS2_PKT2_SB_S8_PKT4_PKT5_S6_PT6_21rocsparse_index_base_b,comdat
	.globl	_ZN9rocsparseL18bsrxmvn_4x4_kernelILj128ELj16Efii18rocsparse_bfloat16S1_fEEvT3_20rocsparse_direction_NS_24const_host_device_scalarIT1_EES2_PKS2_PKT2_SB_S8_PKT4_PKT5_S6_PT6_21rocsparse_index_base_b ; -- Begin function _ZN9rocsparseL18bsrxmvn_4x4_kernelILj128ELj16Efii18rocsparse_bfloat16S1_fEEvT3_20rocsparse_direction_NS_24const_host_device_scalarIT1_EES2_PKS2_PKT2_SB_S8_PKT4_PKT5_S6_PT6_21rocsparse_index_base_b
	.p2align	8
	.type	_ZN9rocsparseL18bsrxmvn_4x4_kernelILj128ELj16Efii18rocsparse_bfloat16S1_fEEvT3_20rocsparse_direction_NS_24const_host_device_scalarIT1_EES2_PKS2_PKT2_SB_S8_PKT4_PKT5_S6_PT6_21rocsparse_index_base_b,@function
_ZN9rocsparseL18bsrxmvn_4x4_kernelILj128ELj16Efii18rocsparse_bfloat16S1_fEEvT3_20rocsparse_direction_NS_24const_host_device_scalarIT1_EES2_PKS2_PKT2_SB_S8_PKT4_PKT5_S6_PT6_21rocsparse_index_base_b: ; @_ZN9rocsparseL18bsrxmvn_4x4_kernelILj128ELj16Efii18rocsparse_bfloat16S1_fEEvT3_20rocsparse_direction_NS_24const_host_device_scalarIT1_EES2_PKS2_PKT2_SB_S8_PKT4_PKT5_S6_PT6_21rocsparse_index_base_b
; %bb.0:
	s_load_dwordx2 s[16:17], s[0:1], 0x58
	s_load_dwordx2 s[12:13], s[0:1], 0x8
	;; [unrolled: 1-line block ×3, first 2 shown]
	s_waitcnt lgkmcnt(0)
	s_bitcmp1_b32 s17, 0
	s_cselect_b64 s[6:7], -1, 0
	s_xor_b64 s[4:5], s[6:7], -1
	s_and_b64 vcc, exec, s[6:7]
	s_cbranch_vccnz .LBB107_2
; %bb.1:
	s_load_dword s12, s[12:13], 0x0
.LBB107_2:
	s_andn2_b64 vcc, exec, s[4:5]
	s_cbranch_vccnz .LBB107_4
; %bb.3:
	s_load_dword s14, s[14:15], 0x0
.LBB107_4:
	s_waitcnt lgkmcnt(0)
	v_cmp_neq_f32_e64 s[4:5], s12, 0
	v_cmp_neq_f32_e64 s[6:7], s14, 1.0
	s_or_b64 s[4:5], s[4:5], s[6:7]
	s_andn2_b64 vcc, exec, s[4:5]
	s_cbranch_vccnz .LBB107_10
; %bb.5:
	s_load_dwordx2 s[4:5], s[0:1], 0x18
	s_load_dwordx2 s[18:19], s[0:1], 0x0
	v_lshrrev_b32_e32 v1, 4, v0
	v_lshl_or_b32 v28, s2, 3, v1
	s_mov_b64 s[2:3], 0
	s_waitcnt lgkmcnt(0)
	s_cmp_lg_u64 s[4:5], 0
	s_cbranch_scc0 .LBB107_11
; %bb.6:
	s_load_dword s6, s[0:1], 0x10
                                        ; implicit-def: $vgpr1
	s_waitcnt lgkmcnt(0)
	v_cmp_gt_i32_e32 vcc, s6, v28
	s_and_saveexec_b64 s[6:7], vcc
	s_xor_b64 s[6:7], exec, s[6:7]
	s_cbranch_execz .LBB107_8
; %bb.7:
	v_ashrrev_i32_e32 v29, 31, v28
	v_lshl_add_u64 v[2:3], v[28:29], 2, s[4:5]
	global_load_dword v1, v[2:3], off
	s_mov_b64 s[2:3], exec
	s_waitcnt vmcnt(0)
	v_subrev_u32_e32 v1, s16, v1
.LBB107_8:
	s_or_b64 exec, exec, s[6:7]
	s_branch .LBB107_12
.LBB107_9:
	v_cmp_gt_i32_e32 vcc, s18, v28
	s_andn2_b64 s[2:3], s[2:3], exec
	s_and_b64 s[4:5], vcc, exec
	s_or_b64 s[2:3], s[2:3], s[4:5]
	s_and_saveexec_b64 s[4:5], s[2:3]
	s_cbranch_execnz .LBB107_13
.LBB107_10:
	s_endpgm
.LBB107_11:
                                        ; implicit-def: $vgpr1
	s_cbranch_execnz .LBB107_9
.LBB107_12:
	v_mov_b32_e32 v28, v1
	s_and_saveexec_b64 s[4:5], s[2:3]
	s_cbranch_execz .LBB107_10
.LBB107_13:
	s_load_dwordx8 s[4:11], s[0:1], 0x20
	v_ashrrev_i32_e32 v29, 31, v28
	v_lshlrev_b64 v[2:3], 2, v[28:29]
	v_and_b32_e32 v29, 15, v0
	s_waitcnt lgkmcnt(0)
	v_lshl_add_u64 v[4:5], s[4:5], 0, v[2:3]
	s_cmp_eq_u64 s[6:7], 0
	global_load_dword v8, v[4:5], off
	v_lshl_add_u64 v[4:5], v[4:5], 0, 4
	v_lshl_add_u64 v[2:3], s[6:7], 0, v[2:3]
	s_cselect_b64 vcc, -1, 0
	v_cndmask_b32_e32 v3, v3, v5, vcc
	v_cndmask_b32_e32 v2, v2, v4, vcc
	global_load_dword v1, v[2:3], off
	s_load_dwordx2 s[4:5], s[0:1], 0x40
	s_cmp_eq_u32 s19, 1
	s_waitcnt vmcnt(1)
	v_subrev_u32_e32 v0, s16, v8
	v_add_u32_e32 v30, v0, v29
	v_ashrrev_i32_e32 v31, 31, v30
	s_waitcnt vmcnt(0)
	v_subrev_u32_e32 v38, s16, v1
	v_lshlrev_b64 v[0:1], 5, v[30:31]
	v_lshl_add_u64 v[32:33], s[10:11], 0, v[0:1]
	v_cmp_lt_i32_e64 s[2:3], v30, v38
	s_cbranch_scc1 .LBB107_25
; %bb.14:
	v_mov_b32_e32 v35, 0
	v_mov_b32_e32 v34, 0
	;; [unrolled: 1-line block ×4, first 2 shown]
	s_and_saveexec_b64 s[6:7], s[2:3]
	s_cbranch_execz .LBB107_24
; %bb.15:
	v_add_u32_e32 v0, v8, v29
	v_subrev_u32_e32 v0, s16, v0
	v_add_u32_e32 v0, 16, v0
	v_max_i32_e32 v0, v0, v38
	v_not_b32_e32 v1, v8
	v_add3_u32 v0, s16, v0, v1
	v_sub_u32_e32 v0, v0, v29
	v_and_b32_e32 v1, 48, v0
	v_mov_b32_e32 v36, 0
	v_cmp_ne_u32_e32 vcc, 48, v1
	v_mov_b32_e32 v37, v36
	v_mov_b32_e32 v34, v36
	;; [unrolled: 1-line block ×4, first 2 shown]
	v_mov_b64_e32 v[6:7], v[32:33]
	s_and_saveexec_b64 s[10:11], vcc
	s_cbranch_execz .LBB107_19
; %bb.16:
	v_lshrrev_b32_e32 v1, 4, v0
	v_add_u32_e32 v1, 1, v1
	v_and_b32_e32 v1, 3, v1
	v_mov_b32_e32 v35, 0
	v_sub_u32_e32 v1, 0, v1
	s_mov_b64 s[18:19], 0
	s_mov_b64 s[20:21], 0x200
	v_mov_b64_e32 v[6:7], v[32:33]
	v_mov_b32_e32 v4, v30
	v_mov_b32_e32 v34, v35
	;; [unrolled: 1-line block ×4, first 2 shown]
.LBB107_17:                             ; =>This Inner Loop Header: Depth=1
	v_ashrrev_i32_e32 v5, 31, v4
	v_lshl_add_u64 v[2:3], v[4:5], 2, s[8:9]
	global_load_dword v5, v[2:3], off
	global_load_dwordx4 v[10:13], v[6:7], off
	global_load_dwordx4 v[14:17], v[6:7], off offset:16
	v_add_co_u32_e32 v1, vcc, 1, v1
	v_lshl_add_u64 v[6:7], v[6:7], 0, s[20:21]
	v_add_u32_e32 v4, 16, v4
	s_or_b64 s[18:19], vcc, s[18:19]
	s_waitcnt vmcnt(2)
	v_subrev_u32_e32 v2, s16, v5
	v_lshlrev_b32_e32 v2, 2, v2
	v_ashrrev_i32_e32 v3, 31, v2
	s_waitcnt lgkmcnt(0)
	v_lshl_add_u64 v[2:3], v[2:3], 1, s[4:5]
	global_load_dwordx2 v[2:3], v[2:3], off
	s_waitcnt vmcnt(2)
	v_and_b32_e32 v18, 0xffff0000, v10
	v_lshlrev_b32_e32 v21, 16, v12
	v_lshlrev_b32_e32 v20, 16, v10
	s_waitcnt vmcnt(1)
	v_and_b32_e32 v10, 0xffff0000, v14
	v_lshlrev_b32_e32 v25, 16, v16
	v_lshlrev_b32_e32 v24, 16, v14
	v_and_b32_e32 v19, 0xffff0000, v12
	v_lshlrev_b32_e32 v22, 16, v11
	v_and_b32_e32 v12, 0xffff0000, v11
	v_and_b32_e32 v11, 0xffff0000, v16
	v_lshlrev_b32_e32 v26, 16, v15
	v_and_b32_e32 v16, 0xffff0000, v15
	v_lshlrev_b32_e32 v23, 16, v13
	v_lshlrev_b32_e32 v27, 16, v17
	v_and_b32_e32 v13, 0xffff0000, v13
	v_and_b32_e32 v17, 0xffff0000, v17
	s_waitcnt vmcnt(0)
	v_lshlrev_b32_e32 v14, 16, v2
	v_and_b32_e32 v2, 0xffff0000, v2
	v_pk_fma_f32 v[20:21], v[20:21], v[14:15], v[36:37] op_sel_hi:[1,0,1]
	v_pk_fma_f32 v[14:15], v[24:25], v[14:15], v[34:35] op_sel_hi:[1,0,1]
	v_lshlrev_b32_e32 v40, 16, v3
	v_and_b32_e32 v42, 0xffff0000, v3
	v_pk_fma_f32 v[18:19], v[18:19], v[2:3], v[20:21] op_sel_hi:[1,0,1]
	v_pk_fma_f32 v[2:3], v[10:11], v[2:3], v[14:15] op_sel_hi:[1,0,1]
	;; [unrolled: 1-line block ×6, first 2 shown]
	s_andn2_b64 exec, exec, s[18:19]
	s_cbranch_execnz .LBB107_17
; %bb.18:
	s_or_b64 exec, exec, s[18:19]
.LBB107_19:
	s_or_b64 exec, exec, s[10:11]
	v_cmp_lt_u32_e32 vcc, 47, v0
	s_and_saveexec_b64 s[10:11], vcc
	s_cbranch_execz .LBB107_23
; %bb.20:
	s_mov_b64 s[18:19], 0
	s_mov_b64 s[20:21], 0x800
.LBB107_21:                             ; =>This Inner Loop Header: Depth=1
	v_ashrrev_i32_e32 v5, 31, v4
	v_lshl_add_u64 v[26:27], v[4:5], 2, s[8:9]
	global_load_dwordx4 v[0:3], v[6:7], off
	global_load_dwordx4 v[10:13], v[6:7], off offset:16
	global_load_dwordx4 v[14:17], v[6:7], off offset:512
	;; [unrolled: 1-line block ×7, first 2 shown]
	global_load_dword v5, v[26:27], off
	global_load_dword v9, v[26:27], off offset:64
	global_load_dword v31, v[26:27], off offset:128
	;; [unrolled: 1-line block ×3, first 2 shown]
	v_add_u32_e32 v4, 64, v4
	v_cmp_ge_i32_e32 vcc, v4, v38
	v_lshl_add_u64 v[6:7], v[6:7], 0, s[20:21]
	s_or_b64 s[18:19], vcc, s[18:19]
	s_waitcnt vmcnt(8)
	v_lshlrev_b32_e32 v65, 16, v20
	v_and_b32_e32 v26, 0xffff0000, v0
	s_waitcnt vmcnt(3)
	v_subrev_u32_e32 v5, s16, v5
	v_lshlrev_b32_e32 v53, 16, v2
	v_lshlrev_b32_e32 v52, 16, v0
	v_and_b32_e32 v27, 0xffff0000, v2
	v_lshlrev_b32_e32 v54, 16, v1
	v_and_b32_e32 v2, 0xffff0000, v1
	v_and_b32_e32 v0, 0xffff0000, v10
	v_lshlrev_b32_e32 v57, 16, v12
	v_lshlrev_b32_e32 v56, 16, v10
	v_and_b32_e32 v1, 0xffff0000, v12
	v_lshlrev_b32_e32 v58, 16, v11
	v_and_b32_e32 v12, 0xffff0000, v11
	v_and_b32_e32 v10, 0xffff0000, v14
	;; [unrolled: 6-line block ×3, first 2 shown]
	v_lshlrev_b32_e32 v64, 16, v18
	v_and_b32_e32 v15, 0xffff0000, v20
	s_waitcnt vmcnt(2)
	v_subrev_u32_e32 v9, s16, v9
	s_waitcnt vmcnt(1)
	v_subrev_u32_e32 v18, s16, v31
	;; [unrolled: 2-line block ×3, first 2 shown]
	v_lshlrev_b32_e32 v66, 2, v5
	v_lshlrev_b32_e32 v68, 2, v9
	;; [unrolled: 1-line block ×4, first 2 shown]
	v_ashrrev_i32_e32 v67, 31, v66
	v_ashrrev_i32_e32 v69, 31, v68
	;; [unrolled: 1-line block ×4, first 2 shown]
	s_waitcnt lgkmcnt(0)
	v_lshl_add_u64 v[66:67], v[66:67], 1, s[4:5]
	v_lshl_add_u64 v[68:69], v[68:69], 1, s[4:5]
	;; [unrolled: 1-line block ×4, first 2 shown]
	global_load_dwordx2 v[74:75], v[66:67], off
	global_load_dwordx2 v[76:77], v[68:69], off
	;; [unrolled: 1-line block ×4, first 2 shown]
	v_and_b32_e32 v18, 0xffff0000, v22
	v_lshlrev_b32_e32 v68, 16, v22
	v_and_b32_e32 v22, 0xffff0000, v40
	v_lshlrev_b32_e32 v72, 16, v40
	;; [unrolled: 2-line block ×4, first 2 shown]
	v_lshlrev_b32_e32 v55, 16, v3
	v_lshlrev_b32_e32 v59, 16, v13
	v_and_b32_e32 v3, 0xffff0000, v3
	v_and_b32_e32 v13, 0xffff0000, v13
	v_lshlrev_b32_e32 v63, 16, v17
	v_lshlrev_b32_e32 v67, 16, v21
	;; [unrolled: 1-line block ×3, first 2 shown]
	v_and_b32_e32 v17, 0xffff0000, v17
	v_and_b32_e32 v21, 0xffff0000, v21
	;; [unrolled: 1-line block ×3, first 2 shown]
	v_lshlrev_b32_e32 v69, 16, v24
	v_lshlrev_b32_e32 v73, 16, v42
	v_and_b32_e32 v19, 0xffff0000, v24
	v_lshlrev_b32_e32 v70, 16, v23
	v_and_b32_e32 v24, 0xffff0000, v23
	v_and_b32_e32 v23, 0xffff0000, v42
	v_lshlrev_b32_e32 v71, 16, v25
	v_lshlrev_b32_e32 v83, 16, v43
	v_lshlrev_b32_e32 v82, 16, v41
	v_and_b32_e32 v25, 0xffff0000, v25
	v_and_b32_e32 v43, 0xffff0000, v43
	;; [unrolled: 1-line block ×3, first 2 shown]
	v_lshlrev_b32_e32 v85, 16, v46
	v_lshlrev_b32_e32 v89, 16, v50
	v_and_b32_e32 v41, 0xffff0000, v46
	v_lshlrev_b32_e32 v86, 16, v45
	v_and_b32_e32 v46, 0xffff0000, v45
	v_and_b32_e32 v45, 0xffff0000, v50
	v_lshlrev_b32_e32 v87, 16, v47
	v_lshlrev_b32_e32 v91, 16, v51
	;; [unrolled: 1-line block ×3, first 2 shown]
	v_and_b32_e32 v47, 0xffff0000, v47
	v_and_b32_e32 v51, 0xffff0000, v51
	;; [unrolled: 1-line block ×3, first 2 shown]
	s_waitcnt vmcnt(3)
	v_lshlrev_b32_e32 v48, 16, v74
	v_and_b32_e32 v74, 0xffff0000, v74
	v_pk_fma_f32 v[36:37], v[52:53], v[48:49], v[36:37] op_sel_hi:[1,0,1]
	v_pk_fma_f32 v[34:35], v[56:57], v[48:49], v[34:35] op_sel_hi:[1,0,1]
	v_lshlrev_b32_e32 v92, 16, v75
	v_pk_fma_f32 v[26:27], v[26:27], v[74:75], v[36:37] op_sel_hi:[1,0,1]
	v_pk_fma_f32 v[0:1], v[0:1], v[74:75], v[34:35] op_sel_hi:[1,0,1]
	v_and_b32_e32 v94, 0xffff0000, v75
	v_pk_fma_f32 v[26:27], v[54:55], v[92:93], v[26:27] op_sel_hi:[1,0,1]
	v_pk_fma_f32 v[0:1], v[58:59], v[92:93], v[0:1] op_sel_hi:[1,0,1]
	s_waitcnt vmcnt(2)
	v_lshlrev_b32_e32 v96, 16, v76
	v_pk_fma_f32 v[2:3], v[2:3], v[94:95], v[26:27] op_sel_hi:[1,0,1]
	v_pk_fma_f32 v[0:1], v[12:13], v[94:95], v[0:1] op_sel_hi:[1,0,1]
	v_and_b32_e32 v76, 0xffff0000, v76
	v_pk_fma_f32 v[2:3], v[60:61], v[96:97], v[2:3] op_sel_hi:[1,0,1]
	v_pk_fma_f32 v[0:1], v[64:65], v[96:97], v[0:1] op_sel_hi:[1,0,1]
	v_lshlrev_b32_e32 v52, 16, v77
	v_pk_fma_f32 v[2:3], v[10:11], v[76:77], v[2:3] op_sel_hi:[1,0,1]
	v_pk_fma_f32 v[0:1], v[14:15], v[76:77], v[0:1] op_sel_hi:[1,0,1]
	v_and_b32_e32 v98, 0xffff0000, v77
	v_pk_fma_f32 v[2:3], v[62:63], v[52:53], v[2:3] op_sel_hi:[1,0,1]
	v_pk_fma_f32 v[0:1], v[66:67], v[52:53], v[0:1] op_sel_hi:[1,0,1]
	s_waitcnt vmcnt(1)
	v_lshlrev_b32_e32 v48, 16, v78
	v_pk_fma_f32 v[2:3], v[16:17], v[98:99], v[2:3] op_sel_hi:[1,0,1]
	v_pk_fma_f32 v[0:1], v[20:21], v[98:99], v[0:1] op_sel_hi:[1,0,1]
	;; [unrolled: 13-line block ×3, first 2 shown]
	v_and_b32_e32 v74, 0xffff0000, v80
	v_pk_fma_f32 v[2:3], v[84:85], v[34:35], v[2:3] op_sel_hi:[1,0,1]
	v_pk_fma_f32 v[0:1], v[88:89], v[34:35], v[0:1] op_sel_hi:[1,0,1]
	v_lshlrev_b32_e32 v54, 16, v81
	v_pk_fma_f32 v[2:3], v[40:41], v[74:75], v[2:3] op_sel_hi:[1,0,1]
	v_pk_fma_f32 v[0:1], v[44:45], v[74:75], v[0:1] op_sel_hi:[1,0,1]
	v_and_b32_e32 v80, 0xffff0000, v81
	v_pk_fma_f32 v[2:3], v[86:87], v[54:55], v[2:3] op_sel_hi:[1,0,1]
	v_pk_fma_f32 v[0:1], v[90:91], v[54:55], v[0:1] op_sel_hi:[1,0,1]
	;; [unrolled: 1-line block ×4, first 2 shown]
	s_andn2_b64 exec, exec, s[18:19]
	s_cbranch_execnz .LBB107_21
; %bb.22:
	s_or_b64 exec, exec, s[18:19]
.LBB107_23:
	s_or_b64 exec, exec, s[10:11]
.LBB107_24:
	s_or_b64 exec, exec, s[6:7]
	s_cbranch_execz .LBB107_26
	s_branch .LBB107_37
.LBB107_25:
                                        ; implicit-def: $vgpr35
                                        ; implicit-def: $vgpr37
.LBB107_26:
	v_mov_b32_e32 v35, 0
	v_mov_b32_e32 v34, 0
	;; [unrolled: 1-line block ×4, first 2 shown]
	s_and_saveexec_b64 s[6:7], s[2:3]
	s_cbranch_execz .LBB107_36
; %bb.27:
	v_add_u32_e32 v0, v8, v29
	v_subrev_u32_e32 v0, s16, v0
	v_add_u32_e32 v0, 16, v0
	v_max_i32_e32 v0, v0, v38
	v_not_b32_e32 v1, v8
	v_add3_u32 v0, s16, v0, v1
	v_sub_u32_e32 v0, v0, v29
	v_and_b32_e32 v1, 48, v0
	v_mov_b32_e32 v36, 0
	v_cmp_ne_u32_e32 vcc, 48, v1
	v_mov_b32_e32 v37, v36
	v_mov_b32_e32 v34, v36
	v_mov_b32_e32 v35, v36
	s_and_saveexec_b64 s[2:3], vcc
	s_cbranch_execz .LBB107_31
; %bb.28:
	v_lshrrev_b32_e32 v1, 4, v0
	v_add_u32_e32 v1, 1, v1
	v_and_b32_e32 v1, 3, v1
	v_mov_b32_e32 v35, 0
	v_sub_u32_e32 v1, 0, v1
	s_mov_b64 s[10:11], 0
	s_mov_b64 s[18:19], 0x200
	v_mov_b32_e32 v34, v35
	v_mov_b32_e32 v37, v35
	;; [unrolled: 1-line block ×3, first 2 shown]
.LBB107_29:                             ; =>This Inner Loop Header: Depth=1
	v_ashrrev_i32_e32 v31, 31, v30
	v_lshl_add_u64 v[6:7], v[30:31], 2, s[8:9]
	global_load_dword v8, v[6:7], off
	global_load_dwordx4 v[2:5], v[32:33], off
	v_add_co_u32_e32 v1, vcc, 1, v1
	v_add_u32_e32 v30, 16, v30
	s_or_b64 s[10:11], vcc, s[10:11]
	s_waitcnt vmcnt(1)
	v_subrev_u32_e32 v6, s16, v8
	v_lshlrev_b32_e32 v6, 2, v6
	v_ashrrev_i32_e32 v7, 31, v6
	s_waitcnt lgkmcnt(0)
	v_lshl_add_u64 v[10:11], v[6:7], 1, s[4:5]
	global_load_dwordx2 v[12:13], v[10:11], off
	global_load_dwordx4 v[6:9], v[32:33], off offset:16
	s_waitcnt vmcnt(2)
	v_and_b32_e32 v11, 0xffff0000, v2
	v_lshlrev_b32_e32 v10, 16, v2
	v_and_b32_e32 v15, 0xffff0000, v3
	v_lshlrev_b32_e32 v14, 16, v3
	;; [unrolled: 2-line block ×4, first 2 shown]
	v_lshl_add_u64 v[32:33], v[32:33], 0, s[18:19]
	s_waitcnt vmcnt(1)
	v_lshlrev_b32_e32 v22, 16, v13
	s_waitcnt vmcnt(0)
	v_and_b32_e32 v19, 0xffff0000, v8
	v_lshlrev_b32_e32 v18, 16, v8
	v_lshlrev_b32_e32 v8, 16, v12
	v_and_b32_e32 v5, 0xffff0000, v6
	v_lshlrev_b32_e32 v4, 16, v6
	v_and_b32_e32 v21, 0xffff0000, v7
	;; [unrolled: 2-line block ×4, first 2 shown]
	v_pk_fma_f32 v[10:11], v[10:11], v[8:9], v[36:37] op_sel_hi:[1,0,1]
	v_pk_fma_f32 v[8:9], v[14:15], v[8:9], v[34:35] op_sel_hi:[1,0,1]
	;; [unrolled: 1-line block ×4, first 2 shown]
	v_and_b32_e32 v24, 0xffff0000, v13
	v_pk_fma_f32 v[2:3], v[4:5], v[22:23], v[2:3] op_sel_hi:[1,0,1]
	v_pk_fma_f32 v[4:5], v[20:21], v[22:23], v[8:9] op_sel_hi:[1,0,1]
	;; [unrolled: 1-line block ×4, first 2 shown]
	s_andn2_b64 exec, exec, s[10:11]
	s_cbranch_execnz .LBB107_29
; %bb.30:
	s_or_b64 exec, exec, s[10:11]
.LBB107_31:
	s_or_b64 exec, exec, s[2:3]
	v_cmp_lt_u32_e32 vcc, 47, v0
	s_and_saveexec_b64 s[2:3], vcc
	s_cbranch_execz .LBB107_35
; %bb.32:
	s_mov_b64 s[10:11], 0
	s_mov_b64 s[18:19], 0x800
.LBB107_33:                             ; =>This Inner Loop Header: Depth=1
	v_ashrrev_i32_e32 v31, 31, v30
	v_lshl_add_u64 v[44:45], v[30:31], 2, s[8:9]
	global_load_dwordx4 v[0:3], v[32:33], off
	global_load_dwordx4 v[4:7], v[32:33], off offset:16
	global_load_dwordx4 v[12:15], v[32:33], off offset:512
	;; [unrolled: 1-line block ×7, first 2 shown]
	global_load_dword v31, v[44:45], off
	global_load_dword v39, v[44:45], off offset:64
	global_load_dword v60, v[44:45], off offset:128
	;; [unrolled: 1-line block ×3, first 2 shown]
	v_add_u32_e32 v30, 64, v30
	v_cmp_ge_i32_e32 vcc, v30, v38
	v_lshl_add_u64 v[32:33], v[32:33], 0, s[18:19]
	s_or_b64 s[10:11], vcc, s[10:11]
	s_waitcnt vmcnt(11)
	v_and_b32_e32 v45, 0xffff0000, v0
	v_lshlrev_b32_e32 v44, 16, v0
	v_and_b32_e32 v47, 0xffff0000, v1
	v_lshlrev_b32_e32 v46, 16, v1
	v_and_b32_e32 v1, 0xffff0000, v2
	v_lshlrev_b32_e32 v0, 16, v2
	v_and_b32_e32 v49, 0xffff0000, v3
	v_lshlrev_b32_e32 v48, 16, v3
	s_waitcnt vmcnt(10)
	v_and_b32_e32 v3, 0xffff0000, v4
	v_lshlrev_b32_e32 v2, 16, v4
	v_and_b32_e32 v51, 0xffff0000, v6
	v_lshlrev_b32_e32 v50, 16, v6
	v_and_b32_e32 v53, 0xffff0000, v5
	v_lshlrev_b32_e32 v52, 16, v5
	v_and_b32_e32 v5, 0xffff0000, v7
	v_lshlrev_b32_e32 v4, 16, v7
	;; [unrolled: 9-line block ×3, first 2 shown]
	s_waitcnt vmcnt(8)
	v_and_b32_e32 v15, 0xffff0000, v8
	v_lshlrev_b32_e32 v14, 16, v8
	s_waitcnt vmcnt(3)
	v_subrev_u32_e32 v8, s16, v31
	v_and_b32_e32 v59, 0xffff0000, v10
	v_lshlrev_b32_e32 v58, 16, v10
	s_waitcnt vmcnt(2)
	v_subrev_u32_e32 v10, s16, v39
	s_waitcnt vmcnt(1)
	v_subrev_u32_e32 v31, s16, v60
	;; [unrolled: 2-line block ×3, first 2 shown]
	v_lshlrev_b32_e32 v60, 2, v8
	v_lshlrev_b32_e32 v62, 2, v10
	;; [unrolled: 1-line block ×4, first 2 shown]
	v_ashrrev_i32_e32 v61, 31, v60
	v_ashrrev_i32_e32 v63, 31, v62
	;; [unrolled: 1-line block ×4, first 2 shown]
	s_waitcnt lgkmcnt(0)
	v_lshl_add_u64 v[60:61], v[60:61], 1, s[4:5]
	v_lshl_add_u64 v[62:63], v[62:63], 1, s[4:5]
	;; [unrolled: 1-line block ×4, first 2 shown]
	global_load_dwordx2 v[68:69], v[60:61], off
	global_load_dwordx2 v[70:71], v[62:63], off
	;; [unrolled: 1-line block ×4, first 2 shown]
	v_and_b32_e32 v83, 0xffff0000, v42
	v_lshlrev_b32_e32 v82, 16, v42
	v_and_b32_e32 v61, 0xffff0000, v9
	v_lshlrev_b32_e32 v60, 16, v9
	;; [unrolled: 2-line block ×18, first 2 shown]
	s_waitcnt vmcnt(3)
	v_lshlrev_b32_e32 v42, 16, v68
	v_and_b32_e32 v68, 0xffff0000, v68
	v_pk_fma_f32 v[36:37], v[44:45], v[42:43], v[36:37] op_sel_hi:[1,0,1]
	v_pk_fma_f32 v[34:35], v[46:47], v[42:43], v[34:35] op_sel_hi:[1,0,1]
	v_lshlrev_b32_e32 v86, 16, v69
	v_pk_fma_f32 v[0:1], v[0:1], v[68:69], v[36:37] op_sel_hi:[1,0,1]
	v_pk_fma_f32 v[34:35], v[48:49], v[68:69], v[34:35] op_sel_hi:[1,0,1]
	v_and_b32_e32 v88, 0xffff0000, v69
	v_pk_fma_f32 v[0:1], v[2:3], v[86:87], v[0:1] op_sel_hi:[1,0,1]
	v_pk_fma_f32 v[34:35], v[52:53], v[86:87], v[34:35] op_sel_hi:[1,0,1]
	s_waitcnt vmcnt(2)
	v_lshlrev_b32_e32 v90, 16, v70
	v_pk_fma_f32 v[0:1], v[50:51], v[88:89], v[0:1] op_sel_hi:[1,0,1]
	v_pk_fma_f32 v[4:5], v[4:5], v[88:89], v[34:35] op_sel_hi:[1,0,1]
	v_and_b32_e32 v70, 0xffff0000, v70
	v_pk_fma_f32 v[0:1], v[6:7], v[90:91], v[0:1] op_sel_hi:[1,0,1]
	v_pk_fma_f32 v[4:5], v[54:55], v[90:91], v[4:5] op_sel_hi:[1,0,1]
	v_lshlrev_b32_e32 v44, 16, v71
	v_pk_fma_f32 v[0:1], v[12:13], v[70:71], v[0:1] op_sel_hi:[1,0,1]
	v_pk_fma_f32 v[4:5], v[56:57], v[70:71], v[4:5] op_sel_hi:[1,0,1]
	v_and_b32_e32 v92, 0xffff0000, v71
	v_pk_fma_f32 v[0:1], v[14:15], v[44:45], v[0:1] op_sel_hi:[1,0,1]
	v_pk_fma_f32 v[4:5], v[60:61], v[44:45], v[4:5] op_sel_hi:[1,0,1]
	s_waitcnt vmcnt(1)
	v_lshlrev_b32_e32 v42, 16, v72
	v_pk_fma_f32 v[0:1], v[58:59], v[92:93], v[0:1] op_sel_hi:[1,0,1]
	v_pk_fma_f32 v[4:5], v[8:9], v[92:93], v[4:5] op_sel_hi:[1,0,1]
	v_and_b32_e32 v46, 0xffff0000, v72
	v_pk_fma_f32 v[0:1], v[10:11], v[42:43], v[0:1] op_sel_hi:[1,0,1]
	v_pk_fma_f32 v[4:5], v[62:63], v[42:43], v[4:5] op_sel_hi:[1,0,1]
	v_lshlrev_b32_e32 v36, 16, v73
	v_pk_fma_f32 v[0:1], v[16:17], v[46:47], v[0:1] op_sel_hi:[1,0,1]
	v_pk_fma_f32 v[4:5], v[64:65], v[46:47], v[4:5] op_sel_hi:[1,0,1]
	v_and_b32_e32 v72, 0xffff0000, v73
	v_pk_fma_f32 v[0:1], v[18:19], v[36:37], v[0:1] op_sel_hi:[1,0,1]
	v_pk_fma_f32 v[4:5], v[76:77], v[36:37], v[4:5] op_sel_hi:[1,0,1]
	s_waitcnt vmcnt(0)
	v_lshlrev_b32_e32 v48, 16, v74
	v_pk_fma_f32 v[0:1], v[66:67], v[72:73], v[0:1] op_sel_hi:[1,0,1]
	v_pk_fma_f32 v[4:5], v[20:21], v[72:73], v[4:5] op_sel_hi:[1,0,1]
	v_and_b32_e32 v68, 0xffff0000, v74
	v_pk_fma_f32 v[0:1], v[22:23], v[48:49], v[0:1] op_sel_hi:[1,0,1]
	v_pk_fma_f32 v[4:5], v[78:79], v[48:49], v[4:5] op_sel_hi:[1,0,1]
	v_lshlrev_b32_e32 v2, 16, v75
	v_pk_fma_f32 v[0:1], v[24:25], v[68:69], v[0:1] op_sel_hi:[1,0,1]
	v_pk_fma_f32 v[4:5], v[80:81], v[68:69], v[4:5] op_sel_hi:[1,0,1]
	v_and_b32_e32 v74, 0xffff0000, v75
	v_pk_fma_f32 v[0:1], v[26:27], v[2:3], v[0:1] op_sel_hi:[1,0,1]
	v_pk_fma_f32 v[2:3], v[84:85], v[2:3], v[4:5] op_sel_hi:[1,0,1]
	;; [unrolled: 1-line block ×4, first 2 shown]
	s_andn2_b64 exec, exec, s[10:11]
	s_cbranch_execnz .LBB107_33
; %bb.34:
	s_or_b64 exec, exec, s[10:11]
.LBB107_35:
	s_or_b64 exec, exec, s[2:3]
.LBB107_36:
	s_or_b64 exec, exec, s[6:7]
.LBB107_37:
	v_mov_b32_dpp v0, v36 row_shr:1 row_mask:0xf bank_mask:0xf
	v_mov_b32_dpp v1, v37 row_shr:1 row_mask:0xf bank_mask:0xf
	;; [unrolled: 1-line block ×4, first 2 shown]
	v_pk_add_f32 v[0:1], v[36:37], v[0:1]
	v_pk_add_f32 v[4:5], v[34:35], v[4:5]
	v_cmp_eq_u32_e32 vcc, 15, v29
	v_mov_b32_dpp v2, v0 row_shr:2 row_mask:0xf bank_mask:0xf
	v_mov_b32_dpp v3, v1 row_shr:2 row_mask:0xf bank_mask:0xf
	;; [unrolled: 1-line block ×4, first 2 shown]
	v_pk_add_f32 v[0:1], v[0:1], v[2:3]
	v_pk_add_f32 v[4:5], v[4:5], v[6:7]
	s_nop 0
	v_mov_b32_dpp v2, v0 row_shr:4 row_mask:0xf bank_mask:0xe
	v_mov_b32_dpp v3, v1 row_shr:4 row_mask:0xf bank_mask:0xe
	;; [unrolled: 1-line block ×4, first 2 shown]
	v_pk_add_f32 v[0:1], v[0:1], v[2:3]
	v_pk_add_f32 v[4:5], v[4:5], v[6:7]
	s_nop 0
	v_mov_b32_dpp v2, v0 row_shr:8 row_mask:0xf bank_mask:0xc
	v_mov_b32_dpp v3, v1 row_shr:8 row_mask:0xf bank_mask:0xc
	;; [unrolled: 1-line block ×4, first 2 shown]
	s_and_b64 exec, exec, vcc
	s_cbranch_execz .LBB107_10
; %bb.38:
	s_load_dwordx2 s[0:1], s[0:1], 0x50
	v_cmp_eq_f32_e64 s[2:3], s14, 0
	v_pk_add_f32 v[2:3], v[0:1], v[2:3]
	v_pk_add_f32 v[0:1], v[4:5], v[6:7]
	s_and_b64 vcc, exec, s[2:3]
	v_lshlrev_b32_e32 v4, 2, v28
	s_cbranch_vccz .LBB107_40
; %bb.39:
	v_ashrrev_i32_e32 v5, 31, v4
	s_waitcnt lgkmcnt(0)
	v_lshl_add_u64 v[10:11], v[4:5], 2, s[0:1]
	v_pk_mul_f32 v[6:7], s[12:13], v[2:3] op_sel_hi:[0,1]
	v_pk_mul_f32 v[8:9], s[12:13], v[0:1] op_sel_hi:[0,1]
	global_store_dwordx4 v[10:11], v[6:9], off
	s_cbranch_execnz .LBB107_10
	s_branch .LBB107_41
.LBB107_40:
.LBB107_41:
	v_ashrrev_i32_e32 v5, 31, v4
	s_waitcnt lgkmcnt(0)
	v_lshl_add_u64 v[8:9], v[4:5], 2, s[0:1]
	global_load_dwordx4 v[4:7], v[8:9], off
	v_pk_mul_f32 v[2:3], s[12:13], v[2:3] op_sel_hi:[0,1]
	v_pk_mul_f32 v[10:11], s[12:13], v[0:1] op_sel_hi:[0,1]
	s_waitcnt vmcnt(0)
	v_pk_fma_f32 v[0:1], s[14:15], v[4:5], v[2:3] op_sel_hi:[0,1,1]
	v_pk_fma_f32 v[2:3], s[14:15], v[6:7], v[10:11] op_sel_hi:[0,1,1]
	global_store_dwordx4 v[8:9], v[0:3], off
	s_endpgm
	.section	.rodata,"a",@progbits
	.p2align	6, 0x0
	.amdhsa_kernel _ZN9rocsparseL18bsrxmvn_4x4_kernelILj128ELj16Efii18rocsparse_bfloat16S1_fEEvT3_20rocsparse_direction_NS_24const_host_device_scalarIT1_EES2_PKS2_PKT2_SB_S8_PKT4_PKT5_S6_PT6_21rocsparse_index_base_b
		.amdhsa_group_segment_fixed_size 0
		.amdhsa_private_segment_fixed_size 0
		.amdhsa_kernarg_size 96
		.amdhsa_user_sgpr_count 2
		.amdhsa_user_sgpr_dispatch_ptr 0
		.amdhsa_user_sgpr_queue_ptr 0
		.amdhsa_user_sgpr_kernarg_segment_ptr 1
		.amdhsa_user_sgpr_dispatch_id 0
		.amdhsa_user_sgpr_kernarg_preload_length 0
		.amdhsa_user_sgpr_kernarg_preload_offset 0
		.amdhsa_user_sgpr_private_segment_size 0
		.amdhsa_uses_dynamic_stack 0
		.amdhsa_enable_private_segment 0
		.amdhsa_system_sgpr_workgroup_id_x 1
		.amdhsa_system_sgpr_workgroup_id_y 0
		.amdhsa_system_sgpr_workgroup_id_z 0
		.amdhsa_system_sgpr_workgroup_info 0
		.amdhsa_system_vgpr_workitem_id 0
		.amdhsa_next_free_vgpr 100
		.amdhsa_next_free_sgpr 22
		.amdhsa_accum_offset 100
		.amdhsa_reserve_vcc 1
		.amdhsa_float_round_mode_32 0
		.amdhsa_float_round_mode_16_64 0
		.amdhsa_float_denorm_mode_32 3
		.amdhsa_float_denorm_mode_16_64 3
		.amdhsa_dx10_clamp 1
		.amdhsa_ieee_mode 1
		.amdhsa_fp16_overflow 0
		.amdhsa_tg_split 0
		.amdhsa_exception_fp_ieee_invalid_op 0
		.amdhsa_exception_fp_denorm_src 0
		.amdhsa_exception_fp_ieee_div_zero 0
		.amdhsa_exception_fp_ieee_overflow 0
		.amdhsa_exception_fp_ieee_underflow 0
		.amdhsa_exception_fp_ieee_inexact 0
		.amdhsa_exception_int_div_zero 0
	.end_amdhsa_kernel
	.section	.text._ZN9rocsparseL18bsrxmvn_4x4_kernelILj128ELj16Efii18rocsparse_bfloat16S1_fEEvT3_20rocsparse_direction_NS_24const_host_device_scalarIT1_EES2_PKS2_PKT2_SB_S8_PKT4_PKT5_S6_PT6_21rocsparse_index_base_b,"axG",@progbits,_ZN9rocsparseL18bsrxmvn_4x4_kernelILj128ELj16Efii18rocsparse_bfloat16S1_fEEvT3_20rocsparse_direction_NS_24const_host_device_scalarIT1_EES2_PKS2_PKT2_SB_S8_PKT4_PKT5_S6_PT6_21rocsparse_index_base_b,comdat
.Lfunc_end107:
	.size	_ZN9rocsparseL18bsrxmvn_4x4_kernelILj128ELj16Efii18rocsparse_bfloat16S1_fEEvT3_20rocsparse_direction_NS_24const_host_device_scalarIT1_EES2_PKS2_PKT2_SB_S8_PKT4_PKT5_S6_PT6_21rocsparse_index_base_b, .Lfunc_end107-_ZN9rocsparseL18bsrxmvn_4x4_kernelILj128ELj16Efii18rocsparse_bfloat16S1_fEEvT3_20rocsparse_direction_NS_24const_host_device_scalarIT1_EES2_PKS2_PKT2_SB_S8_PKT4_PKT5_S6_PT6_21rocsparse_index_base_b
                                        ; -- End function
	.set _ZN9rocsparseL18bsrxmvn_4x4_kernelILj128ELj16Efii18rocsparse_bfloat16S1_fEEvT3_20rocsparse_direction_NS_24const_host_device_scalarIT1_EES2_PKS2_PKT2_SB_S8_PKT4_PKT5_S6_PT6_21rocsparse_index_base_b.num_vgpr, 100
	.set _ZN9rocsparseL18bsrxmvn_4x4_kernelILj128ELj16Efii18rocsparse_bfloat16S1_fEEvT3_20rocsparse_direction_NS_24const_host_device_scalarIT1_EES2_PKS2_PKT2_SB_S8_PKT4_PKT5_S6_PT6_21rocsparse_index_base_b.num_agpr, 0
	.set _ZN9rocsparseL18bsrxmvn_4x4_kernelILj128ELj16Efii18rocsparse_bfloat16S1_fEEvT3_20rocsparse_direction_NS_24const_host_device_scalarIT1_EES2_PKS2_PKT2_SB_S8_PKT4_PKT5_S6_PT6_21rocsparse_index_base_b.numbered_sgpr, 22
	.set _ZN9rocsparseL18bsrxmvn_4x4_kernelILj128ELj16Efii18rocsparse_bfloat16S1_fEEvT3_20rocsparse_direction_NS_24const_host_device_scalarIT1_EES2_PKS2_PKT2_SB_S8_PKT4_PKT5_S6_PT6_21rocsparse_index_base_b.num_named_barrier, 0
	.set _ZN9rocsparseL18bsrxmvn_4x4_kernelILj128ELj16Efii18rocsparse_bfloat16S1_fEEvT3_20rocsparse_direction_NS_24const_host_device_scalarIT1_EES2_PKS2_PKT2_SB_S8_PKT4_PKT5_S6_PT6_21rocsparse_index_base_b.private_seg_size, 0
	.set _ZN9rocsparseL18bsrxmvn_4x4_kernelILj128ELj16Efii18rocsparse_bfloat16S1_fEEvT3_20rocsparse_direction_NS_24const_host_device_scalarIT1_EES2_PKS2_PKT2_SB_S8_PKT4_PKT5_S6_PT6_21rocsparse_index_base_b.uses_vcc, 1
	.set _ZN9rocsparseL18bsrxmvn_4x4_kernelILj128ELj16Efii18rocsparse_bfloat16S1_fEEvT3_20rocsparse_direction_NS_24const_host_device_scalarIT1_EES2_PKS2_PKT2_SB_S8_PKT4_PKT5_S6_PT6_21rocsparse_index_base_b.uses_flat_scratch, 0
	.set _ZN9rocsparseL18bsrxmvn_4x4_kernelILj128ELj16Efii18rocsparse_bfloat16S1_fEEvT3_20rocsparse_direction_NS_24const_host_device_scalarIT1_EES2_PKS2_PKT2_SB_S8_PKT4_PKT5_S6_PT6_21rocsparse_index_base_b.has_dyn_sized_stack, 0
	.set _ZN9rocsparseL18bsrxmvn_4x4_kernelILj128ELj16Efii18rocsparse_bfloat16S1_fEEvT3_20rocsparse_direction_NS_24const_host_device_scalarIT1_EES2_PKS2_PKT2_SB_S8_PKT4_PKT5_S6_PT6_21rocsparse_index_base_b.has_recursion, 0
	.set _ZN9rocsparseL18bsrxmvn_4x4_kernelILj128ELj16Efii18rocsparse_bfloat16S1_fEEvT3_20rocsparse_direction_NS_24const_host_device_scalarIT1_EES2_PKS2_PKT2_SB_S8_PKT4_PKT5_S6_PT6_21rocsparse_index_base_b.has_indirect_call, 0
	.section	.AMDGPU.csdata,"",@progbits
; Kernel info:
; codeLenInByte = 3796
; TotalNumSgprs: 28
; NumVgprs: 100
; NumAgprs: 0
; TotalNumVgprs: 100
; ScratchSize: 0
; MemoryBound: 0
; FloatMode: 240
; IeeeMode: 1
; LDSByteSize: 0 bytes/workgroup (compile time only)
; SGPRBlocks: 3
; VGPRBlocks: 12
; NumSGPRsForWavesPerEU: 28
; NumVGPRsForWavesPerEU: 100
; AccumOffset: 100
; Occupancy: 4
; WaveLimiterHint : 1
; COMPUTE_PGM_RSRC2:SCRATCH_EN: 0
; COMPUTE_PGM_RSRC2:USER_SGPR: 2
; COMPUTE_PGM_RSRC2:TRAP_HANDLER: 0
; COMPUTE_PGM_RSRC2:TGID_X_EN: 1
; COMPUTE_PGM_RSRC2:TGID_Y_EN: 0
; COMPUTE_PGM_RSRC2:TGID_Z_EN: 0
; COMPUTE_PGM_RSRC2:TIDIG_COMP_CNT: 0
; COMPUTE_PGM_RSRC3_GFX90A:ACCUM_OFFSET: 24
; COMPUTE_PGM_RSRC3_GFX90A:TG_SPLIT: 0
	.section	.text._ZN9rocsparseL18bsrxmvn_4x4_kernelILj128ELj32Efii18rocsparse_bfloat16S1_fEEvT3_20rocsparse_direction_NS_24const_host_device_scalarIT1_EES2_PKS2_PKT2_SB_S8_PKT4_PKT5_S6_PT6_21rocsparse_index_base_b,"axG",@progbits,_ZN9rocsparseL18bsrxmvn_4x4_kernelILj128ELj32Efii18rocsparse_bfloat16S1_fEEvT3_20rocsparse_direction_NS_24const_host_device_scalarIT1_EES2_PKS2_PKT2_SB_S8_PKT4_PKT5_S6_PT6_21rocsparse_index_base_b,comdat
	.globl	_ZN9rocsparseL18bsrxmvn_4x4_kernelILj128ELj32Efii18rocsparse_bfloat16S1_fEEvT3_20rocsparse_direction_NS_24const_host_device_scalarIT1_EES2_PKS2_PKT2_SB_S8_PKT4_PKT5_S6_PT6_21rocsparse_index_base_b ; -- Begin function _ZN9rocsparseL18bsrxmvn_4x4_kernelILj128ELj32Efii18rocsparse_bfloat16S1_fEEvT3_20rocsparse_direction_NS_24const_host_device_scalarIT1_EES2_PKS2_PKT2_SB_S8_PKT4_PKT5_S6_PT6_21rocsparse_index_base_b
	.p2align	8
	.type	_ZN9rocsparseL18bsrxmvn_4x4_kernelILj128ELj32Efii18rocsparse_bfloat16S1_fEEvT3_20rocsparse_direction_NS_24const_host_device_scalarIT1_EES2_PKS2_PKT2_SB_S8_PKT4_PKT5_S6_PT6_21rocsparse_index_base_b,@function
_ZN9rocsparseL18bsrxmvn_4x4_kernelILj128ELj32Efii18rocsparse_bfloat16S1_fEEvT3_20rocsparse_direction_NS_24const_host_device_scalarIT1_EES2_PKS2_PKT2_SB_S8_PKT4_PKT5_S6_PT6_21rocsparse_index_base_b: ; @_ZN9rocsparseL18bsrxmvn_4x4_kernelILj128ELj32Efii18rocsparse_bfloat16S1_fEEvT3_20rocsparse_direction_NS_24const_host_device_scalarIT1_EES2_PKS2_PKT2_SB_S8_PKT4_PKT5_S6_PT6_21rocsparse_index_base_b
; %bb.0:
	s_load_dwordx2 s[16:17], s[0:1], 0x58
	s_load_dwordx2 s[12:13], s[0:1], 0x8
	;; [unrolled: 1-line block ×3, first 2 shown]
	s_waitcnt lgkmcnt(0)
	s_bitcmp1_b32 s17, 0
	s_cselect_b64 s[6:7], -1, 0
	s_xor_b64 s[4:5], s[6:7], -1
	s_and_b64 vcc, exec, s[6:7]
	s_cbranch_vccnz .LBB108_2
; %bb.1:
	s_load_dword s12, s[12:13], 0x0
.LBB108_2:
	s_andn2_b64 vcc, exec, s[4:5]
	s_cbranch_vccnz .LBB108_4
; %bb.3:
	s_load_dword s14, s[14:15], 0x0
.LBB108_4:
	s_waitcnt lgkmcnt(0)
	v_cmp_neq_f32_e64 s[4:5], s12, 0
	v_cmp_neq_f32_e64 s[6:7], s14, 1.0
	s_or_b64 s[4:5], s[4:5], s[6:7]
	s_andn2_b64 vcc, exec, s[4:5]
	s_cbranch_vccnz .LBB108_10
; %bb.5:
	s_load_dwordx2 s[4:5], s[0:1], 0x18
	s_load_dwordx2 s[18:19], s[0:1], 0x0
	v_lshrrev_b32_e32 v1, 5, v0
	v_lshl_or_b32 v28, s2, 2, v1
	s_mov_b64 s[2:3], 0
	s_waitcnt lgkmcnt(0)
	s_cmp_lg_u64 s[4:5], 0
	s_cbranch_scc0 .LBB108_11
; %bb.6:
	s_load_dword s6, s[0:1], 0x10
                                        ; implicit-def: $vgpr1
	s_waitcnt lgkmcnt(0)
	v_cmp_gt_i32_e32 vcc, s6, v28
	s_and_saveexec_b64 s[6:7], vcc
	s_xor_b64 s[6:7], exec, s[6:7]
	s_cbranch_execz .LBB108_8
; %bb.7:
	v_ashrrev_i32_e32 v29, 31, v28
	v_lshl_add_u64 v[2:3], v[28:29], 2, s[4:5]
	global_load_dword v1, v[2:3], off
	s_mov_b64 s[2:3], exec
	s_waitcnt vmcnt(0)
	v_subrev_u32_e32 v1, s16, v1
.LBB108_8:
	s_or_b64 exec, exec, s[6:7]
	s_branch .LBB108_12
.LBB108_9:
	v_cmp_gt_i32_e32 vcc, s18, v28
	s_andn2_b64 s[2:3], s[2:3], exec
	s_and_b64 s[4:5], vcc, exec
	s_or_b64 s[2:3], s[2:3], s[4:5]
	s_and_saveexec_b64 s[4:5], s[2:3]
	s_cbranch_execnz .LBB108_13
.LBB108_10:
	s_endpgm
.LBB108_11:
                                        ; implicit-def: $vgpr1
	s_cbranch_execnz .LBB108_9
.LBB108_12:
	v_mov_b32_e32 v28, v1
	s_and_saveexec_b64 s[4:5], s[2:3]
	s_cbranch_execz .LBB108_10
.LBB108_13:
	s_load_dwordx8 s[4:11], s[0:1], 0x20
	v_ashrrev_i32_e32 v29, 31, v28
	v_lshlrev_b64 v[2:3], 2, v[28:29]
	v_and_b32_e32 v29, 31, v0
	s_waitcnt lgkmcnt(0)
	v_lshl_add_u64 v[6:7], s[4:5], 0, v[2:3]
	s_cmp_eq_u64 s[6:7], 0
	global_load_dword v4, v[6:7], off
	v_lshl_add_u64 v[6:7], v[6:7], 0, 4
	v_lshl_add_u64 v[2:3], s[6:7], 0, v[2:3]
	s_cselect_b64 vcc, -1, 0
	v_cndmask_b32_e32 v3, v3, v7, vcc
	v_cndmask_b32_e32 v2, v2, v6, vcc
	global_load_dword v1, v[2:3], off
	s_load_dwordx2 s[4:5], s[0:1], 0x40
	s_cmp_eq_u32 s19, 1
	s_waitcnt vmcnt(1)
	v_subrev_u32_e32 v0, s16, v4
	v_add_u32_e32 v30, v0, v29
	v_ashrrev_i32_e32 v31, 31, v30
	s_waitcnt vmcnt(0)
	v_subrev_u32_e32 v38, s16, v1
	v_lshlrev_b64 v[0:1], 5, v[30:31]
	v_lshl_add_u64 v[32:33], s[10:11], 0, v[0:1]
	v_cmp_lt_i32_e64 s[2:3], v30, v38
	s_cbranch_scc1 .LBB108_25
; %bb.14:
	v_mov_b32_e32 v35, 0
	v_mov_b32_e32 v34, 0
	;; [unrolled: 1-line block ×4, first 2 shown]
	s_and_saveexec_b64 s[6:7], s[2:3]
	s_cbranch_execz .LBB108_24
; %bb.15:
	v_add_u32_e32 v0, v4, v29
	v_subrev_u32_e32 v0, s16, v0
	v_add_u32_e32 v0, 32, v0
	v_max_i32_e32 v0, v0, v38
	v_not_b32_e32 v1, v4
	v_add3_u32 v0, s16, v0, v1
	v_sub_u32_e32 v5, v0, v29
	v_mov_b32_e32 v34, 0
	s_movk_i32 s10, 0x60
	v_and_b32_e32 v0, 0x60, v5
	v_mov_b32_e32 v35, v34
	v_cmp_ne_u32_e32 vcc, s10, v0
	v_mov_b64_e32 v[36:37], v[34:35]
	v_mov_b32_e32 v0, v30
	v_mov_b64_e32 v[2:3], v[32:33]
	s_and_saveexec_b64 s[10:11], vcc
	s_cbranch_execz .LBB108_19
; %bb.16:
	v_lshrrev_b32_e32 v0, 5, v5
	v_add_u32_e32 v0, 1, v0
	v_and_b32_e32 v0, 3, v0
	v_sub_u32_e32 v6, 0, v0
	s_mov_b64 s[18:19], 0
	s_mov_b64 s[20:21], 0x400
	v_mov_b64_e32 v[2:3], v[32:33]
	v_mov_b32_e32 v0, v30
	v_mov_b32_e32 v35, v34
	;; [unrolled: 1-line block ×4, first 2 shown]
.LBB108_17:                             ; =>This Inner Loop Header: Depth=1
	v_ashrrev_i32_e32 v1, 31, v0
	v_lshl_add_u64 v[16:17], v[0:1], 2, s[8:9]
	global_load_dword v1, v[16:17], off
	global_load_dwordx4 v[8:11], v[2:3], off
	global_load_dwordx4 v[12:15], v[2:3], off offset:16
	v_add_co_u32_e32 v6, vcc, 1, v6
	v_lshl_add_u64 v[2:3], v[2:3], 0, s[20:21]
	v_add_u32_e32 v0, 32, v0
	s_or_b64 s[18:19], vcc, s[18:19]
	s_waitcnt vmcnt(2)
	v_subrev_u32_e32 v1, s16, v1
	v_lshlrev_b32_e32 v16, 2, v1
	v_ashrrev_i32_e32 v17, 31, v16
	s_waitcnt lgkmcnt(0)
	v_lshl_add_u64 v[16:17], v[16:17], 1, s[4:5]
	global_load_dwordx2 v[16:17], v[16:17], off
	s_waitcnt vmcnt(2)
	v_lshlrev_b32_e32 v21, 16, v10
	v_lshlrev_b32_e32 v20, 16, v8
	s_waitcnt vmcnt(1)
	v_lshlrev_b32_e32 v25, 16, v14
	v_lshlrev_b32_e32 v24, 16, v12
	v_and_b32_e32 v26, 0xffff0000, v12
	v_and_b32_e32 v23, 0xffff0000, v10
	;; [unrolled: 1-line block ×3, first 2 shown]
	v_lshlrev_b32_e32 v8, 16, v13
	v_and_b32_e32 v27, 0xffff0000, v14
	v_and_b32_e32 v14, 0xffff0000, v13
	v_lshlrev_b32_e32 v18, 16, v9
	v_lshlrev_b32_e32 v19, 16, v11
	v_and_b32_e32 v10, 0xffff0000, v9
	v_lshlrev_b32_e32 v9, 16, v15
	v_and_b32_e32 v11, 0xffff0000, v11
	v_and_b32_e32 v15, 0xffff0000, v15
	s_waitcnt vmcnt(0)
	v_lshlrev_b32_e32 v12, 16, v16
	v_and_b32_e32 v16, 0xffff0000, v16
	v_pk_fma_f32 v[20:21], v[20:21], v[12:13], v[36:37] op_sel_hi:[1,0,1]
	v_pk_fma_f32 v[12:13], v[24:25], v[12:13], v[34:35] op_sel_hi:[1,0,1]
	v_lshlrev_b32_e32 v40, 16, v17
	v_pk_fma_f32 v[20:21], v[22:23], v[16:17], v[20:21] op_sel_hi:[1,0,1]
	v_pk_fma_f32 v[12:13], v[26:27], v[16:17], v[12:13] op_sel_hi:[1,0,1]
	v_and_b32_e32 v42, 0xffff0000, v17
	v_pk_fma_f32 v[16:17], v[18:19], v[40:41], v[20:21] op_sel_hi:[1,0,1]
	v_pk_fma_f32 v[8:9], v[8:9], v[40:41], v[12:13] op_sel_hi:[1,0,1]
	;; [unrolled: 1-line block ×4, first 2 shown]
	s_andn2_b64 exec, exec, s[18:19]
	s_cbranch_execnz .LBB108_17
; %bb.18:
	s_or_b64 exec, exec, s[18:19]
.LBB108_19:
	s_or_b64 exec, exec, s[10:11]
	s_movk_i32 s10, 0x5f
	v_cmp_lt_u32_e32 vcc, s10, v5
	s_and_saveexec_b64 s[10:11], vcc
	s_cbranch_execz .LBB108_23
; %bb.20:
	s_mov_b64 s[18:19], 0
	s_mov_b64 s[20:21], 0x1000
.LBB108_21:                             ; =>This Inner Loop Header: Depth=1
	v_ashrrev_i32_e32 v1, 31, v0
	v_lshl_add_u64 v[26:27], v[0:1], 2, s[8:9]
	global_load_dwordx4 v[6:9], v[2:3], off
	global_load_dwordx4 v[10:13], v[2:3], off offset:16
	global_load_dwordx4 v[14:17], v[2:3], off offset:1024
	;; [unrolled: 1-line block ×7, first 2 shown]
	global_load_dword v1, v[26:27], off
	global_load_dword v5, v[26:27], off offset:128
	global_load_dword v31, v[26:27], off offset:256
	;; [unrolled: 1-line block ×3, first 2 shown]
	v_add_u32_e32 v0, 0x80, v0
	v_cmp_ge_i32_e32 vcc, v0, v38
	v_lshl_add_u64 v[2:3], v[2:3], 0, s[20:21]
	s_or_b64 s[18:19], vcc, s[18:19]
	s_waitcnt vmcnt(8)
	v_lshlrev_b32_e32 v65, 16, v20
	v_and_b32_e32 v67, 0xffff0000, v20
	s_waitcnt vmcnt(3)
	v_subrev_u32_e32 v1, s16, v1
	v_lshlrev_b32_e32 v56, 16, v10
	v_and_b32_e32 v58, 0xffff0000, v10
	v_lshlrev_b32_e32 v10, 16, v15
	v_lshlrev_b32_e32 v61, 16, v16
	v_and_b32_e32 v63, 0xffff0000, v16
	v_and_b32_e32 v16, 0xffff0000, v15
	s_waitcnt vmcnt(2)
	v_subrev_u32_e32 v5, s16, v5
	s_waitcnt vmcnt(1)
	v_subrev_u32_e32 v15, s16, v31
	;; [unrolled: 2-line block ×3, first 2 shown]
	v_lshlrev_b32_e32 v68, 2, v1
	v_lshlrev_b32_e32 v70, 2, v5
	v_lshlrev_b32_e32 v72, 2, v15
	v_lshlrev_b32_e32 v74, 2, v20
	v_ashrrev_i32_e32 v69, 31, v68
	v_ashrrev_i32_e32 v71, 31, v70
	;; [unrolled: 1-line block ×4, first 2 shown]
	s_waitcnt lgkmcnt(0)
	v_lshl_add_u64 v[68:69], v[68:69], 1, s[4:5]
	v_lshl_add_u64 v[70:71], v[70:71], 1, s[4:5]
	;; [unrolled: 1-line block ×4, first 2 shown]
	global_load_dwordx2 v[76:77], v[68:69], off
	global_load_dwordx2 v[78:79], v[70:71], off
	;; [unrolled: 1-line block ×4, first 2 shown]
	v_lshlrev_b32_e32 v53, 16, v8
	v_lshlrev_b32_e32 v52, 16, v6
	;; [unrolled: 1-line block ×4, first 2 shown]
	v_and_b32_e32 v90, 0xffff0000, v48
	v_and_b32_e32 v55, 0xffff0000, v8
	;; [unrolled: 1-line block ×4, first 2 shown]
	v_lshlrev_b32_e32 v26, 16, v7
	v_lshlrev_b32_e32 v27, 16, v9
	v_and_b32_e32 v8, 0xffff0000, v7
	v_lshlrev_b32_e32 v6, 16, v11
	v_lshlrev_b32_e32 v7, 16, v13
	v_and_b32_e32 v9, 0xffff0000, v9
	v_and_b32_e32 v13, 0xffff0000, v13
	;; [unrolled: 1-line block ×3, first 2 shown]
	v_lshlrev_b32_e32 v60, 16, v14
	v_lshlrev_b32_e32 v64, 16, v18
	v_and_b32_e32 v62, 0xffff0000, v14
	v_and_b32_e32 v66, 0xffff0000, v18
	v_lshlrev_b32_e32 v11, 16, v17
	v_lshlrev_b32_e32 v14, 16, v19
	;; [unrolled: 1-line block ×3, first 2 shown]
	v_and_b32_e32 v17, 0xffff0000, v17
	v_and_b32_e32 v21, 0xffff0000, v21
	;; [unrolled: 1-line block ×3, first 2 shown]
	v_lshlrev_b32_e32 v69, 16, v24
	v_lshlrev_b32_e32 v68, 16, v22
	;; [unrolled: 1-line block ×4, first 2 shown]
	v_and_b32_e32 v71, 0xffff0000, v24
	v_and_b32_e32 v70, 0xffff0000, v22
	;; [unrolled: 1-line block ×4, first 2 shown]
	v_lshlrev_b32_e32 v18, 16, v23
	v_lshlrev_b32_e32 v19, 16, v25
	v_and_b32_e32 v24, 0xffff0000, v23
	v_lshlrev_b32_e32 v22, 16, v41
	v_lshlrev_b32_e32 v23, 16, v43
	v_and_b32_e32 v25, 0xffff0000, v25
	v_and_b32_e32 v43, 0xffff0000, v43
	;; [unrolled: 1-line block ×3, first 2 shown]
	v_lshlrev_b32_e32 v85, 16, v46
	v_lshlrev_b32_e32 v84, 16, v44
	;; [unrolled: 1-line block ×3, first 2 shown]
	v_and_b32_e32 v87, 0xffff0000, v46
	v_and_b32_e32 v86, 0xffff0000, v44
	;; [unrolled: 1-line block ×3, first 2 shown]
	v_lshlrev_b32_e32 v40, 16, v45
	v_lshlrev_b32_e32 v41, 16, v47
	v_and_b32_e32 v46, 0xffff0000, v45
	v_lshlrev_b32_e32 v44, 16, v49
	v_lshlrev_b32_e32 v45, 16, v51
	v_and_b32_e32 v47, 0xffff0000, v47
	v_and_b32_e32 v51, 0xffff0000, v51
	;; [unrolled: 1-line block ×3, first 2 shown]
	s_waitcnt vmcnt(3)
	v_lshlrev_b32_e32 v48, 16, v76
	v_and_b32_e32 v76, 0xffff0000, v76
	v_pk_fma_f32 v[36:37], v[52:53], v[48:49], v[36:37] op_sel_hi:[1,0,1]
	v_pk_fma_f32 v[34:35], v[56:57], v[48:49], v[34:35] op_sel_hi:[1,0,1]
	v_lshlrev_b32_e32 v92, 16, v77
	v_pk_fma_f32 v[36:37], v[54:55], v[76:77], v[36:37] op_sel_hi:[1,0,1]
	v_pk_fma_f32 v[34:35], v[58:59], v[76:77], v[34:35] op_sel_hi:[1,0,1]
	v_and_b32_e32 v94, 0xffff0000, v77
	v_pk_fma_f32 v[26:27], v[26:27], v[92:93], v[36:37] op_sel_hi:[1,0,1]
	v_pk_fma_f32 v[6:7], v[6:7], v[92:93], v[34:35] op_sel_hi:[1,0,1]
	s_waitcnt vmcnt(2)
	v_lshlrev_b32_e32 v96, 16, v78
	v_pk_fma_f32 v[8:9], v[8:9], v[94:95], v[26:27] op_sel_hi:[1,0,1]
	v_pk_fma_f32 v[6:7], v[12:13], v[94:95], v[6:7] op_sel_hi:[1,0,1]
	v_and_b32_e32 v78, 0xffff0000, v78
	v_pk_fma_f32 v[8:9], v[60:61], v[96:97], v[8:9] op_sel_hi:[1,0,1]
	v_pk_fma_f32 v[6:7], v[64:65], v[96:97], v[6:7] op_sel_hi:[1,0,1]
	v_lshlrev_b32_e32 v52, 16, v79
	v_pk_fma_f32 v[8:9], v[62:63], v[78:79], v[8:9] op_sel_hi:[1,0,1]
	v_pk_fma_f32 v[6:7], v[66:67], v[78:79], v[6:7] op_sel_hi:[1,0,1]
	v_and_b32_e32 v98, 0xffff0000, v79
	v_pk_fma_f32 v[8:9], v[10:11], v[52:53], v[8:9] op_sel_hi:[1,0,1]
	v_pk_fma_f32 v[6:7], v[14:15], v[52:53], v[6:7] op_sel_hi:[1,0,1]
	s_waitcnt vmcnt(1)
	v_lshlrev_b32_e32 v48, 16, v80
	v_pk_fma_f32 v[8:9], v[16:17], v[98:99], v[8:9] op_sel_hi:[1,0,1]
	v_pk_fma_f32 v[6:7], v[20:21], v[98:99], v[6:7] op_sel_hi:[1,0,1]
	;; [unrolled: 13-line block ×3, first 2 shown]
	v_and_b32_e32 v76, 0xffff0000, v82
	v_pk_fma_f32 v[8:9], v[84:85], v[58:59], v[8:9] op_sel_hi:[1,0,1]
	v_pk_fma_f32 v[6:7], v[88:89], v[58:59], v[6:7] op_sel_hi:[1,0,1]
	v_lshlrev_b32_e32 v36, 16, v83
	v_pk_fma_f32 v[8:9], v[86:87], v[76:77], v[8:9] op_sel_hi:[1,0,1]
	v_pk_fma_f32 v[6:7], v[90:91], v[76:77], v[6:7] op_sel_hi:[1,0,1]
	v_and_b32_e32 v82, 0xffff0000, v83
	v_pk_fma_f32 v[8:9], v[40:41], v[36:37], v[8:9] op_sel_hi:[1,0,1]
	v_pk_fma_f32 v[6:7], v[44:45], v[36:37], v[6:7] op_sel_hi:[1,0,1]
	;; [unrolled: 1-line block ×4, first 2 shown]
	s_andn2_b64 exec, exec, s[18:19]
	s_cbranch_execnz .LBB108_21
; %bb.22:
	s_or_b64 exec, exec, s[18:19]
.LBB108_23:
	s_or_b64 exec, exec, s[10:11]
.LBB108_24:
	s_or_b64 exec, exec, s[6:7]
	s_cbranch_execz .LBB108_26
	s_branch .LBB108_37
.LBB108_25:
                                        ; implicit-def: $vgpr35
                                        ; implicit-def: $vgpr37
.LBB108_26:
	v_mov_b32_e32 v35, 0
	v_mov_b32_e32 v34, 0
	;; [unrolled: 1-line block ×4, first 2 shown]
	s_and_saveexec_b64 s[6:7], s[2:3]
	s_cbranch_execz .LBB108_36
; %bb.27:
	v_add_u32_e32 v0, v4, v29
	v_subrev_u32_e32 v0, s16, v0
	v_add_u32_e32 v0, 32, v0
	v_max_i32_e32 v0, v0, v38
	v_not_b32_e32 v1, v4
	v_add3_u32 v0, s16, v0, v1
	v_sub_u32_e32 v0, v0, v29
	v_mov_b32_e32 v34, 0
	s_movk_i32 s2, 0x60
	v_and_b32_e32 v1, 0x60, v0
	v_mov_b32_e32 v35, v34
	v_cmp_ne_u32_e32 vcc, s2, v1
	v_mov_b64_e32 v[36:37], v[34:35]
	s_and_saveexec_b64 s[2:3], vcc
	s_cbranch_execz .LBB108_31
; %bb.28:
	v_lshrrev_b32_e32 v1, 5, v0
	v_add_u32_e32 v1, 1, v1
	v_and_b32_e32 v1, 3, v1
	v_sub_u32_e32 v1, 0, v1
	s_mov_b64 s[10:11], 0
	s_mov_b64 s[18:19], 0x400
	v_mov_b32_e32 v35, v34
	v_mov_b32_e32 v36, v34
	;; [unrolled: 1-line block ×3, first 2 shown]
.LBB108_29:                             ; =>This Inner Loop Header: Depth=1
	v_ashrrev_i32_e32 v31, 31, v30
	v_lshl_add_u64 v[6:7], v[30:31], 2, s[8:9]
	global_load_dword v8, v[6:7], off
	global_load_dwordx4 v[2:5], v[32:33], off
	v_add_co_u32_e32 v1, vcc, 1, v1
	v_add_u32_e32 v30, 32, v30
	s_or_b64 s[10:11], vcc, s[10:11]
	s_waitcnt vmcnt(1)
	v_subrev_u32_e32 v6, s16, v8
	v_lshlrev_b32_e32 v6, 2, v6
	v_ashrrev_i32_e32 v7, 31, v6
	s_waitcnt lgkmcnt(0)
	v_lshl_add_u64 v[10:11], v[6:7], 1, s[4:5]
	global_load_dwordx2 v[12:13], v[10:11], off
	global_load_dwordx4 v[6:9], v[32:33], off offset:16
	s_waitcnt vmcnt(2)
	v_and_b32_e32 v11, 0xffff0000, v2
	v_lshlrev_b32_e32 v10, 16, v2
	v_and_b32_e32 v15, 0xffff0000, v3
	v_lshlrev_b32_e32 v14, 16, v3
	;; [unrolled: 2-line block ×4, first 2 shown]
	v_lshl_add_u64 v[32:33], v[32:33], 0, s[18:19]
	s_waitcnt vmcnt(1)
	v_lshlrev_b32_e32 v22, 16, v13
	s_waitcnt vmcnt(0)
	v_and_b32_e32 v5, 0xffff0000, v6
	v_lshlrev_b32_e32 v4, 16, v6
	v_and_b32_e32 v19, 0xffff0000, v7
	v_lshlrev_b32_e32 v18, 16, v7
	;; [unrolled: 2-line block ×3, first 2 shown]
	v_lshlrev_b32_e32 v8, 16, v12
	v_and_b32_e32 v21, 0xffff0000, v9
	v_lshlrev_b32_e32 v20, 16, v9
	v_and_b32_e32 v12, 0xffff0000, v12
	v_pk_fma_f32 v[10:11], v[10:11], v[8:9], v[36:37] op_sel_hi:[1,0,1]
	v_pk_fma_f32 v[8:9], v[14:15], v[8:9], v[34:35] op_sel_hi:[1,0,1]
	;; [unrolled: 1-line block ×4, first 2 shown]
	v_and_b32_e32 v24, 0xffff0000, v13
	v_pk_fma_f32 v[2:3], v[4:5], v[22:23], v[2:3] op_sel_hi:[1,0,1]
	v_pk_fma_f32 v[4:5], v[18:19], v[22:23], v[8:9] op_sel_hi:[1,0,1]
	;; [unrolled: 1-line block ×4, first 2 shown]
	s_andn2_b64 exec, exec, s[10:11]
	s_cbranch_execnz .LBB108_29
; %bb.30:
	s_or_b64 exec, exec, s[10:11]
.LBB108_31:
	s_or_b64 exec, exec, s[2:3]
	s_movk_i32 s2, 0x5f
	v_cmp_lt_u32_e32 vcc, s2, v0
	s_and_saveexec_b64 s[2:3], vcc
	s_cbranch_execz .LBB108_35
; %bb.32:
	s_mov_b64 s[10:11], 0
	s_mov_b64 s[18:19], 0x1000
.LBB108_33:                             ; =>This Inner Loop Header: Depth=1
	v_ashrrev_i32_e32 v31, 31, v30
	v_lshl_add_u64 v[44:45], v[30:31], 2, s[8:9]
	global_load_dwordx4 v[0:3], v[32:33], off
	global_load_dwordx4 v[4:7], v[32:33], off offset:16
	global_load_dwordx4 v[12:15], v[32:33], off offset:1024
	;; [unrolled: 1-line block ×7, first 2 shown]
	global_load_dword v31, v[44:45], off
	global_load_dword v39, v[44:45], off offset:128
	global_load_dword v60, v[44:45], off offset:256
	;; [unrolled: 1-line block ×3, first 2 shown]
	v_add_u32_e32 v30, 0x80, v30
	v_cmp_ge_i32_e32 vcc, v30, v38
	v_lshl_add_u64 v[32:33], v[32:33], 0, s[18:19]
	s_or_b64 s[10:11], vcc, s[10:11]
	s_waitcnt vmcnt(11)
	v_and_b32_e32 v45, 0xffff0000, v0
	v_lshlrev_b32_e32 v44, 16, v0
	v_and_b32_e32 v47, 0xffff0000, v1
	v_lshlrev_b32_e32 v46, 16, v1
	v_and_b32_e32 v1, 0xffff0000, v2
	v_lshlrev_b32_e32 v0, 16, v2
	v_and_b32_e32 v49, 0xffff0000, v3
	v_lshlrev_b32_e32 v48, 16, v3
	s_waitcnt vmcnt(10)
	v_and_b32_e32 v3, 0xffff0000, v4
	v_lshlrev_b32_e32 v2, 16, v4
	v_and_b32_e32 v51, 0xffff0000, v5
	v_lshlrev_b32_e32 v50, 16, v5
	v_and_b32_e32 v5, 0xffff0000, v6
	v_lshlrev_b32_e32 v4, 16, v6
	v_and_b32_e32 v53, 0xffff0000, v7
	v_lshlrev_b32_e32 v52, 16, v7
	;; [unrolled: 9-line block ×3, first 2 shown]
	s_waitcnt vmcnt(8)
	v_and_b32_e32 v15, 0xffff0000, v8
	v_lshlrev_b32_e32 v14, 16, v8
	s_waitcnt vmcnt(3)
	v_subrev_u32_e32 v8, s16, v31
	v_and_b32_e32 v59, 0xffff0000, v9
	v_lshlrev_b32_e32 v58, 16, v9
	s_waitcnt vmcnt(2)
	v_subrev_u32_e32 v9, s16, v39
	s_waitcnt vmcnt(1)
	v_subrev_u32_e32 v31, s16, v60
	;; [unrolled: 2-line block ×3, first 2 shown]
	v_lshlrev_b32_e32 v8, 2, v8
	v_lshlrev_b32_e32 v60, 2, v9
	;; [unrolled: 1-line block ×4, first 2 shown]
	v_ashrrev_i32_e32 v9, 31, v8
	v_ashrrev_i32_e32 v61, 31, v60
	;; [unrolled: 1-line block ×4, first 2 shown]
	s_waitcnt lgkmcnt(0)
	v_lshl_add_u64 v[8:9], v[8:9], 1, s[4:5]
	v_lshl_add_u64 v[60:61], v[60:61], 1, s[4:5]
	;; [unrolled: 1-line block ×4, first 2 shown]
	global_load_dwordx2 v[66:67], v[8:9], off
	global_load_dwordx2 v[68:69], v[60:61], off
	;; [unrolled: 1-line block ×4, first 2 shown]
	v_and_b32_e32 v9, 0xffff0000, v10
	v_lshlrev_b32_e32 v8, 16, v10
	v_and_b32_e32 v61, 0xffff0000, v11
	v_lshlrev_b32_e32 v60, 16, v11
	;; [unrolled: 2-line block ×18, first 2 shown]
	s_waitcnt vmcnt(3)
	v_lshlrev_b32_e32 v42, 16, v66
	v_and_b32_e32 v66, 0xffff0000, v66
	v_pk_fma_f32 v[36:37], v[44:45], v[42:43], v[36:37] op_sel_hi:[1,0,1]
	v_pk_fma_f32 v[34:35], v[46:47], v[42:43], v[34:35] op_sel_hi:[1,0,1]
	v_lshlrev_b32_e32 v86, 16, v67
	v_pk_fma_f32 v[0:1], v[0:1], v[66:67], v[36:37] op_sel_hi:[1,0,1]
	v_pk_fma_f32 v[34:35], v[48:49], v[66:67], v[34:35] op_sel_hi:[1,0,1]
	v_and_b32_e32 v88, 0xffff0000, v67
	v_pk_fma_f32 v[0:1], v[2:3], v[86:87], v[0:1] op_sel_hi:[1,0,1]
	v_pk_fma_f32 v[34:35], v[50:51], v[86:87], v[34:35] op_sel_hi:[1,0,1]
	s_waitcnt vmcnt(2)
	v_lshlrev_b32_e32 v90, 16, v68
	v_pk_fma_f32 v[0:1], v[4:5], v[88:89], v[0:1] op_sel_hi:[1,0,1]
	v_pk_fma_f32 v[4:5], v[52:53], v[88:89], v[34:35] op_sel_hi:[1,0,1]
	v_and_b32_e32 v68, 0xffff0000, v68
	v_pk_fma_f32 v[0:1], v[6:7], v[90:91], v[0:1] op_sel_hi:[1,0,1]
	v_pk_fma_f32 v[4:5], v[54:55], v[90:91], v[4:5] op_sel_hi:[1,0,1]
	v_lshlrev_b32_e32 v44, 16, v69
	v_pk_fma_f32 v[0:1], v[12:13], v[68:69], v[0:1] op_sel_hi:[1,0,1]
	v_pk_fma_f32 v[4:5], v[56:57], v[68:69], v[4:5] op_sel_hi:[1,0,1]
	v_and_b32_e32 v92, 0xffff0000, v69
	v_pk_fma_f32 v[0:1], v[14:15], v[44:45], v[0:1] op_sel_hi:[1,0,1]
	v_pk_fma_f32 v[4:5], v[58:59], v[44:45], v[4:5] op_sel_hi:[1,0,1]
	s_waitcnt vmcnt(1)
	v_lshlrev_b32_e32 v42, 16, v70
	v_pk_fma_f32 v[0:1], v[8:9], v[92:93], v[0:1] op_sel_hi:[1,0,1]
	v_pk_fma_f32 v[4:5], v[60:61], v[92:93], v[4:5] op_sel_hi:[1,0,1]
	;; [unrolled: 13-line block ×3, first 2 shown]
	v_and_b32_e32 v66, 0xffff0000, v72
	v_pk_fma_f32 v[0:1], v[22:23], v[48:49], v[0:1] op_sel_hi:[1,0,1]
	v_pk_fma_f32 v[4:5], v[78:79], v[48:49], v[4:5] op_sel_hi:[1,0,1]
	v_lshlrev_b32_e32 v2, 16, v73
	v_pk_fma_f32 v[0:1], v[24:25], v[66:67], v[0:1] op_sel_hi:[1,0,1]
	v_pk_fma_f32 v[4:5], v[80:81], v[66:67], v[4:5] op_sel_hi:[1,0,1]
	v_and_b32_e32 v72, 0xffff0000, v73
	v_pk_fma_f32 v[0:1], v[26:27], v[2:3], v[0:1] op_sel_hi:[1,0,1]
	v_pk_fma_f32 v[2:3], v[82:83], v[2:3], v[4:5] op_sel_hi:[1,0,1]
	;; [unrolled: 1-line block ×4, first 2 shown]
	s_andn2_b64 exec, exec, s[10:11]
	s_cbranch_execnz .LBB108_33
; %bb.34:
	s_or_b64 exec, exec, s[10:11]
.LBB108_35:
	s_or_b64 exec, exec, s[2:3]
.LBB108_36:
	s_or_b64 exec, exec, s[6:7]
.LBB108_37:
	v_mov_b32_dpp v0, v36 row_shr:1 row_mask:0xf bank_mask:0xf
	v_mov_b32_dpp v1, v37 row_shr:1 row_mask:0xf bank_mask:0xf
	;; [unrolled: 1-line block ×4, first 2 shown]
	v_pk_add_f32 v[0:1], v[36:37], v[0:1]
	v_pk_add_f32 v[4:5], v[34:35], v[4:5]
	v_cmp_eq_u32_e32 vcc, 31, v29
	v_mov_b32_dpp v2, v0 row_shr:2 row_mask:0xf bank_mask:0xf
	v_mov_b32_dpp v3, v1 row_shr:2 row_mask:0xf bank_mask:0xf
	v_mov_b32_dpp v6, v4 row_shr:2 row_mask:0xf bank_mask:0xf
	v_mov_b32_dpp v7, v5 row_shr:2 row_mask:0xf bank_mask:0xf
	v_pk_add_f32 v[0:1], v[0:1], v[2:3]
	v_pk_add_f32 v[4:5], v[4:5], v[6:7]
	s_nop 0
	v_mov_b32_dpp v2, v0 row_shr:4 row_mask:0xf bank_mask:0xe
	v_mov_b32_dpp v3, v1 row_shr:4 row_mask:0xf bank_mask:0xe
	v_mov_b32_dpp v6, v4 row_shr:4 row_mask:0xf bank_mask:0xe
	v_mov_b32_dpp v7, v5 row_shr:4 row_mask:0xf bank_mask:0xe
	v_pk_add_f32 v[0:1], v[0:1], v[2:3]
	v_pk_add_f32 v[4:5], v[4:5], v[6:7]
	s_nop 0
	v_mov_b32_dpp v2, v0 row_shr:8 row_mask:0xf bank_mask:0xc
	v_mov_b32_dpp v3, v1 row_shr:8 row_mask:0xf bank_mask:0xc
	v_mov_b32_dpp v6, v4 row_shr:8 row_mask:0xf bank_mask:0xc
	v_mov_b32_dpp v7, v5 row_shr:8 row_mask:0xf bank_mask:0xc
	v_pk_add_f32 v[0:1], v[0:1], v[2:3]
	v_pk_add_f32 v[4:5], v[4:5], v[6:7]
	s_nop 0
	v_mov_b32_dpp v2, v0 row_bcast:15 row_mask:0xa bank_mask:0xf
	v_mov_b32_dpp v3, v1 row_bcast:15 row_mask:0xa bank_mask:0xf
	;; [unrolled: 1-line block ×4, first 2 shown]
	s_and_b64 exec, exec, vcc
	s_cbranch_execz .LBB108_10
; %bb.38:
	s_load_dwordx2 s[0:1], s[0:1], 0x50
	v_cmp_eq_f32_e64 s[2:3], s14, 0
	v_pk_add_f32 v[2:3], v[0:1], v[2:3]
	v_pk_add_f32 v[0:1], v[4:5], v[6:7]
	s_and_b64 vcc, exec, s[2:3]
	v_lshlrev_b32_e32 v4, 2, v28
	s_cbranch_vccz .LBB108_40
; %bb.39:
	v_ashrrev_i32_e32 v5, 31, v4
	s_waitcnt lgkmcnt(0)
	v_lshl_add_u64 v[10:11], v[4:5], 2, s[0:1]
	v_pk_mul_f32 v[6:7], s[12:13], v[2:3] op_sel_hi:[0,1]
	v_pk_mul_f32 v[8:9], s[12:13], v[0:1] op_sel_hi:[0,1]
	global_store_dwordx4 v[10:11], v[6:9], off
	s_cbranch_execnz .LBB108_10
	s_branch .LBB108_41
.LBB108_40:
.LBB108_41:
	v_ashrrev_i32_e32 v5, 31, v4
	s_waitcnt lgkmcnt(0)
	v_lshl_add_u64 v[8:9], v[4:5], 2, s[0:1]
	global_load_dwordx4 v[4:7], v[8:9], off
	v_pk_mul_f32 v[2:3], s[12:13], v[2:3] op_sel_hi:[0,1]
	v_pk_mul_f32 v[10:11], s[12:13], v[0:1] op_sel_hi:[0,1]
	s_waitcnt vmcnt(0)
	v_pk_fma_f32 v[0:1], s[14:15], v[4:5], v[2:3] op_sel_hi:[0,1,1]
	v_pk_fma_f32 v[2:3], s[14:15], v[6:7], v[10:11] op_sel_hi:[0,1,1]
	global_store_dwordx4 v[8:9], v[0:3], off
	s_endpgm
	.section	.rodata,"a",@progbits
	.p2align	6, 0x0
	.amdhsa_kernel _ZN9rocsparseL18bsrxmvn_4x4_kernelILj128ELj32Efii18rocsparse_bfloat16S1_fEEvT3_20rocsparse_direction_NS_24const_host_device_scalarIT1_EES2_PKS2_PKT2_SB_S8_PKT4_PKT5_S6_PT6_21rocsparse_index_base_b
		.amdhsa_group_segment_fixed_size 0
		.amdhsa_private_segment_fixed_size 0
		.amdhsa_kernarg_size 96
		.amdhsa_user_sgpr_count 2
		.amdhsa_user_sgpr_dispatch_ptr 0
		.amdhsa_user_sgpr_queue_ptr 0
		.amdhsa_user_sgpr_kernarg_segment_ptr 1
		.amdhsa_user_sgpr_dispatch_id 0
		.amdhsa_user_sgpr_kernarg_preload_length 0
		.amdhsa_user_sgpr_kernarg_preload_offset 0
		.amdhsa_user_sgpr_private_segment_size 0
		.amdhsa_uses_dynamic_stack 0
		.amdhsa_enable_private_segment 0
		.amdhsa_system_sgpr_workgroup_id_x 1
		.amdhsa_system_sgpr_workgroup_id_y 0
		.amdhsa_system_sgpr_workgroup_id_z 0
		.amdhsa_system_sgpr_workgroup_info 0
		.amdhsa_system_vgpr_workitem_id 0
		.amdhsa_next_free_vgpr 100
		.amdhsa_next_free_sgpr 22
		.amdhsa_accum_offset 100
		.amdhsa_reserve_vcc 1
		.amdhsa_float_round_mode_32 0
		.amdhsa_float_round_mode_16_64 0
		.amdhsa_float_denorm_mode_32 3
		.amdhsa_float_denorm_mode_16_64 3
		.amdhsa_dx10_clamp 1
		.amdhsa_ieee_mode 1
		.amdhsa_fp16_overflow 0
		.amdhsa_tg_split 0
		.amdhsa_exception_fp_ieee_invalid_op 0
		.amdhsa_exception_fp_denorm_src 0
		.amdhsa_exception_fp_ieee_div_zero 0
		.amdhsa_exception_fp_ieee_overflow 0
		.amdhsa_exception_fp_ieee_underflow 0
		.amdhsa_exception_fp_ieee_inexact 0
		.amdhsa_exception_int_div_zero 0
	.end_amdhsa_kernel
	.section	.text._ZN9rocsparseL18bsrxmvn_4x4_kernelILj128ELj32Efii18rocsparse_bfloat16S1_fEEvT3_20rocsparse_direction_NS_24const_host_device_scalarIT1_EES2_PKS2_PKT2_SB_S8_PKT4_PKT5_S6_PT6_21rocsparse_index_base_b,"axG",@progbits,_ZN9rocsparseL18bsrxmvn_4x4_kernelILj128ELj32Efii18rocsparse_bfloat16S1_fEEvT3_20rocsparse_direction_NS_24const_host_device_scalarIT1_EES2_PKS2_PKT2_SB_S8_PKT4_PKT5_S6_PT6_21rocsparse_index_base_b,comdat
.Lfunc_end108:
	.size	_ZN9rocsparseL18bsrxmvn_4x4_kernelILj128ELj32Efii18rocsparse_bfloat16S1_fEEvT3_20rocsparse_direction_NS_24const_host_device_scalarIT1_EES2_PKS2_PKT2_SB_S8_PKT4_PKT5_S6_PT6_21rocsparse_index_base_b, .Lfunc_end108-_ZN9rocsparseL18bsrxmvn_4x4_kernelILj128ELj32Efii18rocsparse_bfloat16S1_fEEvT3_20rocsparse_direction_NS_24const_host_device_scalarIT1_EES2_PKS2_PKT2_SB_S8_PKT4_PKT5_S6_PT6_21rocsparse_index_base_b
                                        ; -- End function
	.set _ZN9rocsparseL18bsrxmvn_4x4_kernelILj128ELj32Efii18rocsparse_bfloat16S1_fEEvT3_20rocsparse_direction_NS_24const_host_device_scalarIT1_EES2_PKS2_PKT2_SB_S8_PKT4_PKT5_S6_PT6_21rocsparse_index_base_b.num_vgpr, 100
	.set _ZN9rocsparseL18bsrxmvn_4x4_kernelILj128ELj32Efii18rocsparse_bfloat16S1_fEEvT3_20rocsparse_direction_NS_24const_host_device_scalarIT1_EES2_PKS2_PKT2_SB_S8_PKT4_PKT5_S6_PT6_21rocsparse_index_base_b.num_agpr, 0
	.set _ZN9rocsparseL18bsrxmvn_4x4_kernelILj128ELj32Efii18rocsparse_bfloat16S1_fEEvT3_20rocsparse_direction_NS_24const_host_device_scalarIT1_EES2_PKS2_PKT2_SB_S8_PKT4_PKT5_S6_PT6_21rocsparse_index_base_b.numbered_sgpr, 22
	.set _ZN9rocsparseL18bsrxmvn_4x4_kernelILj128ELj32Efii18rocsparse_bfloat16S1_fEEvT3_20rocsparse_direction_NS_24const_host_device_scalarIT1_EES2_PKS2_PKT2_SB_S8_PKT4_PKT5_S6_PT6_21rocsparse_index_base_b.num_named_barrier, 0
	.set _ZN9rocsparseL18bsrxmvn_4x4_kernelILj128ELj32Efii18rocsparse_bfloat16S1_fEEvT3_20rocsparse_direction_NS_24const_host_device_scalarIT1_EES2_PKS2_PKT2_SB_S8_PKT4_PKT5_S6_PT6_21rocsparse_index_base_b.private_seg_size, 0
	.set _ZN9rocsparseL18bsrxmvn_4x4_kernelILj128ELj32Efii18rocsparse_bfloat16S1_fEEvT3_20rocsparse_direction_NS_24const_host_device_scalarIT1_EES2_PKS2_PKT2_SB_S8_PKT4_PKT5_S6_PT6_21rocsparse_index_base_b.uses_vcc, 1
	.set _ZN9rocsparseL18bsrxmvn_4x4_kernelILj128ELj32Efii18rocsparse_bfloat16S1_fEEvT3_20rocsparse_direction_NS_24const_host_device_scalarIT1_EES2_PKS2_PKT2_SB_S8_PKT4_PKT5_S6_PT6_21rocsparse_index_base_b.uses_flat_scratch, 0
	.set _ZN9rocsparseL18bsrxmvn_4x4_kernelILj128ELj32Efii18rocsparse_bfloat16S1_fEEvT3_20rocsparse_direction_NS_24const_host_device_scalarIT1_EES2_PKS2_PKT2_SB_S8_PKT4_PKT5_S6_PT6_21rocsparse_index_base_b.has_dyn_sized_stack, 0
	.set _ZN9rocsparseL18bsrxmvn_4x4_kernelILj128ELj32Efii18rocsparse_bfloat16S1_fEEvT3_20rocsparse_direction_NS_24const_host_device_scalarIT1_EES2_PKS2_PKT2_SB_S8_PKT4_PKT5_S6_PT6_21rocsparse_index_base_b.has_recursion, 0
	.set _ZN9rocsparseL18bsrxmvn_4x4_kernelILj128ELj32Efii18rocsparse_bfloat16S1_fEEvT3_20rocsparse_direction_NS_24const_host_device_scalarIT1_EES2_PKS2_PKT2_SB_S8_PKT4_PKT5_S6_PT6_21rocsparse_index_base_b.has_indirect_call, 0
	.section	.AMDGPU.csdata,"",@progbits
; Kernel info:
; codeLenInByte = 3864
; TotalNumSgprs: 28
; NumVgprs: 100
; NumAgprs: 0
; TotalNumVgprs: 100
; ScratchSize: 0
; MemoryBound: 0
; FloatMode: 240
; IeeeMode: 1
; LDSByteSize: 0 bytes/workgroup (compile time only)
; SGPRBlocks: 3
; VGPRBlocks: 12
; NumSGPRsForWavesPerEU: 28
; NumVGPRsForWavesPerEU: 100
; AccumOffset: 100
; Occupancy: 4
; WaveLimiterHint : 1
; COMPUTE_PGM_RSRC2:SCRATCH_EN: 0
; COMPUTE_PGM_RSRC2:USER_SGPR: 2
; COMPUTE_PGM_RSRC2:TRAP_HANDLER: 0
; COMPUTE_PGM_RSRC2:TGID_X_EN: 1
; COMPUTE_PGM_RSRC2:TGID_Y_EN: 0
; COMPUTE_PGM_RSRC2:TGID_Z_EN: 0
; COMPUTE_PGM_RSRC2:TIDIG_COMP_CNT: 0
; COMPUTE_PGM_RSRC3_GFX90A:ACCUM_OFFSET: 24
; COMPUTE_PGM_RSRC3_GFX90A:TG_SPLIT: 0
	.section	.text._ZN9rocsparseL18bsrxmvn_4x4_kernelILj128ELj64Efii18rocsparse_bfloat16S1_fEEvT3_20rocsparse_direction_NS_24const_host_device_scalarIT1_EES2_PKS2_PKT2_SB_S8_PKT4_PKT5_S6_PT6_21rocsparse_index_base_b,"axG",@progbits,_ZN9rocsparseL18bsrxmvn_4x4_kernelILj128ELj64Efii18rocsparse_bfloat16S1_fEEvT3_20rocsparse_direction_NS_24const_host_device_scalarIT1_EES2_PKS2_PKT2_SB_S8_PKT4_PKT5_S6_PT6_21rocsparse_index_base_b,comdat
	.globl	_ZN9rocsparseL18bsrxmvn_4x4_kernelILj128ELj64Efii18rocsparse_bfloat16S1_fEEvT3_20rocsparse_direction_NS_24const_host_device_scalarIT1_EES2_PKS2_PKT2_SB_S8_PKT4_PKT5_S6_PT6_21rocsparse_index_base_b ; -- Begin function _ZN9rocsparseL18bsrxmvn_4x4_kernelILj128ELj64Efii18rocsparse_bfloat16S1_fEEvT3_20rocsparse_direction_NS_24const_host_device_scalarIT1_EES2_PKS2_PKT2_SB_S8_PKT4_PKT5_S6_PT6_21rocsparse_index_base_b
	.p2align	8
	.type	_ZN9rocsparseL18bsrxmvn_4x4_kernelILj128ELj64Efii18rocsparse_bfloat16S1_fEEvT3_20rocsparse_direction_NS_24const_host_device_scalarIT1_EES2_PKS2_PKT2_SB_S8_PKT4_PKT5_S6_PT6_21rocsparse_index_base_b,@function
_ZN9rocsparseL18bsrxmvn_4x4_kernelILj128ELj64Efii18rocsparse_bfloat16S1_fEEvT3_20rocsparse_direction_NS_24const_host_device_scalarIT1_EES2_PKS2_PKT2_SB_S8_PKT4_PKT5_S6_PT6_21rocsparse_index_base_b: ; @_ZN9rocsparseL18bsrxmvn_4x4_kernelILj128ELj64Efii18rocsparse_bfloat16S1_fEEvT3_20rocsparse_direction_NS_24const_host_device_scalarIT1_EES2_PKS2_PKT2_SB_S8_PKT4_PKT5_S6_PT6_21rocsparse_index_base_b
; %bb.0:
	s_load_dwordx2 s[16:17], s[0:1], 0x58
	s_load_dwordx2 s[12:13], s[0:1], 0x8
	s_load_dwordx2 s[14:15], s[0:1], 0x48
	s_waitcnt lgkmcnt(0)
	s_bitcmp1_b32 s17, 0
	s_cselect_b64 s[6:7], -1, 0
	s_xor_b64 s[4:5], s[6:7], -1
	s_and_b64 vcc, exec, s[6:7]
	s_cbranch_vccnz .LBB109_2
; %bb.1:
	s_load_dword s12, s[12:13], 0x0
.LBB109_2:
	s_andn2_b64 vcc, exec, s[4:5]
	s_cbranch_vccnz .LBB109_4
; %bb.3:
	s_load_dword s14, s[14:15], 0x0
.LBB109_4:
	s_waitcnt lgkmcnt(0)
	v_cmp_neq_f32_e64 s[4:5], s12, 0
	v_cmp_neq_f32_e64 s[6:7], s14, 1.0
	s_or_b64 s[4:5], s[4:5], s[6:7]
	s_andn2_b64 vcc, exec, s[4:5]
	s_cbranch_vccnz .LBB109_10
; %bb.5:
	s_load_dwordx2 s[4:5], s[0:1], 0x18
	s_load_dwordx2 s[18:19], s[0:1], 0x0
	v_lshrrev_b32_e32 v1, 6, v0
	v_lshl_or_b32 v16, s2, 1, v1
	s_mov_b64 s[2:3], 0
	s_waitcnt lgkmcnt(0)
	s_cmp_lg_u64 s[4:5], 0
	s_cbranch_scc0 .LBB109_11
; %bb.6:
	s_load_dword s6, s[0:1], 0x10
                                        ; implicit-def: $vgpr1
	s_waitcnt lgkmcnt(0)
	v_cmp_gt_i32_e32 vcc, s6, v16
	s_and_saveexec_b64 s[6:7], vcc
	s_xor_b64 s[6:7], exec, s[6:7]
	s_cbranch_execz .LBB109_8
; %bb.7:
	v_ashrrev_i32_e32 v17, 31, v16
	v_lshl_add_u64 v[2:3], v[16:17], 2, s[4:5]
	global_load_dword v1, v[2:3], off
	s_mov_b64 s[2:3], exec
	s_waitcnt vmcnt(0)
	v_subrev_u32_e32 v1, s16, v1
.LBB109_8:
	s_or_b64 exec, exec, s[6:7]
	s_branch .LBB109_12
.LBB109_9:
	v_cmp_gt_i32_e32 vcc, s18, v16
	s_andn2_b64 s[2:3], s[2:3], exec
	s_and_b64 s[4:5], vcc, exec
	s_or_b64 s[2:3], s[2:3], s[4:5]
	s_and_saveexec_b64 s[4:5], s[2:3]
	s_cbranch_execnz .LBB109_13
.LBB109_10:
	s_endpgm
.LBB109_11:
                                        ; implicit-def: $vgpr1
	s_cbranch_execnz .LBB109_9
.LBB109_12:
	v_mov_b32_e32 v16, v1
	s_and_saveexec_b64 s[4:5], s[2:3]
	s_cbranch_execz .LBB109_10
.LBB109_13:
	s_load_dwordx8 s[4:11], s[0:1], 0x20
	v_ashrrev_i32_e32 v17, 31, v16
	v_lshlrev_b64 v[2:3], 2, v[16:17]
	v_and_b32_e32 v17, 63, v0
	s_waitcnt lgkmcnt(0)
	v_lshl_add_u64 v[6:7], s[4:5], 0, v[2:3]
	s_cmp_eq_u64 s[6:7], 0
	global_load_dword v4, v[6:7], off
	v_lshl_add_u64 v[6:7], v[6:7], 0, 4
	v_lshl_add_u64 v[2:3], s[6:7], 0, v[2:3]
	s_cselect_b64 vcc, -1, 0
	v_cndmask_b32_e32 v3, v3, v7, vcc
	v_cndmask_b32_e32 v2, v2, v6, vcc
	global_load_dword v1, v[2:3], off
	s_load_dwordx2 s[4:5], s[0:1], 0x40
	s_cmp_eq_u32 s19, 1
	s_waitcnt vmcnt(1)
	v_subrev_u32_e32 v0, s16, v4
	v_add_u32_e32 v18, v0, v17
	v_ashrrev_i32_e32 v19, 31, v18
	s_waitcnt vmcnt(0)
	v_subrev_u32_e32 v28, s16, v1
	v_lshlrev_b64 v[0:1], 5, v[18:19]
	v_lshl_add_u64 v[20:21], s[10:11], 0, v[0:1]
	v_cmp_lt_i32_e64 s[2:3], v18, v28
	s_cbranch_scc1 .LBB109_25
; %bb.14:
	v_mov_b32_e32 v23, 0
	v_mov_b32_e32 v22, 0
	;; [unrolled: 1-line block ×4, first 2 shown]
	s_and_saveexec_b64 s[6:7], s[2:3]
	s_cbranch_execz .LBB109_24
; %bb.15:
	v_add_u32_e32 v0, v4, v17
	v_subrev_u32_e32 v0, s16, v0
	v_add_u32_e32 v0, 64, v0
	v_max_i32_e32 v0, v0, v28
	v_not_b32_e32 v1, v4
	v_add3_u32 v0, s16, v0, v1
	v_sub_u32_e32 v5, v0, v17
	v_mov_b32_e32 v22, 0
	s_movk_i32 s10, 0xc0
	v_and_b32_e32 v0, 0xc0, v5
	v_mov_b32_e32 v23, v22
	v_cmp_ne_u32_e32 vcc, s10, v0
	v_mov_b64_e32 v[24:25], v[22:23]
	v_mov_b32_e32 v0, v18
	v_mov_b64_e32 v[2:3], v[20:21]
	s_and_saveexec_b64 s[10:11], vcc
	s_cbranch_execz .LBB109_19
; %bb.16:
	v_lshrrev_b32_e32 v0, 6, v5
	v_add_u32_e32 v0, 1, v0
	v_and_b32_e32 v0, 3, v0
	v_sub_u32_e32 v6, 0, v0
	s_mov_b64 s[18:19], 0
	s_mov_b64 s[20:21], 0x800
	v_mov_b64_e32 v[2:3], v[20:21]
	v_mov_b32_e32 v0, v18
	v_mov_b32_e32 v23, v22
	;; [unrolled: 1-line block ×4, first 2 shown]
.LBB109_17:                             ; =>This Inner Loop Header: Depth=1
	v_ashrrev_i32_e32 v1, 31, v0
	v_lshl_add_u64 v[26:27], v[0:1], 2, s[8:9]
	global_load_dword v1, v[26:27], off
	global_load_dwordx4 v[8:11], v[2:3], off
	global_load_dwordx4 v[12:15], v[2:3], off offset:16
	v_add_co_u32_e32 v6, vcc, 1, v6
	v_lshl_add_u64 v[2:3], v[2:3], 0, s[20:21]
	v_add_u32_e32 v0, 64, v0
	s_or_b64 s[18:19], vcc, s[18:19]
	s_waitcnt vmcnt(2)
	v_subrev_u32_e32 v1, s16, v1
	v_lshlrev_b32_e32 v26, 2, v1
	v_ashrrev_i32_e32 v27, 31, v26
	s_waitcnt lgkmcnt(0)
	v_lshl_add_u64 v[26:27], v[26:27], 1, s[4:5]
	global_load_dwordx2 v[26:27], v[26:27], off
	s_waitcnt vmcnt(2)
	v_lshlrev_b32_e32 v33, 16, v10
	v_lshlrev_b32_e32 v32, 16, v8
	v_and_b32_e32 v35, 0xffff0000, v10
	v_lshlrev_b32_e32 v37, 16, v11
	v_and_b32_e32 v31, 0xffff0000, v11
	s_waitcnt vmcnt(1)
	v_lshlrev_b32_e32 v11, 16, v14
	v_lshlrev_b32_e32 v10, 16, v12
	v_and_b32_e32 v38, 0xffff0000, v12
	v_and_b32_e32 v34, 0xffff0000, v8
	;; [unrolled: 1-line block ×3, first 2 shown]
	v_lshlrev_b32_e32 v36, 16, v9
	v_and_b32_e32 v8, 0xffff0000, v13
	v_lshlrev_b32_e32 v41, 16, v15
	v_lshlrev_b32_e32 v40, 16, v13
	v_and_b32_e32 v30, 0xffff0000, v9
	v_and_b32_e32 v9, 0xffff0000, v15
	s_waitcnt vmcnt(0)
	v_lshlrev_b32_e32 v12, 16, v26
	v_and_b32_e32 v14, 0xffff0000, v26
	v_pk_fma_f32 v[24:25], v[32:33], v[12:13], v[24:25] op_sel_hi:[1,0,1]
	v_pk_fma_f32 v[10:11], v[10:11], v[12:13], v[22:23] op_sel_hi:[1,0,1]
	v_lshlrev_b32_e32 v26, 16, v27
	v_pk_fma_f32 v[12:13], v[34:35], v[14:15], v[24:25] op_sel_hi:[1,0,1]
	v_pk_fma_f32 v[10:11], v[38:39], v[14:15], v[10:11] op_sel_hi:[1,0,1]
	v_and_b32_e32 v42, 0xffff0000, v27
	v_pk_fma_f32 v[12:13], v[36:37], v[26:27], v[12:13] op_sel_hi:[1,0,1]
	v_pk_fma_f32 v[10:11], v[40:41], v[26:27], v[10:11] op_sel_hi:[1,0,1]
	;; [unrolled: 1-line block ×4, first 2 shown]
	s_andn2_b64 exec, exec, s[18:19]
	s_cbranch_execnz .LBB109_17
; %bb.18:
	s_or_b64 exec, exec, s[18:19]
.LBB109_19:
	s_or_b64 exec, exec, s[10:11]
	s_movk_i32 s10, 0xbf
	v_cmp_lt_u32_e32 vcc, s10, v5
	s_and_saveexec_b64 s[10:11], vcc
	s_cbranch_execz .LBB109_23
; %bb.20:
	s_mov_b64 s[18:19], 0x181e
	v_lshl_add_u64 v[2:3], v[2:3], 0, s[18:19]
	s_mov_b64 s[18:19], 0
	s_movk_i32 s13, 0xf000
	s_mov_b64 s[20:21], 0x2000
.LBB109_21:                             ; =>This Inner Loop Header: Depth=1
	v_ashrrev_i32_e32 v1, 31, v0
	v_add_co_u32_e32 v14, vcc, s13, v2
	v_lshl_add_u64 v[26:27], v[0:1], 2, s[8:9]
	s_nop 0
	v_addc_co_u32_e32 v15, vcc, -1, v3, vcc
	global_load_dwordx4 v[6:9], v[2:3], off offset:-2078
	global_load_dwordx4 v[10:13], v[2:3], off offset:-2062
	;; [unrolled: 1-line block ×8, first 2 shown]
	global_load_dword v1, v[26:27], off
	global_load_dword v5, v[26:27], off offset:256
	global_load_dword v19, v[26:27], off offset:512
	;; [unrolled: 1-line block ×3, first 2 shown]
	v_add_u32_e32 v0, 0x100, v0
	v_cmp_ge_i32_e32 vcc, v0, v28
	v_lshl_add_u64 v[2:3], v[2:3], 0, s[20:21]
	s_or_b64 s[18:19], vcc, s[18:19]
	s_waitcnt vmcnt(11)
	v_and_b32_e32 v14, 0xffff0000, v7
	v_lshlrev_b32_e32 v27, 16, v8
	s_waitcnt vmcnt(3)
	v_subrev_u32_e32 v1, s16, v1
	s_waitcnt vmcnt(2)
	v_subrev_u32_e32 v5, s16, v5
	;; [unrolled: 2-line block ×4, first 2 shown]
	v_lshlrev_b32_e32 v68, 2, v1
	v_lshlrev_b32_e32 v70, 2, v5
	;; [unrolled: 1-line block ×4, first 2 shown]
	v_ashrrev_i32_e32 v69, 31, v68
	v_ashrrev_i32_e32 v71, 31, v70
	;; [unrolled: 1-line block ×4, first 2 shown]
	s_waitcnt lgkmcnt(0)
	v_lshl_add_u64 v[68:69], v[68:69], 1, s[4:5]
	v_lshl_add_u64 v[70:71], v[70:71], 1, s[4:5]
	;; [unrolled: 1-line block ×4, first 2 shown]
	global_load_dwordx2 v[76:77], v[68:69], off
	global_load_dwordx2 v[78:79], v[70:71], off
	;; [unrolled: 1-line block ×4, first 2 shown]
	v_lshlrev_b32_e32 v26, 16, v6
	v_and_b32_e32 v55, 0xffff0000, v8
	v_and_b32_e32 v54, 0xffff0000, v6
	v_lshlrev_b32_e32 v57, 16, v9
	v_lshlrev_b32_e32 v56, 16, v7
	v_and_b32_e32 v15, 0xffff0000, v9
	v_and_b32_e32 v6, 0xffff0000, v11
	v_lshlrev_b32_e32 v9, 16, v12
	;; [unrolled: 4-line block ×8, first 2 shown]
	v_lshlrev_b32_e32 v36, 16, v38
	v_and_b32_e32 v71, 0xffff0000, v40
	v_lshlrev_b32_e32 v73, 16, v41
	v_lshlrev_b32_e32 v72, 16, v39
	v_and_b32_e32 v35, 0xffff0000, v41
	v_lshlrev_b32_e32 v41, 16, v44
	v_lshlrev_b32_e32 v40, 16, v42
	;; [unrolled: 1-line block ×3, first 2 shown]
	v_and_b32_e32 v39, 0xffff0000, v45
	v_lshlrev_b32_e32 v45, 16, v48
	v_and_b32_e32 v87, 0xffff0000, v48
	v_lshlrev_b32_e32 v48, 16, v50
	v_and_b32_e32 v90, 0xffff0000, v50
	v_and_b32_e32 v70, 0xffff0000, v38
	;; [unrolled: 1-line block ×5, first 2 shown]
	v_lshlrev_b32_e32 v84, 16, v43
	v_lshlrev_b32_e32 v89, 16, v49
	v_and_b32_e32 v43, 0xffff0000, v49
	v_lshlrev_b32_e32 v49, 16, v52
	v_and_b32_e32 v91, 0xffff0000, v52
	;; [unrolled: 2-line block ×3, first 2 shown]
	v_lshlrev_b32_e32 v88, 16, v47
	v_lshlrev_b32_e32 v93, 16, v53
	;; [unrolled: 1-line block ×3, first 2 shown]
	v_and_b32_e32 v42, 0xffff0000, v47
	v_and_b32_e32 v46, 0xffff0000, v51
	;; [unrolled: 1-line block ×3, first 2 shown]
	s_waitcnt vmcnt(3)
	v_lshlrev_b32_e32 v50, 16, v76
	v_and_b32_e32 v52, 0xffff0000, v76
	v_pk_fma_f32 v[24:25], v[36:37], v[50:51], v[24:25] op_sel_hi:[1,0,1]
	v_pk_fma_f32 v[22:23], v[40:41], v[50:51], v[22:23] op_sel_hi:[1,0,1]
	v_lshlrev_b32_e32 v76, 16, v77
	v_pk_fma_f32 v[24:25], v[70:71], v[52:53], v[24:25] op_sel_hi:[1,0,1]
	v_pk_fma_f32 v[22:23], v[74:75], v[52:53], v[22:23] op_sel_hi:[1,0,1]
	v_and_b32_e32 v94, 0xffff0000, v77
	v_pk_fma_f32 v[24:25], v[72:73], v[76:77], v[24:25] op_sel_hi:[1,0,1]
	v_pk_fma_f32 v[22:23], v[84:85], v[76:77], v[22:23] op_sel_hi:[1,0,1]
	s_waitcnt vmcnt(2)
	v_lshlrev_b32_e32 v96, 16, v78
	v_pk_fma_f32 v[24:25], v[34:35], v[94:95], v[24:25] op_sel_hi:[1,0,1]
	v_pk_fma_f32 v[22:23], v[38:39], v[94:95], v[22:23] op_sel_hi:[1,0,1]
	v_and_b32_e32 v78, 0xffff0000, v78
	v_pk_fma_f32 v[24:25], v[44:45], v[96:97], v[24:25] op_sel_hi:[1,0,1]
	v_pk_fma_f32 v[22:23], v[48:49], v[96:97], v[22:23] op_sel_hi:[1,0,1]
	v_lshlrev_b32_e32 v36, 16, v79
	v_pk_fma_f32 v[24:25], v[86:87], v[78:79], v[24:25] op_sel_hi:[1,0,1]
	v_pk_fma_f32 v[22:23], v[90:91], v[78:79], v[22:23] op_sel_hi:[1,0,1]
	v_and_b32_e32 v98, 0xffff0000, v79
	v_pk_fma_f32 v[24:25], v[88:89], v[36:37], v[24:25] op_sel_hi:[1,0,1]
	v_pk_fma_f32 v[22:23], v[92:93], v[36:37], v[22:23] op_sel_hi:[1,0,1]
	s_waitcnt vmcnt(1)
	v_lshlrev_b32_e32 v40, 16, v80
	v_pk_fma_f32 v[24:25], v[42:43], v[98:99], v[24:25] op_sel_hi:[1,0,1]
	v_pk_fma_f32 v[22:23], v[46:47], v[98:99], v[22:23] op_sel_hi:[1,0,1]
	;; [unrolled: 13-line block ×3, first 2 shown]
	v_and_b32_e32 v74, 0xffff0000, v82
	v_pk_fma_f32 v[8:9], v[12:13], v[52:53], v[14:15] op_sel_hi:[1,0,1]
	v_pk_fma_f32 v[6:7], v[32:33], v[52:53], v[6:7] op_sel_hi:[1,0,1]
	v_lshlrev_b32_e32 v72, 16, v83
	v_pk_fma_f32 v[8:9], v[62:63], v[74:75], v[8:9] op_sel_hi:[1,0,1]
	v_pk_fma_f32 v[6:7], v[66:67], v[74:75], v[6:7] op_sel_hi:[1,0,1]
	v_and_b32_e32 v82, 0xffff0000, v83
	v_pk_fma_f32 v[8:9], v[64:65], v[72:73], v[8:9] op_sel_hi:[1,0,1]
	v_pk_fma_f32 v[6:7], v[68:69], v[72:73], v[6:7] op_sel_hi:[1,0,1]
	;; [unrolled: 1-line block ×4, first 2 shown]
	s_andn2_b64 exec, exec, s[18:19]
	s_cbranch_execnz .LBB109_21
; %bb.22:
	s_or_b64 exec, exec, s[18:19]
.LBB109_23:
	s_or_b64 exec, exec, s[10:11]
.LBB109_24:
	s_or_b64 exec, exec, s[6:7]
	s_cbranch_execz .LBB109_26
	s_branch .LBB109_37
.LBB109_25:
                                        ; implicit-def: $vgpr23
                                        ; implicit-def: $vgpr25
.LBB109_26:
	v_mov_b32_e32 v23, 0
	v_mov_b32_e32 v22, 0
	;; [unrolled: 1-line block ×4, first 2 shown]
	s_and_saveexec_b64 s[6:7], s[2:3]
	s_cbranch_execz .LBB109_36
; %bb.27:
	v_add_u32_e32 v0, v4, v17
	v_subrev_u32_e32 v0, s16, v0
	v_add_u32_e32 v0, 64, v0
	v_max_i32_e32 v0, v0, v28
	v_not_b32_e32 v1, v4
	v_add3_u32 v0, s16, v0, v1
	v_sub_u32_e32 v0, v0, v17
	v_mov_b32_e32 v22, 0
	s_movk_i32 s2, 0xc0
	v_and_b32_e32 v1, 0xc0, v0
	v_mov_b32_e32 v23, v22
	v_cmp_ne_u32_e32 vcc, s2, v1
	v_mov_b64_e32 v[24:25], v[22:23]
	s_and_saveexec_b64 s[2:3], vcc
	s_cbranch_execz .LBB109_31
; %bb.28:
	v_lshrrev_b32_e32 v1, 6, v0
	v_add_u32_e32 v1, 1, v1
	v_and_b32_e32 v1, 3, v1
	v_sub_u32_e32 v1, 0, v1
	s_mov_b64 s[10:11], 0
	s_mov_b64 s[18:19], 0x800
	v_mov_b32_e32 v23, v22
	v_mov_b32_e32 v24, v22
	;; [unrolled: 1-line block ×3, first 2 shown]
.LBB109_29:                             ; =>This Inner Loop Header: Depth=1
	v_ashrrev_i32_e32 v19, 31, v18
	v_lshl_add_u64 v[6:7], v[18:19], 2, s[8:9]
	global_load_dword v8, v[6:7], off
	global_load_dwordx4 v[2:5], v[20:21], off
	v_add_co_u32_e32 v1, vcc, 1, v1
	v_add_u32_e32 v18, 64, v18
	s_or_b64 s[10:11], vcc, s[10:11]
	s_waitcnt vmcnt(1)
	v_subrev_u32_e32 v6, s16, v8
	v_lshlrev_b32_e32 v6, 2, v6
	v_ashrrev_i32_e32 v7, 31, v6
	s_waitcnt lgkmcnt(0)
	v_lshl_add_u64 v[10:11], v[6:7], 1, s[4:5]
	global_load_dwordx2 v[12:13], v[10:11], off
	global_load_dwordx4 v[6:9], v[20:21], off offset:16
	s_waitcnt vmcnt(2)
	v_and_b32_e32 v11, 0xffff0000, v2
	v_lshlrev_b32_e32 v10, 16, v2
	v_and_b32_e32 v15, 0xffff0000, v4
	v_lshlrev_b32_e32 v14, 16, v4
	;; [unrolled: 2-line block ×4, first 2 shown]
	v_lshl_add_u64 v[20:21], v[20:21], 0, s[18:19]
	s_waitcnt vmcnt(1)
	v_lshlrev_b32_e32 v34, 16, v13
	s_waitcnt vmcnt(0)
	v_and_b32_e32 v5, 0xffff0000, v6
	v_lshlrev_b32_e32 v4, 16, v6
	v_and_b32_e32 v31, 0xffff0000, v7
	v_lshlrev_b32_e32 v30, 16, v7
	;; [unrolled: 2-line block ×3, first 2 shown]
	v_lshlrev_b32_e32 v8, 16, v12
	v_and_b32_e32 v33, 0xffff0000, v9
	v_lshlrev_b32_e32 v32, 16, v9
	v_and_b32_e32 v12, 0xffff0000, v12
	v_pk_fma_f32 v[10:11], v[10:11], v[8:9], v[24:25] op_sel_hi:[1,0,1]
	v_pk_fma_f32 v[8:9], v[26:27], v[8:9], v[22:23] op_sel_hi:[1,0,1]
	;; [unrolled: 1-line block ×4, first 2 shown]
	v_and_b32_e32 v36, 0xffff0000, v13
	v_pk_fma_f32 v[4:5], v[4:5], v[34:35], v[10:11] op_sel_hi:[1,0,1]
	v_pk_fma_f32 v[2:3], v[30:31], v[34:35], v[2:3] op_sel_hi:[1,0,1]
	;; [unrolled: 1-line block ×4, first 2 shown]
	s_andn2_b64 exec, exec, s[10:11]
	s_cbranch_execnz .LBB109_29
; %bb.30:
	s_or_b64 exec, exec, s[10:11]
.LBB109_31:
	s_or_b64 exec, exec, s[2:3]
	s_movk_i32 s2, 0xbf
	v_cmp_lt_u32_e32 vcc, s2, v0
	s_and_saveexec_b64 s[2:3], vcc
	s_cbranch_execz .LBB109_35
; %bb.32:
	s_mov_b64 s[10:11], 0
	s_mov_b64 s[18:19], 0x1000
	s_movk_i32 s13, 0x1000
	s_mov_b64 s[20:21], 0x2000
.LBB109_33:                             ; =>This Inner Loop Header: Depth=1
	v_lshl_add_u64 v[26:27], v[20:21], 0, s[18:19]
	v_add_co_u32_e32 v46, vcc, s13, v20
	v_ashrrev_i32_e32 v19, 31, v18
	global_load_dwordx4 v[0:3], v[20:21], off
	global_load_dwordx4 v[4:7], v[20:21], off offset:16
	global_load_dwordx4 v[12:15], v[20:21], off offset:2048
	;; [unrolled: 1-line block ×3, first 2 shown]
	v_addc_co_u32_e32 v47, vcc, 0, v21, vcc
	global_load_dwordx4 v[30:33], v[26:27], off offset:16
	global_load_dwordx4 v[34:37], v[26:27], off offset:2048
	;; [unrolled: 1-line block ×3, first 2 shown]
	global_load_dwordx4 v[42:45], v[46:47], off
	v_lshl_add_u64 v[26:27], v[18:19], 2, s[8:9]
	global_load_dword v19, v[26:27], off
	global_load_dword v29, v[26:27], off offset:256
	global_load_dword v60, v[26:27], off offset:512
	;; [unrolled: 1-line block ×3, first 2 shown]
	v_add_u32_e32 v18, 0x100, v18
	v_cmp_ge_i32_e32 vcc, v18, v28
	v_lshl_add_u64 v[20:21], v[20:21], 0, s[20:21]
	s_or_b64 s[10:11], vcc, s[10:11]
	s_waitcnt vmcnt(11)
	v_and_b32_e32 v27, 0xffff0000, v0
	v_lshlrev_b32_e32 v26, 16, v0
	v_and_b32_e32 v47, 0xffff0000, v2
	v_lshlrev_b32_e32 v46, 16, v2
	v_and_b32_e32 v49, 0xffff0000, v1
	v_lshlrev_b32_e32 v48, 16, v1
	v_and_b32_e32 v1, 0xffff0000, v3
	v_lshlrev_b32_e32 v0, 16, v3
	s_waitcnt vmcnt(10)
	v_and_b32_e32 v3, 0xffff0000, v4
	v_lshlrev_b32_e32 v2, 16, v4
	v_and_b32_e32 v51, 0xffff0000, v5
	v_lshlrev_b32_e32 v50, 16, v5
	v_and_b32_e32 v5, 0xffff0000, v6
	v_lshlrev_b32_e32 v4, 16, v6
	v_and_b32_e32 v53, 0xffff0000, v7
	v_lshlrev_b32_e32 v52, 16, v7
	s_waitcnt vmcnt(9)
	v_and_b32_e32 v7, 0xffff0000, v12
	v_lshlrev_b32_e32 v6, 16, v12
	v_and_b32_e32 v55, 0xffff0000, v14
	v_lshlrev_b32_e32 v54, 16, v14
	v_and_b32_e32 v57, 0xffff0000, v13
	v_lshlrev_b32_e32 v56, 16, v13
	v_and_b32_e32 v13, 0xffff0000, v15
	v_lshlrev_b32_e32 v12, 16, v15
	s_waitcnt vmcnt(8)
	v_and_b32_e32 v15, 0xffff0000, v8
	v_lshlrev_b32_e32 v14, 16, v8
	s_waitcnt vmcnt(3)
	v_subrev_u32_e32 v8, s16, v19
	v_and_b32_e32 v59, 0xffff0000, v9
	v_lshlrev_b32_e32 v58, 16, v9
	s_waitcnt vmcnt(2)
	v_subrev_u32_e32 v9, s16, v29
	s_waitcnt vmcnt(1)
	v_subrev_u32_e32 v19, s16, v60
	;; [unrolled: 2-line block ×3, first 2 shown]
	v_lshlrev_b32_e32 v8, 2, v8
	v_lshlrev_b32_e32 v60, 2, v9
	;; [unrolled: 1-line block ×4, first 2 shown]
	v_ashrrev_i32_e32 v9, 31, v8
	v_ashrrev_i32_e32 v61, 31, v60
	;; [unrolled: 1-line block ×4, first 2 shown]
	s_waitcnt lgkmcnt(0)
	v_lshl_add_u64 v[8:9], v[8:9], 1, s[4:5]
	v_lshl_add_u64 v[60:61], v[60:61], 1, s[4:5]
	;; [unrolled: 1-line block ×4, first 2 shown]
	global_load_dwordx2 v[66:67], v[8:9], off
	global_load_dwordx2 v[68:69], v[60:61], off
	;; [unrolled: 1-line block ×4, first 2 shown]
	v_and_b32_e32 v83, 0xffff0000, v44
	v_lshlrev_b32_e32 v82, 16, v44
	v_and_b32_e32 v9, 0xffff0000, v10
	v_lshlrev_b32_e32 v8, 16, v10
	;; [unrolled: 2-line block ×18, first 2 shown]
	s_waitcnt vmcnt(3)
	v_lshlrev_b32_e32 v44, 16, v66
	v_and_b32_e32 v66, 0xffff0000, v66
	v_pk_fma_f32 v[24:25], v[26:27], v[44:45], v[24:25] op_sel_hi:[1,0,1]
	v_pk_fma_f32 v[22:23], v[48:49], v[44:45], v[22:23] op_sel_hi:[1,0,1]
	v_lshlrev_b32_e32 v86, 16, v67
	v_pk_fma_f32 v[24:25], v[46:47], v[66:67], v[24:25] op_sel_hi:[1,0,1]
	v_pk_fma_f32 v[0:1], v[0:1], v[66:67], v[22:23] op_sel_hi:[1,0,1]
	v_and_b32_e32 v88, 0xffff0000, v67
	v_pk_fma_f32 v[2:3], v[2:3], v[86:87], v[24:25] op_sel_hi:[1,0,1]
	v_pk_fma_f32 v[0:1], v[50:51], v[86:87], v[0:1] op_sel_hi:[1,0,1]
	s_waitcnt vmcnt(2)
	v_lshlrev_b32_e32 v90, 16, v68
	v_pk_fma_f32 v[2:3], v[4:5], v[88:89], v[2:3] op_sel_hi:[1,0,1]
	v_pk_fma_f32 v[0:1], v[52:53], v[88:89], v[0:1] op_sel_hi:[1,0,1]
	v_and_b32_e32 v68, 0xffff0000, v68
	v_pk_fma_f32 v[2:3], v[6:7], v[90:91], v[2:3] op_sel_hi:[1,0,1]
	v_pk_fma_f32 v[0:1], v[56:57], v[90:91], v[0:1] op_sel_hi:[1,0,1]
	v_lshlrev_b32_e32 v26, 16, v69
	v_pk_fma_f32 v[2:3], v[54:55], v[68:69], v[2:3] op_sel_hi:[1,0,1]
	v_pk_fma_f32 v[0:1], v[12:13], v[68:69], v[0:1] op_sel_hi:[1,0,1]
	v_and_b32_e32 v92, 0xffff0000, v69
	v_pk_fma_f32 v[2:3], v[14:15], v[26:27], v[2:3] op_sel_hi:[1,0,1]
	v_pk_fma_f32 v[0:1], v[58:59], v[26:27], v[0:1] op_sel_hi:[1,0,1]
	s_waitcnt vmcnt(1)
	v_lshlrev_b32_e32 v44, 16, v70
	v_pk_fma_f32 v[2:3], v[8:9], v[92:93], v[2:3] op_sel_hi:[1,0,1]
	v_pk_fma_f32 v[0:1], v[60:61], v[92:93], v[0:1] op_sel_hi:[1,0,1]
	;; [unrolled: 13-line block ×3, first 2 shown]
	v_and_b32_e32 v66, 0xffff0000, v72
	v_pk_fma_f32 v[2:3], v[32:33], v[22:23], v[2:3] op_sel_hi:[1,0,1]
	v_pk_fma_f32 v[0:1], v[76:77], v[22:23], v[0:1] op_sel_hi:[1,0,1]
	v_lshlrev_b32_e32 v24, 16, v73
	v_pk_fma_f32 v[2:3], v[74:75], v[66:67], v[2:3] op_sel_hi:[1,0,1]
	v_pk_fma_f32 v[0:1], v[34:35], v[66:67], v[0:1] op_sel_hi:[1,0,1]
	v_and_b32_e32 v72, 0xffff0000, v73
	v_pk_fma_f32 v[2:3], v[36:37], v[24:25], v[2:3] op_sel_hi:[1,0,1]
	v_pk_fma_f32 v[0:1], v[78:79], v[24:25], v[0:1] op_sel_hi:[1,0,1]
	;; [unrolled: 1-line block ×4, first 2 shown]
	s_andn2_b64 exec, exec, s[10:11]
	s_cbranch_execnz .LBB109_33
; %bb.34:
	s_or_b64 exec, exec, s[10:11]
.LBB109_35:
	s_or_b64 exec, exec, s[2:3]
.LBB109_36:
	s_or_b64 exec, exec, s[6:7]
.LBB109_37:
	v_mov_b32_dpp v0, v24 row_shr:1 row_mask:0xf bank_mask:0xf
	v_mov_b32_dpp v1, v25 row_shr:1 row_mask:0xf bank_mask:0xf
	v_mov_b32_dpp v4, v22 row_shr:1 row_mask:0xf bank_mask:0xf
	v_mov_b32_dpp v5, v23 row_shr:1 row_mask:0xf bank_mask:0xf
	v_pk_add_f32 v[0:1], v[24:25], v[0:1]
	v_pk_add_f32 v[4:5], v[22:23], v[4:5]
	v_cmp_eq_u32_e32 vcc, 63, v17
	v_mov_b32_dpp v2, v0 row_shr:2 row_mask:0xf bank_mask:0xf
	v_mov_b32_dpp v3, v1 row_shr:2 row_mask:0xf bank_mask:0xf
	v_mov_b32_dpp v6, v4 row_shr:2 row_mask:0xf bank_mask:0xf
	v_mov_b32_dpp v7, v5 row_shr:2 row_mask:0xf bank_mask:0xf
	v_pk_add_f32 v[0:1], v[0:1], v[2:3]
	v_pk_add_f32 v[4:5], v[4:5], v[6:7]
	s_nop 0
	v_mov_b32_dpp v2, v0 row_shr:4 row_mask:0xf bank_mask:0xe
	v_mov_b32_dpp v3, v1 row_shr:4 row_mask:0xf bank_mask:0xe
	v_mov_b32_dpp v6, v4 row_shr:4 row_mask:0xf bank_mask:0xe
	v_mov_b32_dpp v7, v5 row_shr:4 row_mask:0xf bank_mask:0xe
	v_pk_add_f32 v[0:1], v[0:1], v[2:3]
	v_pk_add_f32 v[4:5], v[4:5], v[6:7]
	s_nop 0
	;; [unrolled: 7-line block ×3, first 2 shown]
	v_mov_b32_dpp v2, v0 row_bcast:15 row_mask:0xa bank_mask:0xf
	v_mov_b32_dpp v3, v1 row_bcast:15 row_mask:0xa bank_mask:0xf
	;; [unrolled: 1-line block ×4, first 2 shown]
	v_pk_add_f32 v[0:1], v[0:1], v[2:3]
	v_pk_add_f32 v[4:5], v[4:5], v[6:7]
	s_nop 0
	v_mov_b32_dpp v2, v0 row_bcast:31 row_mask:0xc bank_mask:0xf
	v_mov_b32_dpp v3, v1 row_bcast:31 row_mask:0xc bank_mask:0xf
	;; [unrolled: 1-line block ×4, first 2 shown]
	s_and_b64 exec, exec, vcc
	s_cbranch_execz .LBB109_10
; %bb.38:
	s_load_dwordx2 s[0:1], s[0:1], 0x50
	v_cmp_eq_f32_e64 s[2:3], s14, 0
	v_pk_add_f32 v[2:3], v[0:1], v[2:3]
	v_pk_add_f32 v[0:1], v[4:5], v[6:7]
	s_and_b64 vcc, exec, s[2:3]
	v_lshlrev_b32_e32 v4, 2, v16
	s_cbranch_vccz .LBB109_40
; %bb.39:
	v_ashrrev_i32_e32 v5, 31, v4
	s_waitcnt lgkmcnt(0)
	v_lshl_add_u64 v[10:11], v[4:5], 2, s[0:1]
	v_pk_mul_f32 v[6:7], s[12:13], v[2:3] op_sel_hi:[0,1]
	v_pk_mul_f32 v[8:9], s[12:13], v[0:1] op_sel_hi:[0,1]
	global_store_dwordx4 v[10:11], v[6:9], off
	s_cbranch_execnz .LBB109_10
	s_branch .LBB109_41
.LBB109_40:
.LBB109_41:
	v_ashrrev_i32_e32 v5, 31, v4
	s_waitcnt lgkmcnt(0)
	v_lshl_add_u64 v[8:9], v[4:5], 2, s[0:1]
	global_load_dwordx4 v[4:7], v[8:9], off
	v_pk_mul_f32 v[2:3], s[12:13], v[2:3] op_sel_hi:[0,1]
	v_pk_mul_f32 v[10:11], s[12:13], v[0:1] op_sel_hi:[0,1]
	s_waitcnt vmcnt(0)
	v_pk_fma_f32 v[0:1], s[14:15], v[4:5], v[2:3] op_sel_hi:[0,1,1]
	v_pk_fma_f32 v[2:3], s[14:15], v[6:7], v[10:11] op_sel_hi:[0,1,1]
	global_store_dwordx4 v[8:9], v[0:3], off
	s_endpgm
	.section	.rodata,"a",@progbits
	.p2align	6, 0x0
	.amdhsa_kernel _ZN9rocsparseL18bsrxmvn_4x4_kernelILj128ELj64Efii18rocsparse_bfloat16S1_fEEvT3_20rocsparse_direction_NS_24const_host_device_scalarIT1_EES2_PKS2_PKT2_SB_S8_PKT4_PKT5_S6_PT6_21rocsparse_index_base_b
		.amdhsa_group_segment_fixed_size 0
		.amdhsa_private_segment_fixed_size 0
		.amdhsa_kernarg_size 96
		.amdhsa_user_sgpr_count 2
		.amdhsa_user_sgpr_dispatch_ptr 0
		.amdhsa_user_sgpr_queue_ptr 0
		.amdhsa_user_sgpr_kernarg_segment_ptr 1
		.amdhsa_user_sgpr_dispatch_id 0
		.amdhsa_user_sgpr_kernarg_preload_length 0
		.amdhsa_user_sgpr_kernarg_preload_offset 0
		.amdhsa_user_sgpr_private_segment_size 0
		.amdhsa_uses_dynamic_stack 0
		.amdhsa_enable_private_segment 0
		.amdhsa_system_sgpr_workgroup_id_x 1
		.amdhsa_system_sgpr_workgroup_id_y 0
		.amdhsa_system_sgpr_workgroup_id_z 0
		.amdhsa_system_sgpr_workgroup_info 0
		.amdhsa_system_vgpr_workitem_id 0
		.amdhsa_next_free_vgpr 100
		.amdhsa_next_free_sgpr 22
		.amdhsa_accum_offset 100
		.amdhsa_reserve_vcc 1
		.amdhsa_float_round_mode_32 0
		.amdhsa_float_round_mode_16_64 0
		.amdhsa_float_denorm_mode_32 3
		.amdhsa_float_denorm_mode_16_64 3
		.amdhsa_dx10_clamp 1
		.amdhsa_ieee_mode 1
		.amdhsa_fp16_overflow 0
		.amdhsa_tg_split 0
		.amdhsa_exception_fp_ieee_invalid_op 0
		.amdhsa_exception_fp_denorm_src 0
		.amdhsa_exception_fp_ieee_div_zero 0
		.amdhsa_exception_fp_ieee_overflow 0
		.amdhsa_exception_fp_ieee_underflow 0
		.amdhsa_exception_fp_ieee_inexact 0
		.amdhsa_exception_int_div_zero 0
	.end_amdhsa_kernel
	.section	.text._ZN9rocsparseL18bsrxmvn_4x4_kernelILj128ELj64Efii18rocsparse_bfloat16S1_fEEvT3_20rocsparse_direction_NS_24const_host_device_scalarIT1_EES2_PKS2_PKT2_SB_S8_PKT4_PKT5_S6_PT6_21rocsparse_index_base_b,"axG",@progbits,_ZN9rocsparseL18bsrxmvn_4x4_kernelILj128ELj64Efii18rocsparse_bfloat16S1_fEEvT3_20rocsparse_direction_NS_24const_host_device_scalarIT1_EES2_PKS2_PKT2_SB_S8_PKT4_PKT5_S6_PT6_21rocsparse_index_base_b,comdat
.Lfunc_end109:
	.size	_ZN9rocsparseL18bsrxmvn_4x4_kernelILj128ELj64Efii18rocsparse_bfloat16S1_fEEvT3_20rocsparse_direction_NS_24const_host_device_scalarIT1_EES2_PKS2_PKT2_SB_S8_PKT4_PKT5_S6_PT6_21rocsparse_index_base_b, .Lfunc_end109-_ZN9rocsparseL18bsrxmvn_4x4_kernelILj128ELj64Efii18rocsparse_bfloat16S1_fEEvT3_20rocsparse_direction_NS_24const_host_device_scalarIT1_EES2_PKS2_PKT2_SB_S8_PKT4_PKT5_S6_PT6_21rocsparse_index_base_b
                                        ; -- End function
	.set _ZN9rocsparseL18bsrxmvn_4x4_kernelILj128ELj64Efii18rocsparse_bfloat16S1_fEEvT3_20rocsparse_direction_NS_24const_host_device_scalarIT1_EES2_PKS2_PKT2_SB_S8_PKT4_PKT5_S6_PT6_21rocsparse_index_base_b.num_vgpr, 100
	.set _ZN9rocsparseL18bsrxmvn_4x4_kernelILj128ELj64Efii18rocsparse_bfloat16S1_fEEvT3_20rocsparse_direction_NS_24const_host_device_scalarIT1_EES2_PKS2_PKT2_SB_S8_PKT4_PKT5_S6_PT6_21rocsparse_index_base_b.num_agpr, 0
	.set _ZN9rocsparseL18bsrxmvn_4x4_kernelILj128ELj64Efii18rocsparse_bfloat16S1_fEEvT3_20rocsparse_direction_NS_24const_host_device_scalarIT1_EES2_PKS2_PKT2_SB_S8_PKT4_PKT5_S6_PT6_21rocsparse_index_base_b.numbered_sgpr, 22
	.set _ZN9rocsparseL18bsrxmvn_4x4_kernelILj128ELj64Efii18rocsparse_bfloat16S1_fEEvT3_20rocsparse_direction_NS_24const_host_device_scalarIT1_EES2_PKS2_PKT2_SB_S8_PKT4_PKT5_S6_PT6_21rocsparse_index_base_b.num_named_barrier, 0
	.set _ZN9rocsparseL18bsrxmvn_4x4_kernelILj128ELj64Efii18rocsparse_bfloat16S1_fEEvT3_20rocsparse_direction_NS_24const_host_device_scalarIT1_EES2_PKS2_PKT2_SB_S8_PKT4_PKT5_S6_PT6_21rocsparse_index_base_b.private_seg_size, 0
	.set _ZN9rocsparseL18bsrxmvn_4x4_kernelILj128ELj64Efii18rocsparse_bfloat16S1_fEEvT3_20rocsparse_direction_NS_24const_host_device_scalarIT1_EES2_PKS2_PKT2_SB_S8_PKT4_PKT5_S6_PT6_21rocsparse_index_base_b.uses_vcc, 1
	.set _ZN9rocsparseL18bsrxmvn_4x4_kernelILj128ELj64Efii18rocsparse_bfloat16S1_fEEvT3_20rocsparse_direction_NS_24const_host_device_scalarIT1_EES2_PKS2_PKT2_SB_S8_PKT4_PKT5_S6_PT6_21rocsparse_index_base_b.uses_flat_scratch, 0
	.set _ZN9rocsparseL18bsrxmvn_4x4_kernelILj128ELj64Efii18rocsparse_bfloat16S1_fEEvT3_20rocsparse_direction_NS_24const_host_device_scalarIT1_EES2_PKS2_PKT2_SB_S8_PKT4_PKT5_S6_PT6_21rocsparse_index_base_b.has_dyn_sized_stack, 0
	.set _ZN9rocsparseL18bsrxmvn_4x4_kernelILj128ELj64Efii18rocsparse_bfloat16S1_fEEvT3_20rocsparse_direction_NS_24const_host_device_scalarIT1_EES2_PKS2_PKT2_SB_S8_PKT4_PKT5_S6_PT6_21rocsparse_index_base_b.has_recursion, 0
	.set _ZN9rocsparseL18bsrxmvn_4x4_kernelILj128ELj64Efii18rocsparse_bfloat16S1_fEEvT3_20rocsparse_direction_NS_24const_host_device_scalarIT1_EES2_PKS2_PKT2_SB_S8_PKT4_PKT5_S6_PT6_21rocsparse_index_base_b.has_indirect_call, 0
	.section	.AMDGPU.csdata,"",@progbits
; Kernel info:
; codeLenInByte = 3976
; TotalNumSgprs: 28
; NumVgprs: 100
; NumAgprs: 0
; TotalNumVgprs: 100
; ScratchSize: 0
; MemoryBound: 0
; FloatMode: 240
; IeeeMode: 1
; LDSByteSize: 0 bytes/workgroup (compile time only)
; SGPRBlocks: 3
; VGPRBlocks: 12
; NumSGPRsForWavesPerEU: 28
; NumVGPRsForWavesPerEU: 100
; AccumOffset: 100
; Occupancy: 4
; WaveLimiterHint : 1
; COMPUTE_PGM_RSRC2:SCRATCH_EN: 0
; COMPUTE_PGM_RSRC2:USER_SGPR: 2
; COMPUTE_PGM_RSRC2:TRAP_HANDLER: 0
; COMPUTE_PGM_RSRC2:TGID_X_EN: 1
; COMPUTE_PGM_RSRC2:TGID_Y_EN: 0
; COMPUTE_PGM_RSRC2:TGID_Z_EN: 0
; COMPUTE_PGM_RSRC2:TIDIG_COMP_CNT: 0
; COMPUTE_PGM_RSRC3_GFX90A:ACCUM_OFFSET: 24
; COMPUTE_PGM_RSRC3_GFX90A:TG_SPLIT: 0
	.section	.text._ZN9rocsparseL18bsrxmvn_4x4_kernelILj128ELj4Efli18rocsparse_bfloat16S1_fEEvT3_20rocsparse_direction_NS_24const_host_device_scalarIT1_EES2_PKS2_PKT2_SB_S8_PKT4_PKT5_S6_PT6_21rocsparse_index_base_b,"axG",@progbits,_ZN9rocsparseL18bsrxmvn_4x4_kernelILj128ELj4Efli18rocsparse_bfloat16S1_fEEvT3_20rocsparse_direction_NS_24const_host_device_scalarIT1_EES2_PKS2_PKT2_SB_S8_PKT4_PKT5_S6_PT6_21rocsparse_index_base_b,comdat
	.globl	_ZN9rocsparseL18bsrxmvn_4x4_kernelILj128ELj4Efli18rocsparse_bfloat16S1_fEEvT3_20rocsparse_direction_NS_24const_host_device_scalarIT1_EES2_PKS2_PKT2_SB_S8_PKT4_PKT5_S6_PT6_21rocsparse_index_base_b ; -- Begin function _ZN9rocsparseL18bsrxmvn_4x4_kernelILj128ELj4Efli18rocsparse_bfloat16S1_fEEvT3_20rocsparse_direction_NS_24const_host_device_scalarIT1_EES2_PKS2_PKT2_SB_S8_PKT4_PKT5_S6_PT6_21rocsparse_index_base_b
	.p2align	8
	.type	_ZN9rocsparseL18bsrxmvn_4x4_kernelILj128ELj4Efli18rocsparse_bfloat16S1_fEEvT3_20rocsparse_direction_NS_24const_host_device_scalarIT1_EES2_PKS2_PKT2_SB_S8_PKT4_PKT5_S6_PT6_21rocsparse_index_base_b,@function
_ZN9rocsparseL18bsrxmvn_4x4_kernelILj128ELj4Efli18rocsparse_bfloat16S1_fEEvT3_20rocsparse_direction_NS_24const_host_device_scalarIT1_EES2_PKS2_PKT2_SB_S8_PKT4_PKT5_S6_PT6_21rocsparse_index_base_b: ; @_ZN9rocsparseL18bsrxmvn_4x4_kernelILj128ELj4Efli18rocsparse_bfloat16S1_fEEvT3_20rocsparse_direction_NS_24const_host_device_scalarIT1_EES2_PKS2_PKT2_SB_S8_PKT4_PKT5_S6_PT6_21rocsparse_index_base_b
; %bb.0:
	s_load_dwordx2 s[16:17], s[0:1], 0x58
	s_load_dwordx2 s[12:13], s[0:1], 0x8
	;; [unrolled: 1-line block ×3, first 2 shown]
	s_waitcnt lgkmcnt(0)
	s_bitcmp1_b32 s17, 0
	s_cselect_b64 s[6:7], -1, 0
	s_xor_b64 s[4:5], s[6:7], -1
	s_and_b64 vcc, exec, s[6:7]
	s_cbranch_vccnz .LBB110_2
; %bb.1:
	s_load_dword s12, s[12:13], 0x0
.LBB110_2:
	s_andn2_b64 vcc, exec, s[4:5]
	s_cbranch_vccnz .LBB110_4
; %bb.3:
	s_load_dword s14, s[14:15], 0x0
.LBB110_4:
	s_waitcnt lgkmcnt(0)
	v_cmp_neq_f32_e64 s[4:5], s12, 0
	v_cmp_neq_f32_e64 s[6:7], s14, 1.0
	s_or_b64 s[4:5], s[4:5], s[6:7]
	s_andn2_b64 vcc, exec, s[4:5]
	s_cbranch_vccnz .LBB110_10
; %bb.5:
	s_load_dwordx2 s[4:5], s[0:1], 0x18
	s_load_dwordx2 s[18:19], s[0:1], 0x0
	v_lshrrev_b32_e32 v1, 2, v0
	v_lshl_or_b32 v24, s2, 5, v1
	s_mov_b64 s[2:3], 0
	s_waitcnt lgkmcnt(0)
	s_cmp_lg_u64 s[4:5], 0
	s_cbranch_scc0 .LBB110_11
; %bb.6:
	s_load_dword s6, s[0:1], 0x10
                                        ; implicit-def: $vgpr1
	s_waitcnt lgkmcnt(0)
	v_cmp_gt_i32_e32 vcc, s6, v24
	s_and_saveexec_b64 s[6:7], vcc
	s_xor_b64 s[6:7], exec, s[6:7]
	s_cbranch_execz .LBB110_8
; %bb.7:
	v_ashrrev_i32_e32 v25, 31, v24
	v_lshl_add_u64 v[2:3], v[24:25], 2, s[4:5]
	global_load_dword v1, v[2:3], off
	s_mov_b64 s[2:3], exec
	s_waitcnt vmcnt(0)
	v_subrev_u32_e32 v1, s16, v1
.LBB110_8:
	s_or_b64 exec, exec, s[6:7]
	s_branch .LBB110_12
.LBB110_9:
	v_cmp_gt_i32_e32 vcc, s18, v24
	s_andn2_b64 s[2:3], s[2:3], exec
	s_and_b64 s[4:5], vcc, exec
	s_or_b64 s[2:3], s[2:3], s[4:5]
	s_and_saveexec_b64 s[4:5], s[2:3]
	s_cbranch_execnz .LBB110_13
.LBB110_10:
	s_endpgm
.LBB110_11:
                                        ; implicit-def: $vgpr1
	s_cbranch_execnz .LBB110_9
.LBB110_12:
	v_mov_b32_e32 v24, v1
	s_and_saveexec_b64 s[4:5], s[2:3]
	s_cbranch_execz .LBB110_10
.LBB110_13:
	s_load_dwordx8 s[4:11], s[0:1], 0x20
	v_ashrrev_i32_e32 v25, 31, v24
	v_lshlrev_b64 v[2:3], 3, v[24:25]
	v_and_b32_e32 v26, 3, v0
	v_mov_b32_e32 v27, 0
	s_waitcnt lgkmcnt(0)
	v_lshl_add_u64 v[4:5], s[4:5], 0, v[2:3]
	s_cmp_eq_u64 s[6:7], 0
	v_lshl_add_u64 v[2:3], s[6:7], 0, v[2:3]
	global_load_dwordx2 v[38:39], v[4:5], off
	v_lshl_add_u64 v[4:5], v[4:5], 0, 8
	s_cselect_b64 vcc, -1, 0
	v_cndmask_b32_e32 v3, v3, v5, vcc
	v_cndmask_b32_e32 v2, v2, v4, vcc
	global_load_dwordx2 v[2:3], v[2:3], off
	s_load_dwordx2 s[4:5], s[0:1], 0x40
	s_cmp_eq_u32 s19, 1
	s_waitcnt vmcnt(1)
	v_subrev_co_u32_e32 v0, vcc, s16, v38
	s_nop 1
	v_subbrev_co_u32_e32 v1, vcc, 0, v39, vcc
	v_lshl_add_u64 v[28:29], v[0:1], 0, v[26:27]
	s_waitcnt vmcnt(0)
	v_subrev_co_u32_e32 v30, vcc, s16, v2
	v_lshlrev_b64 v[0:1], 5, v[28:29]
	s_nop 0
	v_subbrev_co_u32_e32 v31, vcc, 0, v3, vcc
	v_lshl_add_u64 v[32:33], s[10:11], 0, v[0:1]
	v_cmp_lt_i64_e64 s[2:3], v[28:29], v[30:31]
	s_cbranch_scc1 .LBB110_25
; %bb.14:
	v_mov_b32_e32 v36, v27
	v_mov_b32_e32 v35, v27
	;; [unrolled: 1-line block ×3, first 2 shown]
	s_and_saveexec_b64 s[6:7], s[2:3]
	s_cbranch_execz .LBB110_24
; %bb.15:
	v_or_b32_e32 v0, 4, v26
	v_subrev_co_u32_e32 v0, vcc, s16, v0
	v_not_b32_e32 v3, v39
	s_nop 0
	v_subb_co_u32_e64 v1, s[10:11], 0, 0, vcc
	v_lshl_add_u64 v[0:1], v[0:1], 0, v[38:39]
	v_cmp_gt_i64_e32 vcc, v[0:1], v[30:31]
	v_not_b32_e32 v2, v38
	v_mov_b32_e32 v35, 0
	v_cndmask_b32_e32 v1, v31, v1, vcc
	v_cndmask_b32_e32 v0, v30, v0, vcc
	v_sub_co_u32_e32 v4, vcc, s16, v26
	v_mov_b32_e32 v36, v35
	s_nop 0
	v_subb_co_u32_e64 v5, s[10:11], 0, 0, vcc
	v_lshl_add_u64 v[2:3], v[4:5], 0, v[2:3]
	v_lshl_add_u64 v[0:1], v[2:3], 0, v[0:1]
	v_and_b32_e32 v34, 12, v0
	v_cmp_ne_u64_e32 vcc, 12, v[34:35]
	v_mov_b32_e32 v34, v35
	v_mov_b32_e32 v37, v35
	v_mov_b64_e32 v[40:41], v[28:29]
	v_mov_b64_e32 v[42:43], v[32:33]
	s_and_saveexec_b64 s[10:11], vcc
	s_cbranch_execz .LBB110_19
; %bb.16:
	v_lshrrev_b32_e32 v2, 2, v0
	v_add_u32_e32 v2, 1, v2
	v_and_b32_e32 v4, 3, v2
	v_sub_co_u32_e32 v4, vcc, 0, v4
	v_mov_b32_e32 v34, 0
	s_nop 0
	v_subb_co_u32_e64 v5, s[20:21], 0, 0, vcc
	v_lshl_add_u64 v[2:3], v[28:29], 2, s[8:9]
	s_mov_b64 s[18:19], 0
	s_mov_b64 s[20:21], 0x80
	v_mov_b64_e32 v[42:43], v[32:33]
	v_mov_b64_e32 v[40:41], v[28:29]
	v_mov_b32_e32 v35, v34
	v_mov_b32_e32 v36, v34
	v_mov_b32_e32 v37, v34
.LBB110_17:                             ; =>This Inner Loop Header: Depth=1
	global_load_dword v14, v[2:3], off
	global_load_dwordx4 v[6:9], v[42:43], off
	global_load_dwordx4 v[10:13], v[42:43], off offset:16
	v_lshl_add_u64 v[4:5], v[4:5], 0, 1
	v_cmp_eq_u64_e32 vcc, 0, v[4:5]
	v_lshl_add_u64 v[42:43], v[42:43], 0, s[20:21]
	v_lshl_add_u64 v[40:41], v[40:41], 0, 4
	;; [unrolled: 1-line block ×3, first 2 shown]
	s_or_b64 s[18:19], vcc, s[18:19]
	s_waitcnt vmcnt(2)
	v_subrev_u32_e32 v14, s16, v14
	v_lshlrev_b32_e32 v14, 2, v14
	v_ashrrev_i32_e32 v15, 31, v14
	s_waitcnt lgkmcnt(0)
	v_lshl_add_u64 v[14:15], v[14:15], 1, s[4:5]
	global_load_dwordx2 v[14:15], v[14:15], off
	s_waitcnt vmcnt(2)
	v_lshlrev_b32_e32 v16, 16, v6
	v_lshlrev_b32_e32 v17, 16, v8
	v_and_b32_e32 v19, 0xffff0000, v8
	v_and_b32_e32 v18, 0xffff0000, v6
	v_lshlrev_b32_e32 v20, 16, v7
	v_and_b32_e32 v8, 0xffff0000, v7
	s_waitcnt vmcnt(1)
	v_lshlrev_b32_e32 v6, 16, v10
	v_lshlrev_b32_e32 v7, 16, v12
	v_and_b32_e32 v22, 0xffff0000, v10
	v_and_b32_e32 v23, 0xffff0000, v12
	v_lshlrev_b32_e32 v21, 16, v9
	v_lshlrev_b32_e32 v45, 16, v13
	;; [unrolled: 1-line block ×3, first 2 shown]
	v_and_b32_e32 v12, 0xffff0000, v11
	v_and_b32_e32 v9, 0xffff0000, v9
	;; [unrolled: 1-line block ×3, first 2 shown]
	s_waitcnt vmcnt(0)
	v_lshlrev_b32_e32 v10, 16, v14
	v_and_b32_e32 v14, 0xffff0000, v14
	v_pk_fma_f32 v[16:17], v[16:17], v[10:11], v[34:35] op_sel_hi:[1,0,1]
	v_pk_fma_f32 v[6:7], v[6:7], v[10:11], v[36:37] op_sel_hi:[1,0,1]
	v_lshlrev_b32_e32 v46, 16, v15
	v_pk_fma_f32 v[10:11], v[18:19], v[14:15], v[16:17] op_sel_hi:[1,0,1]
	v_pk_fma_f32 v[6:7], v[22:23], v[14:15], v[6:7] op_sel_hi:[1,0,1]
	v_and_b32_e32 v48, 0xffff0000, v15
	v_pk_fma_f32 v[10:11], v[20:21], v[46:47], v[10:11] op_sel_hi:[1,0,1]
	v_pk_fma_f32 v[6:7], v[44:45], v[46:47], v[6:7] op_sel_hi:[1,0,1]
	;; [unrolled: 1-line block ×4, first 2 shown]
	s_andn2_b64 exec, exec, s[18:19]
	s_cbranch_execnz .LBB110_17
; %bb.18:
	s_or_b64 exec, exec, s[18:19]
.LBB110_19:
	s_or_b64 exec, exec, s[10:11]
	v_cmp_lt_u64_e32 vcc, 11, v[0:1]
	s_and_saveexec_b64 s[10:11], vcc
	s_cbranch_execz .LBB110_23
; %bb.20:
	v_lshl_add_u64 v[0:1], v[40:41], 2, s[8:9]
	v_lshl_add_u64 v[44:45], v[0:1], 0, 32
	s_mov_b64 s[18:19], 0
	s_mov_b64 s[20:21], 0x200
.LBB110_21:                             ; =>This Inner Loop Header: Depth=1
	global_load_dword v25, v[44:45], off offset:-32
	global_load_dwordx4 v[4:7], v[42:43], off
	global_load_dwordx4 v[0:3], v[42:43], off offset:16
	global_load_dword v27, v[44:45], off offset:-16
	global_load_dword v58, v[44:45], off
	global_load_dwordx4 v[8:11], v[42:43], off offset:256
	global_load_dwordx4 v[16:19], v[42:43], off offset:128
	;; [unrolled: 1-line block ×3, first 2 shown]
	global_load_dword v72, v[44:45], off offset:16
	global_load_dwordx4 v[46:49], v[42:43], off offset:144
	global_load_dwordx4 v[20:23], v[42:43], off offset:384
	;; [unrolled: 1-line block ×3, first 2 shown]
	v_lshl_add_u64 v[40:41], v[40:41], 0, 16
	v_cmp_ge_i64_e32 vcc, v[40:41], v[30:31]
	v_lshl_add_u64 v[44:45], v[44:45], 0, 64
	v_lshl_add_u64 v[42:43], v[42:43], 0, s[20:21]
	s_or_b64 s[18:19], vcc, s[18:19]
	s_waitcnt vmcnt(11)
	v_subrev_u32_e32 v25, s16, v25
	s_waitcnt vmcnt(10)
	v_lshlrev_b32_e32 v54, 16, v4
	s_waitcnt vmcnt(9)
	v_lshlrev_b32_e32 v57, 16, v2
	s_waitcnt vmcnt(8)
	v_subrev_u32_e32 v27, s16, v27
	s_waitcnt vmcnt(7)
	v_subrev_u32_e32 v73, s16, v58
	s_waitcnt vmcnt(6)
	v_lshlrev_b32_e32 v71, 16, v11
	v_and_b32_e32 v59, 0xffff0000, v11
	v_and_b32_e32 v11, 0xffff0000, v2
	s_waitcnt vmcnt(3)
	v_subrev_u32_e32 v2, s16, v72
	v_lshlrev_b32_e32 v72, 2, v25
	v_lshlrev_b32_e32 v74, 2, v27
	;; [unrolled: 1-line block ×4, first 2 shown]
	v_ashrrev_i32_e32 v73, 31, v72
	v_ashrrev_i32_e32 v75, 31, v74
	;; [unrolled: 1-line block ×4, first 2 shown]
	s_waitcnt lgkmcnt(0)
	v_lshl_add_u64 v[72:73], v[72:73], 1, s[4:5]
	v_lshl_add_u64 v[74:75], v[74:75], 1, s[4:5]
	;; [unrolled: 1-line block ×4, first 2 shown]
	global_load_dwordx2 v[80:81], v[72:73], off
	global_load_dwordx2 v[82:83], v[74:75], off
	;; [unrolled: 1-line block ×4, first 2 shown]
	v_lshlrev_b32_e32 v55, 16, v6
	v_lshlrev_b32_e32 v56, 16, v0
	v_and_b32_e32 v61, 0xffff0000, v6
	v_lshlrev_b32_e32 v62, 16, v5
	v_and_b32_e32 v6, 0xffff0000, v5
	;; [unrolled: 2-line block ×5, first 2 shown]
	v_and_b32_e32 v10, 0xffff0000, v0
	v_lshlrev_b32_e32 v72, 16, v1
	v_and_b32_e32 v2, 0xffff0000, v1
	s_waitcnt vmcnt(6)
	v_lshlrev_b32_e32 v1, 16, v48
	v_lshlrev_b32_e32 v0, 16, v46
	v_and_b32_e32 v75, 0xffff0000, v48
	v_and_b32_e32 v74, 0xffff0000, v46
	v_lshlrev_b32_e32 v76, 16, v47
	v_and_b32_e32 v48, 0xffff0000, v47
	v_lshlrev_b32_e32 v47, 16, v14
	v_lshlrev_b32_e32 v46, 16, v12
	v_and_b32_e32 v79, 0xffff0000, v14
	v_and_b32_e32 v78, 0xffff0000, v12
	s_waitcnt vmcnt(5)
	v_lshlrev_b32_e32 v12, 16, v20
	v_and_b32_e32 v14, 0xffff0000, v20
	s_waitcnt vmcnt(4)
	v_lshlrev_b32_e32 v20, 16, v50
	v_and_b32_e32 v92, 0xffff0000, v50
	v_and_b32_e32 v60, 0xffff0000, v4
	v_lshlrev_b32_e32 v63, 16, v7
	v_lshlrev_b32_e32 v73, 16, v3
	v_and_b32_e32 v7, 0xffff0000, v7
	v_and_b32_e32 v3, 0xffff0000, v3
	v_lshlrev_b32_e32 v4, 16, v16
	v_and_b32_e32 v64, 0xffff0000, v16
	v_lshlrev_b32_e32 v67, 16, v19
	v_lshlrev_b32_e32 v77, 16, v49
	v_and_b32_e32 v19, 0xffff0000, v19
	v_and_b32_e32 v49, 0xffff0000, v49
	v_lshlrev_b32_e32 v16, 16, v8
	v_and_b32_e32 v68, 0xffff0000, v8
	v_lshlrev_b32_e32 v70, 16, v9
	v_lshlrev_b32_e32 v89, 16, v15
	v_lshlrev_b32_e32 v88, 16, v13
	v_and_b32_e32 v58, 0xffff0000, v9
	v_and_b32_e32 v8, 0xffff0000, v13
	;; [unrolled: 1-line block ×3, first 2 shown]
	v_lshlrev_b32_e32 v13, 16, v22
	v_and_b32_e32 v15, 0xffff0000, v22
	v_lshlrev_b32_e32 v90, 16, v21
	v_and_b32_e32 v22, 0xffff0000, v21
	;; [unrolled: 2-line block ×3, first 2 shown]
	v_lshlrev_b32_e32 v91, 16, v23
	v_lshlrev_b32_e32 v95, 16, v53
	;; [unrolled: 1-line block ×3, first 2 shown]
	v_and_b32_e32 v23, 0xffff0000, v23
	v_and_b32_e32 v53, 0xffff0000, v53
	;; [unrolled: 1-line block ×3, first 2 shown]
	s_waitcnt vmcnt(3)
	v_lshlrev_b32_e32 v50, 16, v80
	v_and_b32_e32 v80, 0xffff0000, v80
	v_pk_fma_f32 v[34:35], v[54:55], v[50:51], v[34:35] op_sel_hi:[1,0,1]
	v_pk_fma_f32 v[36:37], v[56:57], v[50:51], v[36:37] op_sel_hi:[1,0,1]
	v_lshlrev_b32_e32 v96, 16, v81
	v_pk_fma_f32 v[34:35], v[60:61], v[80:81], v[34:35] op_sel_hi:[1,0,1]
	v_pk_fma_f32 v[10:11], v[10:11], v[80:81], v[36:37] op_sel_hi:[1,0,1]
	v_and_b32_e32 v98, 0xffff0000, v81
	v_pk_fma_f32 v[34:35], v[62:63], v[96:97], v[34:35] op_sel_hi:[1,0,1]
	v_pk_fma_f32 v[10:11], v[72:73], v[96:97], v[10:11] op_sel_hi:[1,0,1]
	s_waitcnt vmcnt(2)
	v_lshlrev_b32_e32 v100, 16, v82
	v_pk_fma_f32 v[6:7], v[6:7], v[98:99], v[34:35] op_sel_hi:[1,0,1]
	v_pk_fma_f32 v[2:3], v[2:3], v[98:99], v[10:11] op_sel_hi:[1,0,1]
	v_and_b32_e32 v54, 0xffff0000, v82
	v_pk_fma_f32 v[4:5], v[4:5], v[100:101], v[6:7] op_sel_hi:[1,0,1]
	v_pk_fma_f32 v[0:1], v[0:1], v[100:101], v[2:3] op_sel_hi:[1,0,1]
	v_lshlrev_b32_e32 v50, 16, v83
	v_pk_fma_f32 v[2:3], v[64:65], v[54:55], v[4:5] op_sel_hi:[1,0,1]
	v_pk_fma_f32 v[0:1], v[74:75], v[54:55], v[0:1] op_sel_hi:[1,0,1]
	v_and_b32_e32 v56, 0xffff0000, v83
	v_pk_fma_f32 v[2:3], v[66:67], v[50:51], v[2:3] op_sel_hi:[1,0,1]
	v_pk_fma_f32 v[0:1], v[76:77], v[50:51], v[0:1] op_sel_hi:[1,0,1]
	s_waitcnt vmcnt(1)
	v_lshlrev_b32_e32 v82, 16, v84
	v_pk_fma_f32 v[2:3], v[18:19], v[56:57], v[2:3] op_sel_hi:[1,0,1]
	v_pk_fma_f32 v[0:1], v[48:49], v[56:57], v[0:1] op_sel_hi:[1,0,1]
	;; [unrolled: 13-line block ×3, first 2 shown]
	v_and_b32_e32 v62, 0xffff0000, v86
	v_pk_fma_f32 v[2:3], v[12:13], v[84:85], v[2:3] op_sel_hi:[1,0,1]
	v_pk_fma_f32 v[0:1], v[20:21], v[84:85], v[0:1] op_sel_hi:[1,0,1]
	v_lshlrev_b32_e32 v72, 16, v87
	v_pk_fma_f32 v[2:3], v[14:15], v[62:63], v[2:3] op_sel_hi:[1,0,1]
	v_pk_fma_f32 v[0:1], v[92:93], v[62:63], v[0:1] op_sel_hi:[1,0,1]
	v_and_b32_e32 v86, 0xffff0000, v87
	v_pk_fma_f32 v[2:3], v[90:91], v[72:73], v[2:3] op_sel_hi:[1,0,1]
	v_pk_fma_f32 v[0:1], v[94:95], v[72:73], v[0:1] op_sel_hi:[1,0,1]
	;; [unrolled: 1-line block ×4, first 2 shown]
	s_andn2_b64 exec, exec, s[18:19]
	s_cbranch_execnz .LBB110_21
; %bb.22:
	s_or_b64 exec, exec, s[18:19]
.LBB110_23:
	s_or_b64 exec, exec, s[10:11]
	v_mov_b32_e32 v27, v37
.LBB110_24:
	s_or_b64 exec, exec, s[6:7]
	v_mov_b32_e32 v37, v27
	s_cbranch_execz .LBB110_26
	s_branch .LBB110_37
.LBB110_25:
                                        ; implicit-def: $vgpr37
                                        ; implicit-def: $vgpr35
.LBB110_26:
	v_mov_b32_e32 v37, 0
	v_mov_b32_e32 v36, 0
	;; [unrolled: 1-line block ×4, first 2 shown]
	s_and_saveexec_b64 s[6:7], s[2:3]
	s_cbranch_execz .LBB110_36
; %bb.27:
	v_or_b32_e32 v0, 4, v26
	v_subrev_co_u32_e32 v0, vcc, s16, v0
	v_not_b32_e32 v3, v39
	s_nop 0
	v_subb_co_u32_e64 v1, s[2:3], 0, 0, vcc
	v_lshl_add_u64 v[0:1], v[0:1], 0, v[38:39]
	v_cmp_gt_i64_e32 vcc, v[0:1], v[30:31]
	v_not_b32_e32 v2, v38
	v_mov_b32_e32 v35, 0
	v_cndmask_b32_e32 v1, v31, v1, vcc
	v_cndmask_b32_e32 v0, v30, v0, vcc
	v_sub_co_u32_e32 v4, vcc, s16, v26
	v_mov_b32_e32 v36, v35
	s_nop 0
	v_subb_co_u32_e64 v5, s[2:3], 0, 0, vcc
	v_lshl_add_u64 v[2:3], v[4:5], 0, v[2:3]
	v_lshl_add_u64 v[0:1], v[2:3], 0, v[0:1]
	v_and_b32_e32 v34, 12, v0
	v_cmp_ne_u64_e32 vcc, 12, v[34:35]
	v_mov_b32_e32 v34, v35
	v_mov_b32_e32 v37, v35
	s_and_saveexec_b64 s[2:3], vcc
	s_cbranch_execz .LBB110_31
; %bb.28:
	v_lshrrev_b32_e32 v2, 2, v0
	v_add_u32_e32 v2, 1, v2
	v_and_b32_e32 v4, 3, v2
	v_sub_co_u32_e32 v4, vcc, 0, v4
	v_mov_b32_e32 v34, 0
	s_nop 0
	v_subb_co_u32_e64 v5, s[18:19], 0, 0, vcc
	v_lshl_add_u64 v[2:3], v[28:29], 2, s[8:9]
	s_mov_b64 s[10:11], 0
	s_mov_b64 s[18:19], 0x80
	v_mov_b32_e32 v35, v34
	v_mov_b32_e32 v36, v34
	;; [unrolled: 1-line block ×3, first 2 shown]
.LBB110_29:                             ; =>This Inner Loop Header: Depth=1
	global_load_dword v10, v[2:3], off
	global_load_dwordx4 v[6:9], v[32:33], off
	v_lshl_add_u64 v[4:5], v[4:5], 0, 1
	v_cmp_eq_u64_e32 vcc, 0, v[4:5]
	v_lshl_add_u64 v[28:29], v[28:29], 0, 4
	v_lshl_add_u64 v[2:3], v[2:3], 0, 16
	s_or_b64 s[10:11], vcc, s[10:11]
	s_waitcnt vmcnt(1)
	v_subrev_u32_e32 v10, s16, v10
	v_lshlrev_b32_e32 v10, 2, v10
	v_ashrrev_i32_e32 v11, 31, v10
	s_waitcnt lgkmcnt(0)
	v_lshl_add_u64 v[14:15], v[10:11], 1, s[4:5]
	global_load_dwordx2 v[16:17], v[14:15], off
	global_load_dwordx4 v[10:13], v[32:33], off offset:16
	s_waitcnt vmcnt(2)
	v_and_b32_e32 v15, 0xffff0000, v6
	v_lshlrev_b32_e32 v14, 16, v6
	v_and_b32_e32 v19, 0xffff0000, v7
	v_lshlrev_b32_e32 v18, 16, v7
	;; [unrolled: 2-line block ×4, first 2 shown]
	v_lshl_add_u64 v[32:33], v[32:33], 0, s[18:19]
	s_waitcnt vmcnt(1)
	v_lshlrev_b32_e32 v40, 16, v17
	s_waitcnt vmcnt(0)
	v_and_b32_e32 v23, 0xffff0000, v12
	v_lshlrev_b32_e32 v22, 16, v12
	v_lshlrev_b32_e32 v12, 16, v16
	v_and_b32_e32 v21, 0xffff0000, v10
	v_lshlrev_b32_e32 v20, 16, v10
	v_and_b32_e32 v9, 0xffff0000, v11
	;; [unrolled: 2-line block ×4, first 2 shown]
	v_pk_fma_f32 v[14:15], v[14:15], v[12:13], v[34:35] op_sel_hi:[1,0,1]
	v_pk_fma_f32 v[12:13], v[18:19], v[12:13], v[36:37] op_sel_hi:[1,0,1]
	;; [unrolled: 1-line block ×4, first 2 shown]
	v_and_b32_e32 v42, 0xffff0000, v17
	v_pk_fma_f32 v[6:7], v[20:21], v[40:41], v[6:7] op_sel_hi:[1,0,1]
	v_pk_fma_f32 v[8:9], v[8:9], v[40:41], v[12:13] op_sel_hi:[1,0,1]
	;; [unrolled: 1-line block ×4, first 2 shown]
	s_andn2_b64 exec, exec, s[10:11]
	s_cbranch_execnz .LBB110_29
; %bb.30:
	s_or_b64 exec, exec, s[10:11]
.LBB110_31:
	s_or_b64 exec, exec, s[2:3]
	v_cmp_lt_u64_e32 vcc, 11, v[0:1]
	s_and_saveexec_b64 s[2:3], vcc
	s_cbranch_execz .LBB110_35
; %bb.32:
	v_lshl_add_u64 v[0:1], v[28:29], 2, s[8:9]
	v_lshl_add_u64 v[20:21], v[0:1], 0, 32
	s_mov_b64 s[8:9], 0
	s_mov_b64 s[10:11], 0x200
.LBB110_33:                             ; =>This Inner Loop Header: Depth=1
	global_load_dwordx4 v[0:3], v[32:33], off
	global_load_dwordx4 v[12:15], v[32:33], off offset:16
	global_load_dwordx4 v[4:7], v[32:33], off offset:128
	global_load_dwordx4 v[8:11], v[32:33], off offset:144
	global_load_dwordx4 v[16:19], v[32:33], off offset:256
	global_load_dword v25, v[20:21], off offset:-32
	global_load_dword v27, v[20:21], off offset:-16
	global_load_dword v70, v[20:21], off
	global_load_dword v71, v[20:21], off offset:16
	global_load_dwordx4 v[38:41], v[32:33], off offset:272
	global_load_dwordx4 v[42:45], v[32:33], off offset:384
	;; [unrolled: 1-line block ×3, first 2 shown]
	v_lshl_add_u64 v[28:29], v[28:29], 0, 16
	v_cmp_ge_i64_e32 vcc, v[28:29], v[30:31]
	v_lshl_add_u64 v[20:21], v[20:21], 0, 64
	v_lshl_add_u64 v[32:33], v[32:33], 0, s[10:11]
	s_or_b64 s[8:9], vcc, s[8:9]
	s_waitcnt vmcnt(11)
	v_and_b32_e32 v23, 0xffff0000, v0
	s_waitcnt vmcnt(10)
	v_and_b32_e32 v55, 0xffff0000, v14
	;; [unrolled: 2-line block ×3, first 2 shown]
	v_lshlrev_b32_e32 v56, 16, v4
	v_lshlrev_b32_e32 v54, 16, v14
	s_waitcnt vmcnt(6)
	v_subrev_u32_e32 v4, s16, v25
	v_and_b32_e32 v59, 0xffff0000, v6
	v_lshlrev_b32_e32 v58, 16, v6
	v_and_b32_e32 v61, 0xffff0000, v8
	v_lshlrev_b32_e32 v60, 16, v8
	;; [unrolled: 2-line block ×3, first 2 shown]
	s_waitcnt vmcnt(5)
	v_subrev_u32_e32 v6, s16, v27
	s_waitcnt vmcnt(4)
	v_subrev_u32_e32 v8, s16, v70
	;; [unrolled: 2-line block ×3, first 2 shown]
	v_lshlrev_b32_e32 v14, 2, v4
	v_lshlrev_b32_e32 v22, 16, v0
	v_and_b32_e32 v51, 0xffff0000, v1
	v_lshlrev_b32_e32 v50, 16, v1
	v_and_b32_e32 v1, 0xffff0000, v2
	;; [unrolled: 2-line block ×6, first 2 shown]
	v_lshlrev_b32_e32 v12, 16, v15
	v_lshlrev_b32_e32 v70, 2, v6
	;; [unrolled: 1-line block ×4, first 2 shown]
	v_ashrrev_i32_e32 v15, 31, v14
	v_ashrrev_i32_e32 v71, 31, v70
	;; [unrolled: 1-line block ×4, first 2 shown]
	s_waitcnt lgkmcnt(0)
	v_lshl_add_u64 v[14:15], v[14:15], 1, s[4:5]
	v_lshl_add_u64 v[70:71], v[70:71], 1, s[4:5]
	;; [unrolled: 1-line block ×4, first 2 shown]
	global_load_dwordx2 v[76:77], v[14:15], off
	global_load_dwordx2 v[78:79], v[70:71], off
	;; [unrolled: 1-line block ×4, first 2 shown]
	s_waitcnt vmcnt(4)
	v_and_b32_e32 v87, 0xffff0000, v48
	v_lshlrev_b32_e32 v86, 16, v48
	v_and_b32_e32 v15, 0xffff0000, v5
	v_lshlrev_b32_e32 v14, 16, v5
	;; [unrolled: 2-line block ×20, first 2 shown]
	s_waitcnt vmcnt(3)
	v_lshlrev_b32_e32 v48, 16, v76
	v_and_b32_e32 v76, 0xffff0000, v76
	v_pk_fma_f32 v[22:23], v[22:23], v[48:49], v[34:35] op_sel_hi:[1,0,1]
	v_pk_fma_f32 v[36:37], v[50:51], v[48:49], v[36:37] op_sel_hi:[1,0,1]
	v_lshlrev_b32_e32 v90, 16, v77
	v_pk_fma_f32 v[0:1], v[0:1], v[76:77], v[22:23] op_sel_hi:[1,0,1]
	v_pk_fma_f32 v[36:37], v[68:69], v[76:77], v[36:37] op_sel_hi:[1,0,1]
	v_and_b32_e32 v92, 0xffff0000, v77
	v_pk_fma_f32 v[0:1], v[52:53], v[90:91], v[0:1] op_sel_hi:[1,0,1]
	v_pk_fma_f32 v[2:3], v[2:3], v[90:91], v[36:37] op_sel_hi:[1,0,1]
	s_waitcnt vmcnt(2)
	v_lshlrev_b32_e32 v94, 16, v78
	v_pk_fma_f32 v[0:1], v[54:55], v[92:93], v[0:1] op_sel_hi:[1,0,1]
	v_pk_fma_f32 v[2:3], v[12:13], v[92:93], v[2:3] op_sel_hi:[1,0,1]
	v_and_b32_e32 v34, 0xffff0000, v78
	v_pk_fma_f32 v[0:1], v[56:57], v[94:95], v[0:1] op_sel_hi:[1,0,1]
	v_pk_fma_f32 v[2:3], v[14:15], v[94:95], v[2:3] op_sel_hi:[1,0,1]
	v_lshlrev_b32_e32 v48, 16, v79
	v_pk_fma_f32 v[0:1], v[58:59], v[34:35], v[0:1] op_sel_hi:[1,0,1]
	v_pk_fma_f32 v[2:3], v[4:5], v[34:35], v[2:3] op_sel_hi:[1,0,1]
	v_and_b32_e32 v50, 0xffff0000, v79
	v_pk_fma_f32 v[0:1], v[60:61], v[48:49], v[0:1] op_sel_hi:[1,0,1]
	v_pk_fma_f32 v[2:3], v[6:7], v[48:49], v[2:3] op_sel_hi:[1,0,1]
	s_waitcnt vmcnt(1)
	v_lshlrev_b32_e32 v78, 16, v80
	v_pk_fma_f32 v[0:1], v[62:63], v[50:51], v[0:1] op_sel_hi:[1,0,1]
	v_pk_fma_f32 v[2:3], v[8:9], v[50:51], v[2:3] op_sel_hi:[1,0,1]
	;; [unrolled: 13-line block ×3, first 2 shown]
	v_and_b32_e32 v52, 0xffff0000, v82
	v_pk_fma_f32 v[0:1], v[40:41], v[80:81], v[0:1] op_sel_hi:[1,0,1]
	v_pk_fma_f32 v[2:3], v[84:85], v[80:81], v[2:3] op_sel_hi:[1,0,1]
	v_lshlrev_b32_e32 v36, 16, v83
	v_pk_fma_f32 v[0:1], v[74:75], v[52:53], v[0:1] op_sel_hi:[1,0,1]
	v_pk_fma_f32 v[2:3], v[42:43], v[52:53], v[2:3] op_sel_hi:[1,0,1]
	v_and_b32_e32 v82, 0xffff0000, v83
	v_pk_fma_f32 v[0:1], v[44:45], v[36:37], v[0:1] op_sel_hi:[1,0,1]
	v_pk_fma_f32 v[2:3], v[88:89], v[36:37], v[2:3] op_sel_hi:[1,0,1]
	v_pk_fma_f32 v[34:35], v[86:87], v[82:83], v[0:1] op_sel_hi:[1,0,1]
	v_pk_fma_f32 v[36:37], v[46:47], v[82:83], v[2:3] op_sel_hi:[1,0,1]
	s_andn2_b64 exec, exec, s[8:9]
	s_cbranch_execnz .LBB110_33
; %bb.34:
	s_or_b64 exec, exec, s[8:9]
.LBB110_35:
	s_or_b64 exec, exec, s[2:3]
.LBB110_36:
	s_or_b64 exec, exec, s[6:7]
.LBB110_37:
	v_mov_b32_dpp v0, v34 row_shr:1 row_mask:0xf bank_mask:0xf
	v_mov_b32_dpp v1, v35 row_shr:1 row_mask:0xf bank_mask:0xf
	;; [unrolled: 1-line block ×4, first 2 shown]
	v_pk_add_f32 v[0:1], v[34:35], v[0:1]
	v_pk_add_f32 v[4:5], v[36:37], v[4:5]
	v_cmp_eq_u32_e32 vcc, 3, v26
	v_mov_b32_dpp v2, v0 row_shr:2 row_mask:0xf bank_mask:0xf
	v_mov_b32_dpp v3, v1 row_shr:2 row_mask:0xf bank_mask:0xf
	;; [unrolled: 1-line block ×4, first 2 shown]
	s_and_b64 exec, exec, vcc
	s_cbranch_execz .LBB110_10
; %bb.38:
	s_load_dwordx2 s[0:1], s[0:1], 0x50
	v_cmp_eq_f32_e64 s[2:3], s14, 0
	v_pk_add_f32 v[2:3], v[0:1], v[2:3]
	v_pk_add_f32 v[0:1], v[4:5], v[6:7]
	s_and_b64 vcc, exec, s[2:3]
	v_lshlrev_b32_e32 v4, 2, v24
	s_cbranch_vccz .LBB110_40
; %bb.39:
	v_ashrrev_i32_e32 v5, 31, v4
	s_waitcnt lgkmcnt(0)
	v_lshl_add_u64 v[10:11], v[4:5], 2, s[0:1]
	v_pk_mul_f32 v[6:7], s[12:13], v[2:3] op_sel_hi:[0,1]
	v_pk_mul_f32 v[8:9], s[12:13], v[0:1] op_sel_hi:[0,1]
	global_store_dwordx4 v[10:11], v[6:9], off
	s_cbranch_execnz .LBB110_10
	s_branch .LBB110_41
.LBB110_40:
.LBB110_41:
	v_ashrrev_i32_e32 v5, 31, v4
	s_waitcnt lgkmcnt(0)
	v_lshl_add_u64 v[8:9], v[4:5], 2, s[0:1]
	global_load_dwordx4 v[4:7], v[8:9], off
	v_pk_mul_f32 v[2:3], s[12:13], v[2:3] op_sel_hi:[0,1]
	v_pk_mul_f32 v[10:11], s[12:13], v[0:1] op_sel_hi:[0,1]
	s_waitcnt vmcnt(0)
	v_pk_fma_f32 v[0:1], s[14:15], v[4:5], v[2:3] op_sel_hi:[0,1,1]
	v_pk_fma_f32 v[2:3], s[14:15], v[6:7], v[10:11] op_sel_hi:[0,1,1]
	global_store_dwordx4 v[8:9], v[0:3], off
	s_endpgm
	.section	.rodata,"a",@progbits
	.p2align	6, 0x0
	.amdhsa_kernel _ZN9rocsparseL18bsrxmvn_4x4_kernelILj128ELj4Efli18rocsparse_bfloat16S1_fEEvT3_20rocsparse_direction_NS_24const_host_device_scalarIT1_EES2_PKS2_PKT2_SB_S8_PKT4_PKT5_S6_PT6_21rocsparse_index_base_b
		.amdhsa_group_segment_fixed_size 0
		.amdhsa_private_segment_fixed_size 0
		.amdhsa_kernarg_size 96
		.amdhsa_user_sgpr_count 2
		.amdhsa_user_sgpr_dispatch_ptr 0
		.amdhsa_user_sgpr_queue_ptr 0
		.amdhsa_user_sgpr_kernarg_segment_ptr 1
		.amdhsa_user_sgpr_dispatch_id 0
		.amdhsa_user_sgpr_kernarg_preload_length 0
		.amdhsa_user_sgpr_kernarg_preload_offset 0
		.amdhsa_user_sgpr_private_segment_size 0
		.amdhsa_uses_dynamic_stack 0
		.amdhsa_enable_private_segment 0
		.amdhsa_system_sgpr_workgroup_id_x 1
		.amdhsa_system_sgpr_workgroup_id_y 0
		.amdhsa_system_sgpr_workgroup_id_z 0
		.amdhsa_system_sgpr_workgroup_info 0
		.amdhsa_system_vgpr_workitem_id 0
		.amdhsa_next_free_vgpr 102
		.amdhsa_next_free_sgpr 22
		.amdhsa_accum_offset 104
		.amdhsa_reserve_vcc 1
		.amdhsa_float_round_mode_32 0
		.amdhsa_float_round_mode_16_64 0
		.amdhsa_float_denorm_mode_32 3
		.amdhsa_float_denorm_mode_16_64 3
		.amdhsa_dx10_clamp 1
		.amdhsa_ieee_mode 1
		.amdhsa_fp16_overflow 0
		.amdhsa_tg_split 0
		.amdhsa_exception_fp_ieee_invalid_op 0
		.amdhsa_exception_fp_denorm_src 0
		.amdhsa_exception_fp_ieee_div_zero 0
		.amdhsa_exception_fp_ieee_overflow 0
		.amdhsa_exception_fp_ieee_underflow 0
		.amdhsa_exception_fp_ieee_inexact 0
		.amdhsa_exception_int_div_zero 0
	.end_amdhsa_kernel
	.section	.text._ZN9rocsparseL18bsrxmvn_4x4_kernelILj128ELj4Efli18rocsparse_bfloat16S1_fEEvT3_20rocsparse_direction_NS_24const_host_device_scalarIT1_EES2_PKS2_PKT2_SB_S8_PKT4_PKT5_S6_PT6_21rocsparse_index_base_b,"axG",@progbits,_ZN9rocsparseL18bsrxmvn_4x4_kernelILj128ELj4Efli18rocsparse_bfloat16S1_fEEvT3_20rocsparse_direction_NS_24const_host_device_scalarIT1_EES2_PKS2_PKT2_SB_S8_PKT4_PKT5_S6_PT6_21rocsparse_index_base_b,comdat
.Lfunc_end110:
	.size	_ZN9rocsparseL18bsrxmvn_4x4_kernelILj128ELj4Efli18rocsparse_bfloat16S1_fEEvT3_20rocsparse_direction_NS_24const_host_device_scalarIT1_EES2_PKS2_PKT2_SB_S8_PKT4_PKT5_S6_PT6_21rocsparse_index_base_b, .Lfunc_end110-_ZN9rocsparseL18bsrxmvn_4x4_kernelILj128ELj4Efli18rocsparse_bfloat16S1_fEEvT3_20rocsparse_direction_NS_24const_host_device_scalarIT1_EES2_PKS2_PKT2_SB_S8_PKT4_PKT5_S6_PT6_21rocsparse_index_base_b
                                        ; -- End function
	.set _ZN9rocsparseL18bsrxmvn_4x4_kernelILj128ELj4Efli18rocsparse_bfloat16S1_fEEvT3_20rocsparse_direction_NS_24const_host_device_scalarIT1_EES2_PKS2_PKT2_SB_S8_PKT4_PKT5_S6_PT6_21rocsparse_index_base_b.num_vgpr, 102
	.set _ZN9rocsparseL18bsrxmvn_4x4_kernelILj128ELj4Efli18rocsparse_bfloat16S1_fEEvT3_20rocsparse_direction_NS_24const_host_device_scalarIT1_EES2_PKS2_PKT2_SB_S8_PKT4_PKT5_S6_PT6_21rocsparse_index_base_b.num_agpr, 0
	.set _ZN9rocsparseL18bsrxmvn_4x4_kernelILj128ELj4Efli18rocsparse_bfloat16S1_fEEvT3_20rocsparse_direction_NS_24const_host_device_scalarIT1_EES2_PKS2_PKT2_SB_S8_PKT4_PKT5_S6_PT6_21rocsparse_index_base_b.numbered_sgpr, 22
	.set _ZN9rocsparseL18bsrxmvn_4x4_kernelILj128ELj4Efli18rocsparse_bfloat16S1_fEEvT3_20rocsparse_direction_NS_24const_host_device_scalarIT1_EES2_PKS2_PKT2_SB_S8_PKT4_PKT5_S6_PT6_21rocsparse_index_base_b.num_named_barrier, 0
	.set _ZN9rocsparseL18bsrxmvn_4x4_kernelILj128ELj4Efli18rocsparse_bfloat16S1_fEEvT3_20rocsparse_direction_NS_24const_host_device_scalarIT1_EES2_PKS2_PKT2_SB_S8_PKT4_PKT5_S6_PT6_21rocsparse_index_base_b.private_seg_size, 0
	.set _ZN9rocsparseL18bsrxmvn_4x4_kernelILj128ELj4Efli18rocsparse_bfloat16S1_fEEvT3_20rocsparse_direction_NS_24const_host_device_scalarIT1_EES2_PKS2_PKT2_SB_S8_PKT4_PKT5_S6_PT6_21rocsparse_index_base_b.uses_vcc, 1
	.set _ZN9rocsparseL18bsrxmvn_4x4_kernelILj128ELj4Efli18rocsparse_bfloat16S1_fEEvT3_20rocsparse_direction_NS_24const_host_device_scalarIT1_EES2_PKS2_PKT2_SB_S8_PKT4_PKT5_S6_PT6_21rocsparse_index_base_b.uses_flat_scratch, 0
	.set _ZN9rocsparseL18bsrxmvn_4x4_kernelILj128ELj4Efli18rocsparse_bfloat16S1_fEEvT3_20rocsparse_direction_NS_24const_host_device_scalarIT1_EES2_PKS2_PKT2_SB_S8_PKT4_PKT5_S6_PT6_21rocsparse_index_base_b.has_dyn_sized_stack, 0
	.set _ZN9rocsparseL18bsrxmvn_4x4_kernelILj128ELj4Efli18rocsparse_bfloat16S1_fEEvT3_20rocsparse_direction_NS_24const_host_device_scalarIT1_EES2_PKS2_PKT2_SB_S8_PKT4_PKT5_S6_PT6_21rocsparse_index_base_b.has_recursion, 0
	.set _ZN9rocsparseL18bsrxmvn_4x4_kernelILj128ELj4Efli18rocsparse_bfloat16S1_fEEvT3_20rocsparse_direction_NS_24const_host_device_scalarIT1_EES2_PKS2_PKT2_SB_S8_PKT4_PKT5_S6_PT6_21rocsparse_index_base_b.has_indirect_call, 0
	.section	.AMDGPU.csdata,"",@progbits
; Kernel info:
; codeLenInByte = 3920
; TotalNumSgprs: 28
; NumVgprs: 102
; NumAgprs: 0
; TotalNumVgprs: 102
; ScratchSize: 0
; MemoryBound: 0
; FloatMode: 240
; IeeeMode: 1
; LDSByteSize: 0 bytes/workgroup (compile time only)
; SGPRBlocks: 3
; VGPRBlocks: 12
; NumSGPRsForWavesPerEU: 28
; NumVGPRsForWavesPerEU: 102
; AccumOffset: 104
; Occupancy: 4
; WaveLimiterHint : 1
; COMPUTE_PGM_RSRC2:SCRATCH_EN: 0
; COMPUTE_PGM_RSRC2:USER_SGPR: 2
; COMPUTE_PGM_RSRC2:TRAP_HANDLER: 0
; COMPUTE_PGM_RSRC2:TGID_X_EN: 1
; COMPUTE_PGM_RSRC2:TGID_Y_EN: 0
; COMPUTE_PGM_RSRC2:TGID_Z_EN: 0
; COMPUTE_PGM_RSRC2:TIDIG_COMP_CNT: 0
; COMPUTE_PGM_RSRC3_GFX90A:ACCUM_OFFSET: 25
; COMPUTE_PGM_RSRC3_GFX90A:TG_SPLIT: 0
	.section	.text._ZN9rocsparseL18bsrxmvn_4x4_kernelILj128ELj8Efli18rocsparse_bfloat16S1_fEEvT3_20rocsparse_direction_NS_24const_host_device_scalarIT1_EES2_PKS2_PKT2_SB_S8_PKT4_PKT5_S6_PT6_21rocsparse_index_base_b,"axG",@progbits,_ZN9rocsparseL18bsrxmvn_4x4_kernelILj128ELj8Efli18rocsparse_bfloat16S1_fEEvT3_20rocsparse_direction_NS_24const_host_device_scalarIT1_EES2_PKS2_PKT2_SB_S8_PKT4_PKT5_S6_PT6_21rocsparse_index_base_b,comdat
	.globl	_ZN9rocsparseL18bsrxmvn_4x4_kernelILj128ELj8Efli18rocsparse_bfloat16S1_fEEvT3_20rocsparse_direction_NS_24const_host_device_scalarIT1_EES2_PKS2_PKT2_SB_S8_PKT4_PKT5_S6_PT6_21rocsparse_index_base_b ; -- Begin function _ZN9rocsparseL18bsrxmvn_4x4_kernelILj128ELj8Efli18rocsparse_bfloat16S1_fEEvT3_20rocsparse_direction_NS_24const_host_device_scalarIT1_EES2_PKS2_PKT2_SB_S8_PKT4_PKT5_S6_PT6_21rocsparse_index_base_b
	.p2align	8
	.type	_ZN9rocsparseL18bsrxmvn_4x4_kernelILj128ELj8Efli18rocsparse_bfloat16S1_fEEvT3_20rocsparse_direction_NS_24const_host_device_scalarIT1_EES2_PKS2_PKT2_SB_S8_PKT4_PKT5_S6_PT6_21rocsparse_index_base_b,@function
_ZN9rocsparseL18bsrxmvn_4x4_kernelILj128ELj8Efli18rocsparse_bfloat16S1_fEEvT3_20rocsparse_direction_NS_24const_host_device_scalarIT1_EES2_PKS2_PKT2_SB_S8_PKT4_PKT5_S6_PT6_21rocsparse_index_base_b: ; @_ZN9rocsparseL18bsrxmvn_4x4_kernelILj128ELj8Efli18rocsparse_bfloat16S1_fEEvT3_20rocsparse_direction_NS_24const_host_device_scalarIT1_EES2_PKS2_PKT2_SB_S8_PKT4_PKT5_S6_PT6_21rocsparse_index_base_b
; %bb.0:
	s_load_dwordx2 s[16:17], s[0:1], 0x58
	s_load_dwordx2 s[12:13], s[0:1], 0x8
	;; [unrolled: 1-line block ×3, first 2 shown]
	s_waitcnt lgkmcnt(0)
	s_bitcmp1_b32 s17, 0
	s_cselect_b64 s[6:7], -1, 0
	s_xor_b64 s[4:5], s[6:7], -1
	s_and_b64 vcc, exec, s[6:7]
	s_cbranch_vccnz .LBB111_2
; %bb.1:
	s_load_dword s12, s[12:13], 0x0
.LBB111_2:
	s_andn2_b64 vcc, exec, s[4:5]
	s_cbranch_vccnz .LBB111_4
; %bb.3:
	s_load_dword s14, s[14:15], 0x0
.LBB111_4:
	s_waitcnt lgkmcnt(0)
	v_cmp_neq_f32_e64 s[4:5], s12, 0
	v_cmp_neq_f32_e64 s[6:7], s14, 1.0
	s_or_b64 s[4:5], s[4:5], s[6:7]
	s_andn2_b64 vcc, exec, s[4:5]
	s_cbranch_vccnz .LBB111_10
; %bb.5:
	s_load_dwordx2 s[4:5], s[0:1], 0x18
	s_load_dwordx2 s[18:19], s[0:1], 0x0
	v_lshrrev_b32_e32 v1, 3, v0
	v_lshl_or_b32 v20, s2, 4, v1
	s_mov_b64 s[2:3], 0
	s_waitcnt lgkmcnt(0)
	s_cmp_lg_u64 s[4:5], 0
	s_cbranch_scc0 .LBB111_11
; %bb.6:
	s_load_dword s6, s[0:1], 0x10
                                        ; implicit-def: $vgpr1
	s_waitcnt lgkmcnt(0)
	v_cmp_gt_i32_e32 vcc, s6, v20
	s_and_saveexec_b64 s[6:7], vcc
	s_xor_b64 s[6:7], exec, s[6:7]
	s_cbranch_execz .LBB111_8
; %bb.7:
	v_ashrrev_i32_e32 v21, 31, v20
	v_lshl_add_u64 v[2:3], v[20:21], 2, s[4:5]
	global_load_dword v1, v[2:3], off
	s_mov_b64 s[2:3], exec
	s_waitcnt vmcnt(0)
	v_subrev_u32_e32 v1, s16, v1
.LBB111_8:
	s_or_b64 exec, exec, s[6:7]
	s_branch .LBB111_12
.LBB111_9:
	v_cmp_gt_i32_e32 vcc, s18, v20
	s_andn2_b64 s[2:3], s[2:3], exec
	s_and_b64 s[4:5], vcc, exec
	s_or_b64 s[2:3], s[2:3], s[4:5]
	s_and_saveexec_b64 s[4:5], s[2:3]
	s_cbranch_execnz .LBB111_13
.LBB111_10:
	s_endpgm
.LBB111_11:
                                        ; implicit-def: $vgpr1
	s_cbranch_execnz .LBB111_9
.LBB111_12:
	v_mov_b32_e32 v20, v1
	s_and_saveexec_b64 s[4:5], s[2:3]
	s_cbranch_execz .LBB111_10
.LBB111_13:
	s_load_dwordx8 s[4:11], s[0:1], 0x20
	v_ashrrev_i32_e32 v21, 31, v20
	v_lshlrev_b64 v[2:3], 3, v[20:21]
	v_and_b32_e32 v22, 7, v0
	v_mov_b32_e32 v23, 0
	s_waitcnt lgkmcnt(0)
	v_lshl_add_u64 v[4:5], s[4:5], 0, v[2:3]
	s_cmp_eq_u64 s[6:7], 0
	v_lshl_add_u64 v[2:3], s[6:7], 0, v[2:3]
	global_load_dwordx2 v[34:35], v[4:5], off
	v_lshl_add_u64 v[4:5], v[4:5], 0, 8
	s_cselect_b64 vcc, -1, 0
	v_cndmask_b32_e32 v3, v3, v5, vcc
	v_cndmask_b32_e32 v2, v2, v4, vcc
	global_load_dwordx2 v[2:3], v[2:3], off
	s_load_dwordx2 s[4:5], s[0:1], 0x40
	s_cmp_eq_u32 s19, 1
	s_waitcnt vmcnt(1)
	v_subrev_co_u32_e32 v0, vcc, s16, v34
	s_nop 1
	v_subbrev_co_u32_e32 v1, vcc, 0, v35, vcc
	v_lshl_add_u64 v[24:25], v[0:1], 0, v[22:23]
	s_waitcnt vmcnt(0)
	v_subrev_co_u32_e32 v26, vcc, s16, v2
	v_lshlrev_b64 v[0:1], 5, v[24:25]
	s_nop 0
	v_subbrev_co_u32_e32 v27, vcc, 0, v3, vcc
	v_lshl_add_u64 v[28:29], s[10:11], 0, v[0:1]
	v_cmp_lt_i64_e64 s[2:3], v[24:25], v[26:27]
	s_cbranch_scc1 .LBB111_25
; %bb.14:
	v_mov_b32_e32 v30, v23
	v_mov_b32_e32 v33, v23
	v_mov_b32_e32 v32, v23
	s_and_saveexec_b64 s[6:7], s[2:3]
	s_cbranch_execz .LBB111_24
; %bb.15:
	v_or_b32_e32 v0, 8, v22
	v_subrev_co_u32_e32 v0, vcc, s16, v0
	v_not_b32_e32 v3, v35
	s_nop 0
	v_subb_co_u32_e64 v1, s[10:11], 0, 0, vcc
	v_lshl_add_u64 v[0:1], v[0:1], 0, v[34:35]
	v_cmp_gt_i64_e32 vcc, v[0:1], v[26:27]
	v_not_b32_e32 v2, v34
	v_mov_b32_e32 v33, 0
	v_cndmask_b32_e32 v1, v27, v1, vcc
	v_cndmask_b32_e32 v0, v26, v0, vcc
	v_sub_co_u32_e32 v4, vcc, s16, v22
	v_mov_b32_e32 v30, v33
	s_nop 0
	v_subb_co_u32_e64 v5, s[10:11], 0, 0, vcc
	v_lshl_add_u64 v[2:3], v[4:5], 0, v[2:3]
	v_lshl_add_u64 v[0:1], v[2:3], 0, v[0:1]
	v_and_b32_e32 v32, 24, v0
	v_cmp_ne_u64_e32 vcc, 24, v[32:33]
	v_mov_b32_e32 v32, v33
	v_mov_b32_e32 v31, v33
	v_mov_b64_e32 v[36:37], v[24:25]
	v_mov_b64_e32 v[38:39], v[28:29]
	s_and_saveexec_b64 s[10:11], vcc
	s_cbranch_execz .LBB111_19
; %bb.16:
	v_lshrrev_b32_e32 v2, 3, v0
	v_add_u32_e32 v2, 1, v2
	v_and_b32_e32 v4, 3, v2
	v_sub_co_u32_e32 v4, vcc, 0, v4
	v_mov_b32_e32 v31, 0
	s_nop 0
	v_subb_co_u32_e64 v5, s[20:21], 0, 0, vcc
	v_lshl_add_u64 v[2:3], v[24:25], 2, s[8:9]
	s_mov_b64 s[18:19], 0
	s_mov_b64 s[20:21], 0x100
	v_mov_b64_e32 v[38:39], v[28:29]
	v_mov_b64_e32 v[36:37], v[24:25]
	v_mov_b32_e32 v30, v31
	v_mov_b32_e32 v33, v31
	;; [unrolled: 1-line block ×3, first 2 shown]
.LBB111_17:                             ; =>This Inner Loop Header: Depth=1
	global_load_dword v14, v[2:3], off
	global_load_dwordx4 v[6:9], v[38:39], off
	global_load_dwordx4 v[10:13], v[38:39], off offset:16
	v_lshl_add_u64 v[4:5], v[4:5], 0, 1
	v_cmp_eq_u64_e32 vcc, 0, v[4:5]
	v_lshl_add_u64 v[38:39], v[38:39], 0, s[20:21]
	v_lshl_add_u64 v[36:37], v[36:37], 0, 8
	;; [unrolled: 1-line block ×3, first 2 shown]
	s_or_b64 s[18:19], vcc, s[18:19]
	s_waitcnt vmcnt(2)
	v_subrev_u32_e32 v14, s16, v14
	v_lshlrev_b32_e32 v14, 2, v14
	v_ashrrev_i32_e32 v15, 31, v14
	s_waitcnt lgkmcnt(0)
	v_lshl_add_u64 v[14:15], v[14:15], 1, s[4:5]
	global_load_dwordx2 v[14:15], v[14:15], off
	s_waitcnt vmcnt(2)
	v_and_b32_e32 v16, 0xffff0000, v6
	v_lshlrev_b32_e32 v19, 16, v8
	v_lshlrev_b32_e32 v18, 16, v6
	s_waitcnt vmcnt(1)
	v_and_b32_e32 v6, 0xffff0000, v10
	v_lshlrev_b32_e32 v43, 16, v12
	v_lshlrev_b32_e32 v42, 16, v10
	v_and_b32_e32 v17, 0xffff0000, v8
	v_lshlrev_b32_e32 v40, 16, v7
	v_and_b32_e32 v8, 0xffff0000, v7
	v_and_b32_e32 v7, 0xffff0000, v12
	v_lshlrev_b32_e32 v44, 16, v11
	v_and_b32_e32 v12, 0xffff0000, v11
	v_lshlrev_b32_e32 v41, 16, v9
	v_lshlrev_b32_e32 v45, 16, v13
	v_and_b32_e32 v9, 0xffff0000, v9
	v_and_b32_e32 v13, 0xffff0000, v13
	s_waitcnt vmcnt(0)
	v_lshlrev_b32_e32 v10, 16, v14
	v_and_b32_e32 v14, 0xffff0000, v14
	v_pk_fma_f32 v[18:19], v[18:19], v[10:11], v[32:33] op_sel_hi:[1,0,1]
	v_pk_fma_f32 v[10:11], v[42:43], v[10:11], v[30:31] op_sel_hi:[1,0,1]
	v_lshlrev_b32_e32 v46, 16, v15
	v_pk_fma_f32 v[16:17], v[16:17], v[14:15], v[18:19] op_sel_hi:[1,0,1]
	v_pk_fma_f32 v[6:7], v[6:7], v[14:15], v[10:11] op_sel_hi:[1,0,1]
	v_and_b32_e32 v48, 0xffff0000, v15
	v_pk_fma_f32 v[10:11], v[40:41], v[46:47], v[16:17] op_sel_hi:[1,0,1]
	v_pk_fma_f32 v[6:7], v[44:45], v[46:47], v[6:7] op_sel_hi:[1,0,1]
	;; [unrolled: 1-line block ×4, first 2 shown]
	s_andn2_b64 exec, exec, s[18:19]
	s_cbranch_execnz .LBB111_17
; %bb.18:
	s_or_b64 exec, exec, s[18:19]
.LBB111_19:
	s_or_b64 exec, exec, s[10:11]
	v_cmp_lt_u64_e32 vcc, 23, v[0:1]
	s_and_saveexec_b64 s[10:11], vcc
	s_cbranch_execz .LBB111_23
; %bb.20:
	v_lshl_add_u64 v[0:1], v[36:37], 2, s[8:9]
	v_lshl_add_u64 v[40:41], v[0:1], 0, 64
	s_mov_b64 s[18:19], 0
	s_mov_b64 s[20:21], 0x80
	;; [unrolled: 1-line block ×3, first 2 shown]
.LBB111_21:                             ; =>This Inner Loop Header: Depth=1
	global_load_dword v21, v[40:41], off offset:-64
	global_load_dwordx4 v[4:7], v[38:39], off
	global_load_dwordx4 v[0:3], v[38:39], off offset:16
	global_load_dword v23, v[40:41], off offset:-32
	global_load_dword v62, v[40:41], off
	global_load_dwordx4 v[12:15], v[38:39], off offset:256
	global_load_dwordx4 v[8:11], v[38:39], off offset:512
	global_load_dword v72, v[40:41], off offset:32
	global_load_dwordx4 v[42:45], v[38:39], off offset:272
	global_load_dwordx4 v[46:49], v[38:39], off offset:528
	;; [unrolled: 1-line block ×4, first 2 shown]
	v_lshl_add_u64 v[36:37], v[36:37], 0, 32
	v_cmp_ge_i64_e32 vcc, v[36:37], v[26:27]
	v_lshl_add_u64 v[40:41], v[40:41], 0, s[20:21]
	v_lshl_add_u64 v[38:39], v[38:39], 0, s[22:23]
	s_or_b64 s[18:19], vcc, s[18:19]
	s_waitcnt vmcnt(11)
	v_subrev_u32_e32 v21, s16, v21
	s_waitcnt vmcnt(10)
	v_and_b32_e32 v54, 0xffff0000, v4
	v_lshlrev_b32_e32 v57, 16, v6
	v_lshlrev_b32_e32 v56, 16, v4
	v_and_b32_e32 v55, 0xffff0000, v6
	s_waitcnt vmcnt(9)
	v_and_b32_e32 v58, 0xffff0000, v0
	v_lshlrev_b32_e32 v61, 16, v2
	v_lshlrev_b32_e32 v60, 16, v0
	v_and_b32_e32 v59, 0xffff0000, v2
	s_waitcnt vmcnt(8)
	v_subrev_u32_e32 v0, s16, v23
	s_waitcnt vmcnt(7)
	v_subrev_u32_e32 v2, s16, v62
	v_lshlrev_b32_e32 v62, 16, v5
	v_and_b32_e32 v6, 0xffff0000, v5
	s_waitcnt vmcnt(6)
	v_lshlrev_b32_e32 v5, 16, v14
	v_lshlrev_b32_e32 v4, 16, v12
	v_and_b32_e32 v65, 0xffff0000, v14
	v_and_b32_e32 v64, 0xffff0000, v12
	v_lshlrev_b32_e32 v66, 16, v13
	v_and_b32_e32 v14, 0xffff0000, v13
	s_waitcnt vmcnt(5)
	v_lshlrev_b32_e32 v13, 16, v10
	v_lshlrev_b32_e32 v12, 16, v8
	v_and_b32_e32 v69, 0xffff0000, v10
	v_and_b32_e32 v68, 0xffff0000, v8
	v_lshlrev_b32_e32 v70, 16, v9
	v_and_b32_e32 v10, 0xffff0000, v9
	s_waitcnt vmcnt(4)
	v_subrev_u32_e32 v9, s16, v72
	v_lshlrev_b32_e32 v8, 2, v21
	v_lshlrev_b32_e32 v72, 2, v0
	;; [unrolled: 1-line block ×4, first 2 shown]
	v_ashrrev_i32_e32 v9, 31, v8
	v_ashrrev_i32_e32 v73, 31, v72
	;; [unrolled: 1-line block ×4, first 2 shown]
	s_waitcnt lgkmcnt(0)
	v_lshl_add_u64 v[8:9], v[8:9], 1, s[4:5]
	v_lshl_add_u64 v[72:73], v[72:73], 1, s[4:5]
	;; [unrolled: 1-line block ×4, first 2 shown]
	global_load_dwordx2 v[78:79], v[8:9], off
	global_load_dwordx2 v[80:81], v[72:73], off
	;; [unrolled: 1-line block ×4, first 2 shown]
	s_waitcnt vmcnt(7)
	v_lshlrev_b32_e32 v0, 16, v42
	v_and_b32_e32 v72, 0xffff0000, v42
	s_waitcnt vmcnt(6)
	v_lshlrev_b32_e32 v42, 16, v46
	v_and_b32_e32 v76, 0xffff0000, v46
	;; [unrolled: 3-line block ×4, first 2 shown]
	v_lshlrev_b32_e32 v63, 16, v7
	v_lshlrev_b32_e32 v9, 16, v3
	v_lshlrev_b32_e32 v8, 16, v1
	v_and_b32_e32 v7, 0xffff0000, v7
	v_and_b32_e32 v3, 0xffff0000, v3
	v_and_b32_e32 v2, 0xffff0000, v1
	v_lshlrev_b32_e32 v1, 16, v44
	v_and_b32_e32 v73, 0xffff0000, v44
	v_lshlrev_b32_e32 v67, 16, v15
	v_lshlrev_b32_e32 v75, 16, v45
	v_lshlrev_b32_e32 v74, 16, v43
	v_and_b32_e32 v15, 0xffff0000, v15
	v_and_b32_e32 v45, 0xffff0000, v45
	v_and_b32_e32 v44, 0xffff0000, v43
	v_lshlrev_b32_e32 v43, 16, v48
	v_and_b32_e32 v77, 0xffff0000, v48
	;; [unrolled: 8-line block ×3, first 2 shown]
	v_lshlrev_b32_e32 v90, 16, v17
	v_and_b32_e32 v18, 0xffff0000, v17
	v_lshlrev_b32_e32 v17, 16, v52
	v_and_b32_e32 v93, 0xffff0000, v52
	v_lshlrev_b32_e32 v91, 16, v19
	v_lshlrev_b32_e32 v95, 16, v53
	v_lshlrev_b32_e32 v94, 16, v51
	v_and_b32_e32 v19, 0xffff0000, v19
	v_and_b32_e32 v53, 0xffff0000, v53
	;; [unrolled: 1-line block ×3, first 2 shown]
	s_waitcnt vmcnt(3)
	v_lshlrev_b32_e32 v50, 16, v78
	v_and_b32_e32 v78, 0xffff0000, v78
	v_pk_fma_f32 v[32:33], v[56:57], v[50:51], v[32:33] op_sel_hi:[1,0,1]
	v_pk_fma_f32 v[30:31], v[60:61], v[50:51], v[30:31] op_sel_hi:[1,0,1]
	v_lshlrev_b32_e32 v96, 16, v79
	v_pk_fma_f32 v[32:33], v[54:55], v[78:79], v[32:33] op_sel_hi:[1,0,1]
	v_pk_fma_f32 v[30:31], v[58:59], v[78:79], v[30:31] op_sel_hi:[1,0,1]
	v_and_b32_e32 v98, 0xffff0000, v79
	v_pk_fma_f32 v[32:33], v[62:63], v[96:97], v[32:33] op_sel_hi:[1,0,1]
	v_pk_fma_f32 v[8:9], v[8:9], v[96:97], v[30:31] op_sel_hi:[1,0,1]
	s_waitcnt vmcnt(2)
	v_lshlrev_b32_e32 v100, 16, v80
	v_pk_fma_f32 v[6:7], v[6:7], v[98:99], v[32:33] op_sel_hi:[1,0,1]
	v_pk_fma_f32 v[2:3], v[2:3], v[98:99], v[8:9] op_sel_hi:[1,0,1]
	v_and_b32_e32 v56, 0xffff0000, v80
	v_pk_fma_f32 v[4:5], v[4:5], v[100:101], v[6:7] op_sel_hi:[1,0,1]
	v_pk_fma_f32 v[0:1], v[0:1], v[100:101], v[2:3] op_sel_hi:[1,0,1]
	v_lshlrev_b32_e32 v50, 16, v81
	v_pk_fma_f32 v[2:3], v[64:65], v[56:57], v[4:5] op_sel_hi:[1,0,1]
	v_pk_fma_f32 v[0:1], v[72:73], v[56:57], v[0:1] op_sel_hi:[1,0,1]
	v_and_b32_e32 v60, 0xffff0000, v81
	v_pk_fma_f32 v[2:3], v[66:67], v[50:51], v[2:3] op_sel_hi:[1,0,1]
	v_pk_fma_f32 v[0:1], v[74:75], v[50:51], v[0:1] op_sel_hi:[1,0,1]
	s_waitcnt vmcnt(1)
	v_lshlrev_b32_e32 v80, 16, v82
	v_pk_fma_f32 v[2:3], v[14:15], v[60:61], v[2:3] op_sel_hi:[1,0,1]
	v_pk_fma_f32 v[0:1], v[44:45], v[60:61], v[0:1] op_sel_hi:[1,0,1]
	;; [unrolled: 13-line block ×3, first 2 shown]
	v_and_b32_e32 v62, 0xffff0000, v84
	v_pk_fma_f32 v[2:3], v[46:47], v[82:83], v[2:3] op_sel_hi:[1,0,1]
	v_pk_fma_f32 v[0:1], v[16:17], v[82:83], v[0:1] op_sel_hi:[1,0,1]
	v_lshlrev_b32_e32 v30, 16, v85
	v_pk_fma_f32 v[2:3], v[88:89], v[62:63], v[2:3] op_sel_hi:[1,0,1]
	v_pk_fma_f32 v[0:1], v[92:93], v[62:63], v[0:1] op_sel_hi:[1,0,1]
	v_and_b32_e32 v84, 0xffff0000, v85
	v_pk_fma_f32 v[2:3], v[90:91], v[30:31], v[2:3] op_sel_hi:[1,0,1]
	v_pk_fma_f32 v[0:1], v[94:95], v[30:31], v[0:1] op_sel_hi:[1,0,1]
	;; [unrolled: 1-line block ×4, first 2 shown]
	s_andn2_b64 exec, exec, s[18:19]
	s_cbranch_execnz .LBB111_21
; %bb.22:
	s_or_b64 exec, exec, s[18:19]
.LBB111_23:
	s_or_b64 exec, exec, s[10:11]
	v_mov_b32_e32 v23, v31
.LBB111_24:
	s_or_b64 exec, exec, s[6:7]
	v_mov_b32_e32 v31, v23
	s_cbranch_execz .LBB111_26
	s_branch .LBB111_37
.LBB111_25:
                                        ; implicit-def: $vgpr31
                                        ; implicit-def: $vgpr33
.LBB111_26:
	v_mov_b32_e32 v31, 0
	v_mov_b32_e32 v30, 0
	;; [unrolled: 1-line block ×4, first 2 shown]
	s_and_saveexec_b64 s[6:7], s[2:3]
	s_cbranch_execz .LBB111_36
; %bb.27:
	v_or_b32_e32 v0, 8, v22
	v_subrev_co_u32_e32 v0, vcc, s16, v0
	v_not_b32_e32 v3, v35
	s_nop 0
	v_subb_co_u32_e64 v1, s[2:3], 0, 0, vcc
	v_lshl_add_u64 v[0:1], v[0:1], 0, v[34:35]
	v_cmp_gt_i64_e32 vcc, v[0:1], v[26:27]
	v_not_b32_e32 v2, v34
	v_mov_b32_e32 v33, 0
	v_cndmask_b32_e32 v1, v27, v1, vcc
	v_cndmask_b32_e32 v0, v26, v0, vcc
	v_sub_co_u32_e32 v4, vcc, s16, v22
	v_mov_b32_e32 v30, v33
	s_nop 0
	v_subb_co_u32_e64 v5, s[2:3], 0, 0, vcc
	v_lshl_add_u64 v[2:3], v[4:5], 0, v[2:3]
	v_lshl_add_u64 v[0:1], v[2:3], 0, v[0:1]
	v_and_b32_e32 v32, 24, v0
	v_cmp_ne_u64_e32 vcc, 24, v[32:33]
	v_mov_b32_e32 v32, v33
	v_mov_b32_e32 v31, v33
	s_and_saveexec_b64 s[2:3], vcc
	s_cbranch_execz .LBB111_31
; %bb.28:
	v_lshrrev_b32_e32 v2, 3, v0
	v_add_u32_e32 v2, 1, v2
	v_and_b32_e32 v4, 3, v2
	v_sub_co_u32_e32 v4, vcc, 0, v4
	v_mov_b32_e32 v31, 0
	s_nop 0
	v_subb_co_u32_e64 v5, s[18:19], 0, 0, vcc
	v_lshl_add_u64 v[2:3], v[24:25], 2, s[8:9]
	s_mov_b64 s[10:11], 0
	s_mov_b64 s[18:19], 0x100
	v_mov_b32_e32 v30, v31
	v_mov_b32_e32 v33, v31
	;; [unrolled: 1-line block ×3, first 2 shown]
.LBB111_29:                             ; =>This Inner Loop Header: Depth=1
	global_load_dword v10, v[2:3], off
	global_load_dwordx4 v[6:9], v[28:29], off
	v_lshl_add_u64 v[4:5], v[4:5], 0, 1
	v_cmp_eq_u64_e32 vcc, 0, v[4:5]
	v_lshl_add_u64 v[24:25], v[24:25], 0, 8
	v_lshl_add_u64 v[2:3], v[2:3], 0, 32
	s_or_b64 s[10:11], vcc, s[10:11]
	s_waitcnt vmcnt(1)
	v_subrev_u32_e32 v10, s16, v10
	v_lshlrev_b32_e32 v10, 2, v10
	v_ashrrev_i32_e32 v11, 31, v10
	s_waitcnt lgkmcnt(0)
	v_lshl_add_u64 v[14:15], v[10:11], 1, s[4:5]
	global_load_dwordx2 v[16:17], v[14:15], off
	global_load_dwordx4 v[10:13], v[28:29], off offset:16
	s_waitcnt vmcnt(2)
	v_and_b32_e32 v15, 0xffff0000, v6
	v_lshlrev_b32_e32 v14, 16, v6
	v_and_b32_e32 v19, 0xffff0000, v7
	v_lshlrev_b32_e32 v18, 16, v7
	;; [unrolled: 2-line block ×4, first 2 shown]
	v_lshl_add_u64 v[28:29], v[28:29], 0, s[18:19]
	s_waitcnt vmcnt(1)
	v_lshlrev_b32_e32 v40, 16, v17
	s_waitcnt vmcnt(0)
	v_and_b32_e32 v37, 0xffff0000, v12
	v_lshlrev_b32_e32 v36, 16, v12
	v_lshlrev_b32_e32 v12, 16, v16
	v_and_b32_e32 v9, 0xffff0000, v10
	v_lshlrev_b32_e32 v8, 16, v10
	v_and_b32_e32 v39, 0xffff0000, v11
	;; [unrolled: 2-line block ×4, first 2 shown]
	v_pk_fma_f32 v[14:15], v[14:15], v[12:13], v[32:33] op_sel_hi:[1,0,1]
	v_pk_fma_f32 v[12:13], v[18:19], v[12:13], v[30:31] op_sel_hi:[1,0,1]
	;; [unrolled: 1-line block ×4, first 2 shown]
	v_and_b32_e32 v42, 0xffff0000, v17
	v_pk_fma_f32 v[6:7], v[8:9], v[40:41], v[6:7] op_sel_hi:[1,0,1]
	v_pk_fma_f32 v[8:9], v[38:39], v[40:41], v[12:13] op_sel_hi:[1,0,1]
	;; [unrolled: 1-line block ×4, first 2 shown]
	s_andn2_b64 exec, exec, s[10:11]
	s_cbranch_execnz .LBB111_29
; %bb.30:
	s_or_b64 exec, exec, s[10:11]
.LBB111_31:
	s_or_b64 exec, exec, s[2:3]
	v_cmp_lt_u64_e32 vcc, 23, v[0:1]
	s_and_saveexec_b64 s[2:3], vcc
	s_cbranch_execz .LBB111_35
; %bb.32:
	v_lshl_add_u64 v[0:1], v[24:25], 2, s[8:9]
	v_lshl_add_u64 v[34:35], v[0:1], 0, 64
	s_mov_b64 s[8:9], 0
	s_mov_b64 s[10:11], 0x80
	;; [unrolled: 1-line block ×3, first 2 shown]
.LBB111_33:                             ; =>This Inner Loop Header: Depth=1
	global_load_dwordx4 v[4:7], v[28:29], off
	global_load_dwordx4 v[0:3], v[28:29], off offset:16
	global_load_dwordx4 v[8:11], v[28:29], off offset:256
	;; [unrolled: 1-line block ×4, first 2 shown]
	global_load_dword v21, v[34:35], off offset:-64
	global_load_dword v23, v[34:35], off offset:-32
	global_load_dword v70, v[34:35], off
	global_load_dword v71, v[34:35], off offset:32
	global_load_dwordx4 v[36:39], v[28:29], off offset:528
	global_load_dwordx4 v[40:43], v[28:29], off offset:768
	;; [unrolled: 1-line block ×3, first 2 shown]
	v_lshl_add_u64 v[24:25], v[24:25], 0, 32
	v_cmp_ge_i64_e32 vcc, v[24:25], v[26:27]
	v_lshl_add_u64 v[34:35], v[34:35], 0, s[10:11]
	v_lshl_add_u64 v[28:29], v[28:29], 0, s[18:19]
	s_or_b64 s[8:9], vcc, s[8:9]
	s_waitcnt vmcnt(11)
	v_and_b32_e32 v49, 0xffff0000, v4
	s_waitcnt vmcnt(10)
	v_and_b32_e32 v55, 0xffff0000, v2
	v_lshlrev_b32_e32 v54, 16, v2
	v_lshlrev_b32_e32 v48, 16, v4
	v_and_b32_e32 v51, 0xffff0000, v5
	s_waitcnt vmcnt(6)
	v_subrev_u32_e32 v2, s16, v21
	v_lshlrev_b32_e32 v50, 16, v5
	v_and_b32_e32 v5, 0xffff0000, v6
	v_lshlrev_b32_e32 v4, 16, v6
	v_and_b32_e32 v53, 0xffff0000, v7
	;; [unrolled: 2-line block ×7, first 2 shown]
	v_lshlrev_b32_e32 v0, 16, v3
	s_waitcnt vmcnt(5)
	v_subrev_u32_e32 v3, s16, v23
	s_waitcnt vmcnt(4)
	v_subrev_u32_e32 v8, s16, v70
	;; [unrolled: 2-line block ×3, first 2 shown]
	v_lshlrev_b32_e32 v2, 2, v2
	v_lshlrev_b32_e32 v70, 2, v3
	;; [unrolled: 1-line block ×4, first 2 shown]
	v_ashrrev_i32_e32 v3, 31, v2
	v_ashrrev_i32_e32 v71, 31, v70
	;; [unrolled: 1-line block ×4, first 2 shown]
	s_waitcnt lgkmcnt(0)
	v_lshl_add_u64 v[2:3], v[2:3], 1, s[4:5]
	v_lshl_add_u64 v[70:71], v[70:71], 1, s[4:5]
	;; [unrolled: 1-line block ×4, first 2 shown]
	global_load_dwordx2 v[76:77], v[2:3], off
	global_load_dwordx2 v[78:79], v[70:71], off
	;; [unrolled: 1-line block ×4, first 2 shown]
	s_waitcnt vmcnt(4)
	v_and_b32_e32 v87, 0xffff0000, v46
	v_lshlrev_b32_e32 v86, 16, v46
	v_and_b32_e32 v3, 0xffff0000, v9
	v_lshlrev_b32_e32 v2, 16, v9
	;; [unrolled: 2-line block ×22, first 2 shown]
	s_waitcnt vmcnt(3)
	v_lshlrev_b32_e32 v46, 16, v76
	v_and_b32_e32 v76, 0xffff0000, v76
	v_pk_fma_f32 v[32:33], v[48:49], v[46:47], v[32:33] op_sel_hi:[1,0,1]
	v_pk_fma_f32 v[30:31], v[50:51], v[46:47], v[30:31] op_sel_hi:[1,0,1]
	v_lshlrev_b32_e32 v90, 16, v77
	v_pk_fma_f32 v[4:5], v[4:5], v[76:77], v[32:33] op_sel_hi:[1,0,1]
	v_pk_fma_f32 v[30:31], v[52:53], v[76:77], v[30:31] op_sel_hi:[1,0,1]
	v_and_b32_e32 v92, 0xffff0000, v77
	v_pk_fma_f32 v[4:5], v[6:7], v[90:91], v[4:5] op_sel_hi:[1,0,1]
	v_pk_fma_f32 v[30:31], v[68:69], v[90:91], v[30:31] op_sel_hi:[1,0,1]
	s_waitcnt vmcnt(2)
	v_lshlrev_b32_e32 v94, 16, v78
	v_pk_fma_f32 v[4:5], v[54:55], v[92:93], v[4:5] op_sel_hi:[1,0,1]
	v_pk_fma_f32 v[0:1], v[0:1], v[92:93], v[30:31] op_sel_hi:[1,0,1]
	v_and_b32_e32 v48, 0xffff0000, v78
	v_pk_fma_f32 v[4:5], v[56:57], v[94:95], v[4:5] op_sel_hi:[1,0,1]
	v_pk_fma_f32 v[0:1], v[2:3], v[94:95], v[0:1] op_sel_hi:[1,0,1]
	v_lshlrev_b32_e32 v46, 16, v79
	v_pk_fma_f32 v[2:3], v[58:59], v[48:49], v[4:5] op_sel_hi:[1,0,1]
	v_pk_fma_f32 v[0:1], v[8:9], v[48:49], v[0:1] op_sel_hi:[1,0,1]
	v_and_b32_e32 v50, 0xffff0000, v79
	v_pk_fma_f32 v[2:3], v[60:61], v[46:47], v[2:3] op_sel_hi:[1,0,1]
	v_pk_fma_f32 v[0:1], v[10:11], v[46:47], v[0:1] op_sel_hi:[1,0,1]
	s_waitcnt vmcnt(1)
	v_lshlrev_b32_e32 v78, 16, v80
	v_pk_fma_f32 v[2:3], v[62:63], v[50:51], v[2:3] op_sel_hi:[1,0,1]
	v_pk_fma_f32 v[0:1], v[12:13], v[50:51], v[0:1] op_sel_hi:[1,0,1]
	;; [unrolled: 13-line block ×3, first 2 shown]
	v_and_b32_e32 v6, 0xffff0000, v82
	v_pk_fma_f32 v[2:3], v[38:39], v[80:81], v[2:3] op_sel_hi:[1,0,1]
	v_pk_fma_f32 v[0:1], v[74:75], v[80:81], v[0:1] op_sel_hi:[1,0,1]
	v_lshlrev_b32_e32 v68, 16, v83
	v_pk_fma_f32 v[2:3], v[40:41], v[6:7], v[2:3] op_sel_hi:[1,0,1]
	v_pk_fma_f32 v[0:1], v[84:85], v[6:7], v[0:1] op_sel_hi:[1,0,1]
	v_and_b32_e32 v82, 0xffff0000, v83
	v_pk_fma_f32 v[2:3], v[42:43], v[68:69], v[2:3] op_sel_hi:[1,0,1]
	v_pk_fma_f32 v[0:1], v[88:89], v[68:69], v[0:1] op_sel_hi:[1,0,1]
	;; [unrolled: 1-line block ×4, first 2 shown]
	s_andn2_b64 exec, exec, s[8:9]
	s_cbranch_execnz .LBB111_33
; %bb.34:
	s_or_b64 exec, exec, s[8:9]
.LBB111_35:
	s_or_b64 exec, exec, s[2:3]
.LBB111_36:
	s_or_b64 exec, exec, s[6:7]
.LBB111_37:
	v_mov_b32_dpp v0, v32 row_shr:1 row_mask:0xf bank_mask:0xf
	v_mov_b32_dpp v1, v33 row_shr:1 row_mask:0xf bank_mask:0xf
	;; [unrolled: 1-line block ×4, first 2 shown]
	v_pk_add_f32 v[0:1], v[32:33], v[0:1]
	v_pk_add_f32 v[4:5], v[30:31], v[4:5]
	v_cmp_eq_u32_e32 vcc, 7, v22
	v_mov_b32_dpp v2, v0 row_shr:2 row_mask:0xf bank_mask:0xf
	v_mov_b32_dpp v3, v1 row_shr:2 row_mask:0xf bank_mask:0xf
	;; [unrolled: 1-line block ×4, first 2 shown]
	v_pk_add_f32 v[0:1], v[0:1], v[2:3]
	v_pk_add_f32 v[4:5], v[4:5], v[6:7]
	s_nop 0
	v_mov_b32_dpp v2, v0 row_shr:4 row_mask:0xf bank_mask:0xe
	v_mov_b32_dpp v3, v1 row_shr:4 row_mask:0xf bank_mask:0xe
	;; [unrolled: 1-line block ×4, first 2 shown]
	s_and_b64 exec, exec, vcc
	s_cbranch_execz .LBB111_10
; %bb.38:
	s_load_dwordx2 s[0:1], s[0:1], 0x50
	v_cmp_eq_f32_e64 s[2:3], s14, 0
	v_pk_add_f32 v[2:3], v[0:1], v[2:3]
	v_pk_add_f32 v[0:1], v[4:5], v[6:7]
	s_and_b64 vcc, exec, s[2:3]
	v_lshlrev_b32_e32 v4, 2, v20
	s_cbranch_vccz .LBB111_40
; %bb.39:
	v_ashrrev_i32_e32 v5, 31, v4
	s_waitcnt lgkmcnt(0)
	v_lshl_add_u64 v[10:11], v[4:5], 2, s[0:1]
	v_pk_mul_f32 v[6:7], s[12:13], v[2:3] op_sel_hi:[0,1]
	v_pk_mul_f32 v[8:9], s[12:13], v[0:1] op_sel_hi:[0,1]
	global_store_dwordx4 v[10:11], v[6:9], off
	s_cbranch_execnz .LBB111_10
	s_branch .LBB111_41
.LBB111_40:
.LBB111_41:
	v_ashrrev_i32_e32 v5, 31, v4
	s_waitcnt lgkmcnt(0)
	v_lshl_add_u64 v[8:9], v[4:5], 2, s[0:1]
	global_load_dwordx4 v[4:7], v[8:9], off
	v_pk_mul_f32 v[2:3], s[12:13], v[2:3] op_sel_hi:[0,1]
	v_pk_mul_f32 v[10:11], s[12:13], v[0:1] op_sel_hi:[0,1]
	s_waitcnt vmcnt(0)
	v_pk_fma_f32 v[0:1], s[14:15], v[4:5], v[2:3] op_sel_hi:[0,1,1]
	v_pk_fma_f32 v[2:3], s[14:15], v[6:7], v[10:11] op_sel_hi:[0,1,1]
	global_store_dwordx4 v[8:9], v[0:3], off
	s_endpgm
	.section	.rodata,"a",@progbits
	.p2align	6, 0x0
	.amdhsa_kernel _ZN9rocsparseL18bsrxmvn_4x4_kernelILj128ELj8Efli18rocsparse_bfloat16S1_fEEvT3_20rocsparse_direction_NS_24const_host_device_scalarIT1_EES2_PKS2_PKT2_SB_S8_PKT4_PKT5_S6_PT6_21rocsparse_index_base_b
		.amdhsa_group_segment_fixed_size 0
		.amdhsa_private_segment_fixed_size 0
		.amdhsa_kernarg_size 96
		.amdhsa_user_sgpr_count 2
		.amdhsa_user_sgpr_dispatch_ptr 0
		.amdhsa_user_sgpr_queue_ptr 0
		.amdhsa_user_sgpr_kernarg_segment_ptr 1
		.amdhsa_user_sgpr_dispatch_id 0
		.amdhsa_user_sgpr_kernarg_preload_length 0
		.amdhsa_user_sgpr_kernarg_preload_offset 0
		.amdhsa_user_sgpr_private_segment_size 0
		.amdhsa_uses_dynamic_stack 0
		.amdhsa_enable_private_segment 0
		.amdhsa_system_sgpr_workgroup_id_x 1
		.amdhsa_system_sgpr_workgroup_id_y 0
		.amdhsa_system_sgpr_workgroup_id_z 0
		.amdhsa_system_sgpr_workgroup_info 0
		.amdhsa_system_vgpr_workitem_id 0
		.amdhsa_next_free_vgpr 102
		.amdhsa_next_free_sgpr 24
		.amdhsa_accum_offset 104
		.amdhsa_reserve_vcc 1
		.amdhsa_float_round_mode_32 0
		.amdhsa_float_round_mode_16_64 0
		.amdhsa_float_denorm_mode_32 3
		.amdhsa_float_denorm_mode_16_64 3
		.amdhsa_dx10_clamp 1
		.amdhsa_ieee_mode 1
		.amdhsa_fp16_overflow 0
		.amdhsa_tg_split 0
		.amdhsa_exception_fp_ieee_invalid_op 0
		.amdhsa_exception_fp_denorm_src 0
		.amdhsa_exception_fp_ieee_div_zero 0
		.amdhsa_exception_fp_ieee_overflow 0
		.amdhsa_exception_fp_ieee_underflow 0
		.amdhsa_exception_fp_ieee_inexact 0
		.amdhsa_exception_int_div_zero 0
	.end_amdhsa_kernel
	.section	.text._ZN9rocsparseL18bsrxmvn_4x4_kernelILj128ELj8Efli18rocsparse_bfloat16S1_fEEvT3_20rocsparse_direction_NS_24const_host_device_scalarIT1_EES2_PKS2_PKT2_SB_S8_PKT4_PKT5_S6_PT6_21rocsparse_index_base_b,"axG",@progbits,_ZN9rocsparseL18bsrxmvn_4x4_kernelILj128ELj8Efli18rocsparse_bfloat16S1_fEEvT3_20rocsparse_direction_NS_24const_host_device_scalarIT1_EES2_PKS2_PKT2_SB_S8_PKT4_PKT5_S6_PT6_21rocsparse_index_base_b,comdat
.Lfunc_end111:
	.size	_ZN9rocsparseL18bsrxmvn_4x4_kernelILj128ELj8Efli18rocsparse_bfloat16S1_fEEvT3_20rocsparse_direction_NS_24const_host_device_scalarIT1_EES2_PKS2_PKT2_SB_S8_PKT4_PKT5_S6_PT6_21rocsparse_index_base_b, .Lfunc_end111-_ZN9rocsparseL18bsrxmvn_4x4_kernelILj128ELj8Efli18rocsparse_bfloat16S1_fEEvT3_20rocsparse_direction_NS_24const_host_device_scalarIT1_EES2_PKS2_PKT2_SB_S8_PKT4_PKT5_S6_PT6_21rocsparse_index_base_b
                                        ; -- End function
	.set _ZN9rocsparseL18bsrxmvn_4x4_kernelILj128ELj8Efli18rocsparse_bfloat16S1_fEEvT3_20rocsparse_direction_NS_24const_host_device_scalarIT1_EES2_PKS2_PKT2_SB_S8_PKT4_PKT5_S6_PT6_21rocsparse_index_base_b.num_vgpr, 102
	.set _ZN9rocsparseL18bsrxmvn_4x4_kernelILj128ELj8Efli18rocsparse_bfloat16S1_fEEvT3_20rocsparse_direction_NS_24const_host_device_scalarIT1_EES2_PKS2_PKT2_SB_S8_PKT4_PKT5_S6_PT6_21rocsparse_index_base_b.num_agpr, 0
	.set _ZN9rocsparseL18bsrxmvn_4x4_kernelILj128ELj8Efli18rocsparse_bfloat16S1_fEEvT3_20rocsparse_direction_NS_24const_host_device_scalarIT1_EES2_PKS2_PKT2_SB_S8_PKT4_PKT5_S6_PT6_21rocsparse_index_base_b.numbered_sgpr, 24
	.set _ZN9rocsparseL18bsrxmvn_4x4_kernelILj128ELj8Efli18rocsparse_bfloat16S1_fEEvT3_20rocsparse_direction_NS_24const_host_device_scalarIT1_EES2_PKS2_PKT2_SB_S8_PKT4_PKT5_S6_PT6_21rocsparse_index_base_b.num_named_barrier, 0
	.set _ZN9rocsparseL18bsrxmvn_4x4_kernelILj128ELj8Efli18rocsparse_bfloat16S1_fEEvT3_20rocsparse_direction_NS_24const_host_device_scalarIT1_EES2_PKS2_PKT2_SB_S8_PKT4_PKT5_S6_PT6_21rocsparse_index_base_b.private_seg_size, 0
	.set _ZN9rocsparseL18bsrxmvn_4x4_kernelILj128ELj8Efli18rocsparse_bfloat16S1_fEEvT3_20rocsparse_direction_NS_24const_host_device_scalarIT1_EES2_PKS2_PKT2_SB_S8_PKT4_PKT5_S6_PT6_21rocsparse_index_base_b.uses_vcc, 1
	.set _ZN9rocsparseL18bsrxmvn_4x4_kernelILj128ELj8Efli18rocsparse_bfloat16S1_fEEvT3_20rocsparse_direction_NS_24const_host_device_scalarIT1_EES2_PKS2_PKT2_SB_S8_PKT4_PKT5_S6_PT6_21rocsparse_index_base_b.uses_flat_scratch, 0
	.set _ZN9rocsparseL18bsrxmvn_4x4_kernelILj128ELj8Efli18rocsparse_bfloat16S1_fEEvT3_20rocsparse_direction_NS_24const_host_device_scalarIT1_EES2_PKS2_PKT2_SB_S8_PKT4_PKT5_S6_PT6_21rocsparse_index_base_b.has_dyn_sized_stack, 0
	.set _ZN9rocsparseL18bsrxmvn_4x4_kernelILj128ELj8Efli18rocsparse_bfloat16S1_fEEvT3_20rocsparse_direction_NS_24const_host_device_scalarIT1_EES2_PKS2_PKT2_SB_S8_PKT4_PKT5_S6_PT6_21rocsparse_index_base_b.has_recursion, 0
	.set _ZN9rocsparseL18bsrxmvn_4x4_kernelILj128ELj8Efli18rocsparse_bfloat16S1_fEEvT3_20rocsparse_direction_NS_24const_host_device_scalarIT1_EES2_PKS2_PKT2_SB_S8_PKT4_PKT5_S6_PT6_21rocsparse_index_base_b.has_indirect_call, 0
	.section	.AMDGPU.csdata,"",@progbits
; Kernel info:
; codeLenInByte = 3992
; TotalNumSgprs: 30
; NumVgprs: 102
; NumAgprs: 0
; TotalNumVgprs: 102
; ScratchSize: 0
; MemoryBound: 0
; FloatMode: 240
; IeeeMode: 1
; LDSByteSize: 0 bytes/workgroup (compile time only)
; SGPRBlocks: 3
; VGPRBlocks: 12
; NumSGPRsForWavesPerEU: 30
; NumVGPRsForWavesPerEU: 102
; AccumOffset: 104
; Occupancy: 4
; WaveLimiterHint : 1
; COMPUTE_PGM_RSRC2:SCRATCH_EN: 0
; COMPUTE_PGM_RSRC2:USER_SGPR: 2
; COMPUTE_PGM_RSRC2:TRAP_HANDLER: 0
; COMPUTE_PGM_RSRC2:TGID_X_EN: 1
; COMPUTE_PGM_RSRC2:TGID_Y_EN: 0
; COMPUTE_PGM_RSRC2:TGID_Z_EN: 0
; COMPUTE_PGM_RSRC2:TIDIG_COMP_CNT: 0
; COMPUTE_PGM_RSRC3_GFX90A:ACCUM_OFFSET: 25
; COMPUTE_PGM_RSRC3_GFX90A:TG_SPLIT: 0
	.section	.text._ZN9rocsparseL18bsrxmvn_4x4_kernelILj128ELj16Efli18rocsparse_bfloat16S1_fEEvT3_20rocsparse_direction_NS_24const_host_device_scalarIT1_EES2_PKS2_PKT2_SB_S8_PKT4_PKT5_S6_PT6_21rocsparse_index_base_b,"axG",@progbits,_ZN9rocsparseL18bsrxmvn_4x4_kernelILj128ELj16Efli18rocsparse_bfloat16S1_fEEvT3_20rocsparse_direction_NS_24const_host_device_scalarIT1_EES2_PKS2_PKT2_SB_S8_PKT4_PKT5_S6_PT6_21rocsparse_index_base_b,comdat
	.globl	_ZN9rocsparseL18bsrxmvn_4x4_kernelILj128ELj16Efli18rocsparse_bfloat16S1_fEEvT3_20rocsparse_direction_NS_24const_host_device_scalarIT1_EES2_PKS2_PKT2_SB_S8_PKT4_PKT5_S6_PT6_21rocsparse_index_base_b ; -- Begin function _ZN9rocsparseL18bsrxmvn_4x4_kernelILj128ELj16Efli18rocsparse_bfloat16S1_fEEvT3_20rocsparse_direction_NS_24const_host_device_scalarIT1_EES2_PKS2_PKT2_SB_S8_PKT4_PKT5_S6_PT6_21rocsparse_index_base_b
	.p2align	8
	.type	_ZN9rocsparseL18bsrxmvn_4x4_kernelILj128ELj16Efli18rocsparse_bfloat16S1_fEEvT3_20rocsparse_direction_NS_24const_host_device_scalarIT1_EES2_PKS2_PKT2_SB_S8_PKT4_PKT5_S6_PT6_21rocsparse_index_base_b,@function
_ZN9rocsparseL18bsrxmvn_4x4_kernelILj128ELj16Efli18rocsparse_bfloat16S1_fEEvT3_20rocsparse_direction_NS_24const_host_device_scalarIT1_EES2_PKS2_PKT2_SB_S8_PKT4_PKT5_S6_PT6_21rocsparse_index_base_b: ; @_ZN9rocsparseL18bsrxmvn_4x4_kernelILj128ELj16Efli18rocsparse_bfloat16S1_fEEvT3_20rocsparse_direction_NS_24const_host_device_scalarIT1_EES2_PKS2_PKT2_SB_S8_PKT4_PKT5_S6_PT6_21rocsparse_index_base_b
; %bb.0:
	s_load_dwordx2 s[16:17], s[0:1], 0x58
	s_load_dwordx2 s[12:13], s[0:1], 0x8
	;; [unrolled: 1-line block ×3, first 2 shown]
	s_waitcnt lgkmcnt(0)
	s_bitcmp1_b32 s17, 0
	s_cselect_b64 s[6:7], -1, 0
	s_xor_b64 s[4:5], s[6:7], -1
	s_and_b64 vcc, exec, s[6:7]
	s_cbranch_vccnz .LBB112_2
; %bb.1:
	s_load_dword s12, s[12:13], 0x0
.LBB112_2:
	s_andn2_b64 vcc, exec, s[4:5]
	s_cbranch_vccnz .LBB112_4
; %bb.3:
	s_load_dword s14, s[14:15], 0x0
.LBB112_4:
	s_waitcnt lgkmcnt(0)
	v_cmp_neq_f32_e64 s[4:5], s12, 0
	v_cmp_neq_f32_e64 s[6:7], s14, 1.0
	s_or_b64 s[4:5], s[4:5], s[6:7]
	s_andn2_b64 vcc, exec, s[4:5]
	s_cbranch_vccnz .LBB112_10
; %bb.5:
	s_load_dwordx2 s[4:5], s[0:1], 0x18
	s_load_dwordx2 s[18:19], s[0:1], 0x0
	v_lshrrev_b32_e32 v1, 4, v0
	v_lshl_or_b32 v20, s2, 3, v1
	s_mov_b64 s[2:3], 0
	s_waitcnt lgkmcnt(0)
	s_cmp_lg_u64 s[4:5], 0
	s_cbranch_scc0 .LBB112_11
; %bb.6:
	s_load_dword s6, s[0:1], 0x10
                                        ; implicit-def: $vgpr1
	s_waitcnt lgkmcnt(0)
	v_cmp_gt_i32_e32 vcc, s6, v20
	s_and_saveexec_b64 s[6:7], vcc
	s_xor_b64 s[6:7], exec, s[6:7]
	s_cbranch_execz .LBB112_8
; %bb.7:
	v_ashrrev_i32_e32 v21, 31, v20
	v_lshl_add_u64 v[2:3], v[20:21], 2, s[4:5]
	global_load_dword v1, v[2:3], off
	s_mov_b64 s[2:3], exec
	s_waitcnt vmcnt(0)
	v_subrev_u32_e32 v1, s16, v1
.LBB112_8:
	s_or_b64 exec, exec, s[6:7]
	s_branch .LBB112_12
.LBB112_9:
	v_cmp_gt_i32_e32 vcc, s18, v20
	s_andn2_b64 s[2:3], s[2:3], exec
	s_and_b64 s[4:5], vcc, exec
	s_or_b64 s[2:3], s[2:3], s[4:5]
	s_and_saveexec_b64 s[4:5], s[2:3]
	s_cbranch_execnz .LBB112_13
.LBB112_10:
	s_endpgm
.LBB112_11:
                                        ; implicit-def: $vgpr1
	s_cbranch_execnz .LBB112_9
.LBB112_12:
	v_mov_b32_e32 v20, v1
	s_and_saveexec_b64 s[4:5], s[2:3]
	s_cbranch_execz .LBB112_10
.LBB112_13:
	s_load_dwordx8 s[4:11], s[0:1], 0x20
	v_ashrrev_i32_e32 v21, 31, v20
	v_lshlrev_b64 v[2:3], 3, v[20:21]
	v_and_b32_e32 v22, 15, v0
	v_mov_b32_e32 v23, 0
	s_waitcnt lgkmcnt(0)
	v_lshl_add_u64 v[4:5], s[4:5], 0, v[2:3]
	s_cmp_eq_u64 s[6:7], 0
	v_lshl_add_u64 v[2:3], s[6:7], 0, v[2:3]
	global_load_dwordx2 v[16:17], v[4:5], off
	v_lshl_add_u64 v[4:5], v[4:5], 0, 8
	s_cselect_b64 vcc, -1, 0
	v_cndmask_b32_e32 v3, v3, v5, vcc
	v_cndmask_b32_e32 v2, v2, v4, vcc
	global_load_dwordx2 v[2:3], v[2:3], off
	s_load_dwordx2 s[4:5], s[0:1], 0x40
	s_cmp_eq_u32 s19, 1
	s_waitcnt vmcnt(1)
	v_subrev_co_u32_e32 v0, vcc, s16, v16
	s_nop 1
	v_subbrev_co_u32_e32 v1, vcc, 0, v17, vcc
	v_lshl_add_u64 v[24:25], v[0:1], 0, v[22:23]
	s_waitcnt vmcnt(0)
	v_subrev_co_u32_e32 v26, vcc, s16, v2
	v_lshlrev_b64 v[0:1], 5, v[24:25]
	s_nop 0
	v_subbrev_co_u32_e32 v27, vcc, 0, v3, vcc
	v_lshl_add_u64 v[28:29], s[10:11], 0, v[0:1]
	v_cmp_lt_i64_e64 s[2:3], v[24:25], v[26:27]
	s_cbranch_scc1 .LBB112_25
; %bb.14:
	v_mov_b32_e32 v30, v23
	v_mov_b32_e32 v33, v23
	;; [unrolled: 1-line block ×3, first 2 shown]
	s_and_saveexec_b64 s[6:7], s[2:3]
	s_cbranch_execz .LBB112_24
; %bb.15:
	v_or_b32_e32 v0, 16, v22
	v_subrev_co_u32_e32 v0, vcc, s16, v0
	v_not_b32_e32 v3, v17
	s_nop 0
	v_subb_co_u32_e64 v1, s[10:11], 0, 0, vcc
	v_lshl_add_u64 v[0:1], v[0:1], 0, v[16:17]
	v_cmp_gt_i64_e32 vcc, v[0:1], v[26:27]
	v_not_b32_e32 v2, v16
	v_mov_b32_e32 v30, 0
	v_cndmask_b32_e32 v1, v27, v1, vcc
	v_cndmask_b32_e32 v0, v26, v0, vcc
	v_sub_co_u32_e32 v4, vcc, s16, v22
	v_mov_b32_e32 v31, v30
	s_nop 0
	v_subb_co_u32_e64 v5, s[10:11], 0, 0, vcc
	v_lshl_add_u64 v[2:3], v[4:5], 0, v[2:3]
	v_lshl_add_u64 v[0:1], v[2:3], 0, v[0:1]
	v_and_b32_e32 v2, 48, v0
	v_mov_b32_e32 v3, v30
	v_cmp_ne_u64_e32 vcc, 48, v[2:3]
	v_mov_b64_e32 v[32:33], v[30:31]
	v_mov_b64_e32 v[18:19], v[24:25]
	;; [unrolled: 1-line block ×3, first 2 shown]
	s_and_saveexec_b64 s[10:11], vcc
	s_cbranch_execz .LBB112_19
; %bb.16:
	v_lshrrev_b32_e32 v2, 4, v0
	v_add_u32_e32 v2, 1, v2
	v_and_b32_e32 v4, 3, v2
	v_sub_co_u32_e32 v4, vcc, 0, v4
	v_lshl_add_u64 v[2:3], v[24:25], 2, s[8:9]
	s_nop 0
	v_subb_co_u32_e64 v5, s[20:21], 0, 0, vcc
	s_mov_b64 s[18:19], 0
	s_mov_b64 s[20:21], 0x200
	v_mov_b64_e32 v[34:35], v[28:29]
	v_mov_b64_e32 v[18:19], v[24:25]
	v_mov_b32_e32 v31, v30
	v_mov_b32_e32 v32, v30
	;; [unrolled: 1-line block ×3, first 2 shown]
.LBB112_17:                             ; =>This Inner Loop Header: Depth=1
	global_load_dword v14, v[2:3], off
	global_load_dwordx4 v[6:9], v[34:35], off
	global_load_dwordx4 v[10:13], v[34:35], off offset:16
	v_lshl_add_u64 v[4:5], v[4:5], 0, 1
	v_cmp_eq_u64_e32 vcc, 0, v[4:5]
	v_lshl_add_u64 v[34:35], v[34:35], 0, s[20:21]
	v_lshl_add_u64 v[18:19], v[18:19], 0, 16
	;; [unrolled: 1-line block ×3, first 2 shown]
	s_or_b64 s[18:19], vcc, s[18:19]
	s_waitcnt vmcnt(2)
	v_subrev_u32_e32 v14, s16, v14
	v_lshlrev_b32_e32 v14, 2, v14
	v_ashrrev_i32_e32 v15, 31, v14
	s_waitcnt lgkmcnt(0)
	v_lshl_add_u64 v[14:15], v[14:15], 1, s[4:5]
	global_load_dwordx2 v[14:15], v[14:15], off
	s_waitcnt vmcnt(2)
	v_lshlrev_b32_e32 v39, 16, v8
	v_lshlrev_b32_e32 v38, 16, v6
	s_waitcnt vmcnt(1)
	v_lshlrev_b32_e32 v43, 16, v12
	v_lshlrev_b32_e32 v42, 16, v10
	v_and_b32_e32 v44, 0xffff0000, v10
	v_and_b32_e32 v41, 0xffff0000, v8
	;; [unrolled: 1-line block ×3, first 2 shown]
	v_lshlrev_b32_e32 v6, 16, v11
	v_and_b32_e32 v45, 0xffff0000, v12
	v_and_b32_e32 v12, 0xffff0000, v11
	v_lshlrev_b32_e32 v36, 16, v7
	v_lshlrev_b32_e32 v37, 16, v9
	v_and_b32_e32 v8, 0xffff0000, v7
	v_lshlrev_b32_e32 v7, 16, v13
	v_and_b32_e32 v9, 0xffff0000, v9
	v_and_b32_e32 v13, 0xffff0000, v13
	s_waitcnt vmcnt(0)
	v_lshlrev_b32_e32 v10, 16, v14
	v_and_b32_e32 v14, 0xffff0000, v14
	v_pk_fma_f32 v[32:33], v[38:39], v[10:11], v[32:33] op_sel_hi:[1,0,1]
	v_pk_fma_f32 v[10:11], v[42:43], v[10:11], v[30:31] op_sel_hi:[1,0,1]
	v_lshlrev_b32_e32 v46, 16, v15
	v_pk_fma_f32 v[30:31], v[40:41], v[14:15], v[32:33] op_sel_hi:[1,0,1]
	v_pk_fma_f32 v[10:11], v[44:45], v[14:15], v[10:11] op_sel_hi:[1,0,1]
	v_and_b32_e32 v48, 0xffff0000, v15
	v_pk_fma_f32 v[14:15], v[36:37], v[46:47], v[30:31] op_sel_hi:[1,0,1]
	v_pk_fma_f32 v[6:7], v[6:7], v[46:47], v[10:11] op_sel_hi:[1,0,1]
	;; [unrolled: 1-line block ×4, first 2 shown]
	s_andn2_b64 exec, exec, s[18:19]
	s_cbranch_execnz .LBB112_17
; %bb.18:
	s_or_b64 exec, exec, s[18:19]
.LBB112_19:
	s_or_b64 exec, exec, s[10:11]
	v_cmp_lt_u64_e32 vcc, 47, v[0:1]
	s_and_saveexec_b64 s[10:11], vcc
	s_cbranch_execz .LBB112_23
; %bb.20:
	v_lshl_add_u64 v[0:1], v[18:19], 2, s[8:9]
	s_mov_b64 s[18:19], 0x80
	v_lshl_add_u64 v[36:37], v[0:1], 0, s[18:19]
	s_mov_b64 s[18:19], 0
	s_mov_b64 s[20:21], 0x800
	;; [unrolled: 1-line block ×3, first 2 shown]
.LBB112_21:                             ; =>This Inner Loop Header: Depth=1
	global_load_dword v21, v[36:37], off offset:-128
	global_load_dwordx4 v[4:7], v[34:35], off
	global_load_dwordx4 v[0:3], v[34:35], off offset:16
	global_load_dword v23, v[36:37], off offset:-64
	global_load_dword v66, v[36:37], off
	global_load_dwordx4 v[12:15], v[34:35], off offset:512
	global_load_dwordx4 v[8:11], v[34:35], off offset:1024
	global_load_dword v74, v[36:37], off offset:64
	global_load_dwordx4 v[38:41], v[34:35], off offset:528
	global_load_dwordx4 v[42:45], v[34:35], off offset:1040
	;; [unrolled: 1-line block ×4, first 2 shown]
	v_lshl_add_u64 v[18:19], v[18:19], 0, 64
	v_cmp_ge_i64_e32 vcc, v[18:19], v[26:27]
	v_lshl_add_u64 v[34:35], v[34:35], 0, s[20:21]
	v_lshl_add_u64 v[36:37], v[36:37], 0, s[22:23]
	s_or_b64 s[18:19], vcc, s[18:19]
	s_waitcnt vmcnt(11)
	v_subrev_u32_e32 v21, s16, v21
	s_waitcnt vmcnt(10)
	v_lshlrev_b32_e32 v56, 16, v4
	v_and_b32_e32 v58, 0xffff0000, v4
	s_waitcnt vmcnt(9)
	v_lshlrev_b32_e32 v63, 16, v2
	v_lshlrev_b32_e32 v62, 16, v0
	v_and_b32_e32 v65, 0xffff0000, v2
	v_and_b32_e32 v64, 0xffff0000, v0
	s_waitcnt vmcnt(8)
	v_subrev_u32_e32 v0, s16, v23
	s_waitcnt vmcnt(7)
	v_subrev_u32_e32 v2, s16, v66
	s_waitcnt vmcnt(6)
	v_lshlrev_b32_e32 v4, 16, v12
	v_and_b32_e32 v66, 0xffff0000, v12
	s_waitcnt vmcnt(5)
	v_lshlrev_b32_e32 v12, 16, v8
	v_and_b32_e32 v70, 0xffff0000, v8
	s_waitcnt vmcnt(4)
	v_subrev_u32_e32 v8, s16, v74
	v_lshlrev_b32_e32 v74, 2, v21
	v_lshlrev_b32_e32 v76, 2, v0
	;; [unrolled: 1-line block ×4, first 2 shown]
	v_ashrrev_i32_e32 v75, 31, v74
	v_ashrrev_i32_e32 v77, 31, v76
	;; [unrolled: 1-line block ×4, first 2 shown]
	s_waitcnt lgkmcnt(0)
	v_lshl_add_u64 v[74:75], v[74:75], 1, s[4:5]
	v_lshl_add_u64 v[76:77], v[76:77], 1, s[4:5]
	;; [unrolled: 1-line block ×4, first 2 shown]
	global_load_dwordx2 v[82:83], v[74:75], off
	global_load_dwordx2 v[84:85], v[76:77], off
	global_load_dwordx2 v[86:87], v[78:79], off
	global_load_dwordx2 v[88:89], v[80:81], off
	v_lshlrev_b32_e32 v57, 16, v6
	s_waitcnt vmcnt(7)
	v_lshlrev_b32_e32 v0, 16, v38
	v_and_b32_e32 v8, 0xffff0000, v38
	s_waitcnt vmcnt(6)
	v_lshlrev_b32_e32 v38, 16, v42
	v_and_b32_e32 v76, 0xffff0000, v42
	s_waitcnt vmcnt(5)
	v_and_b32_e32 v42, 0xffff0000, v46
	v_lshlrev_b32_e32 v80, 16, v46
	s_waitcnt vmcnt(4)
	v_and_b32_e32 v46, 0xffff0000, v50
	v_lshlrev_b32_e32 v92, 16, v50
	v_and_b32_e32 v59, 0xffff0000, v6
	v_lshlrev_b32_e32 v54, 16, v5
	v_lshlrev_b32_e32 v55, 16, v7
	v_lshlrev_b32_e32 v60, 16, v1
	v_lshlrev_b32_e32 v61, 16, v3
	v_and_b32_e32 v7, 0xffff0000, v7
	v_and_b32_e32 v6, 0xffff0000, v5
	;; [unrolled: 1-line block ×4, first 2 shown]
	v_lshlrev_b32_e32 v5, 16, v14
	v_lshlrev_b32_e32 v1, 16, v40
	v_and_b32_e32 v67, 0xffff0000, v14
	v_lshlrev_b32_e32 v68, 16, v13
	v_and_b32_e32 v14, 0xffff0000, v13
	;; [unrolled: 2-line block ×4, first 2 shown]
	v_and_b32_e32 v9, 0xffff0000, v40
	v_lshlrev_b32_e32 v69, 16, v15
	v_lshlrev_b32_e32 v75, 16, v41
	;; [unrolled: 1-line block ×3, first 2 shown]
	v_and_b32_e32 v15, 0xffff0000, v15
	v_and_b32_e32 v41, 0xffff0000, v41
	v_and_b32_e32 v40, 0xffff0000, v39
	v_lshlrev_b32_e32 v39, 16, v44
	v_and_b32_e32 v77, 0xffff0000, v44
	v_lshlrev_b32_e32 v73, 16, v11
	v_lshlrev_b32_e32 v79, 16, v45
	;; [unrolled: 1-line block ×3, first 2 shown]
	v_and_b32_e32 v11, 0xffff0000, v11
	v_and_b32_e32 v45, 0xffff0000, v45
	;; [unrolled: 1-line block ×3, first 2 shown]
	v_lshlrev_b32_e32 v81, 16, v48
	v_lshlrev_b32_e32 v93, 16, v52
	v_and_b32_e32 v43, 0xffff0000, v48
	v_lshlrev_b32_e32 v90, 16, v47
	v_and_b32_e32 v48, 0xffff0000, v47
	v_and_b32_e32 v47, 0xffff0000, v52
	v_lshlrev_b32_e32 v91, 16, v49
	v_lshlrev_b32_e32 v95, 16, v53
	;; [unrolled: 1-line block ×3, first 2 shown]
	v_and_b32_e32 v49, 0xffff0000, v49
	v_and_b32_e32 v53, 0xffff0000, v53
	;; [unrolled: 1-line block ×3, first 2 shown]
	s_waitcnt vmcnt(3)
	v_lshlrev_b32_e32 v50, 16, v82
	v_and_b32_e32 v82, 0xffff0000, v82
	v_pk_fma_f32 v[32:33], v[56:57], v[50:51], v[32:33] op_sel_hi:[1,0,1]
	v_pk_fma_f32 v[30:31], v[62:63], v[50:51], v[30:31] op_sel_hi:[1,0,1]
	v_lshlrev_b32_e32 v96, 16, v83
	v_pk_fma_f32 v[32:33], v[58:59], v[82:83], v[32:33] op_sel_hi:[1,0,1]
	v_pk_fma_f32 v[30:31], v[64:65], v[82:83], v[30:31] op_sel_hi:[1,0,1]
	v_and_b32_e32 v98, 0xffff0000, v83
	v_pk_fma_f32 v[32:33], v[54:55], v[96:97], v[32:33] op_sel_hi:[1,0,1]
	v_pk_fma_f32 v[30:31], v[60:61], v[96:97], v[30:31] op_sel_hi:[1,0,1]
	s_waitcnt vmcnt(2)
	v_lshlrev_b32_e32 v100, 16, v84
	v_pk_fma_f32 v[6:7], v[6:7], v[98:99], v[32:33] op_sel_hi:[1,0,1]
	v_pk_fma_f32 v[2:3], v[2:3], v[98:99], v[30:31] op_sel_hi:[1,0,1]
	v_and_b32_e32 v56, 0xffff0000, v84
	v_pk_fma_f32 v[4:5], v[4:5], v[100:101], v[6:7] op_sel_hi:[1,0,1]
	v_pk_fma_f32 v[0:1], v[0:1], v[100:101], v[2:3] op_sel_hi:[1,0,1]
	v_lshlrev_b32_e32 v50, 16, v85
	v_pk_fma_f32 v[2:3], v[66:67], v[56:57], v[4:5] op_sel_hi:[1,0,1]
	v_pk_fma_f32 v[0:1], v[8:9], v[56:57], v[0:1] op_sel_hi:[1,0,1]
	v_and_b32_e32 v62, 0xffff0000, v85
	v_pk_fma_f32 v[2:3], v[68:69], v[50:51], v[2:3] op_sel_hi:[1,0,1]
	v_pk_fma_f32 v[0:1], v[74:75], v[50:51], v[0:1] op_sel_hi:[1,0,1]
	s_waitcnt vmcnt(1)
	v_lshlrev_b32_e32 v84, 16, v86
	v_pk_fma_f32 v[2:3], v[14:15], v[62:63], v[2:3] op_sel_hi:[1,0,1]
	v_pk_fma_f32 v[0:1], v[40:41], v[62:63], v[0:1] op_sel_hi:[1,0,1]
	;; [unrolled: 13-line block ×3, first 2 shown]
	v_and_b32_e32 v54, 0xffff0000, v88
	v_pk_fma_f32 v[2:3], v[80:81], v[86:87], v[2:3] op_sel_hi:[1,0,1]
	v_pk_fma_f32 v[0:1], v[92:93], v[86:87], v[0:1] op_sel_hi:[1,0,1]
	v_lshlrev_b32_e32 v60, 16, v89
	v_pk_fma_f32 v[2:3], v[42:43], v[54:55], v[2:3] op_sel_hi:[1,0,1]
	v_pk_fma_f32 v[0:1], v[46:47], v[54:55], v[0:1] op_sel_hi:[1,0,1]
	v_and_b32_e32 v88, 0xffff0000, v89
	v_pk_fma_f32 v[2:3], v[90:91], v[60:61], v[2:3] op_sel_hi:[1,0,1]
	v_pk_fma_f32 v[0:1], v[94:95], v[60:61], v[0:1] op_sel_hi:[1,0,1]
	;; [unrolled: 1-line block ×4, first 2 shown]
	s_andn2_b64 exec, exec, s[18:19]
	s_cbranch_execnz .LBB112_21
; %bb.22:
	s_or_b64 exec, exec, s[18:19]
.LBB112_23:
	s_or_b64 exec, exec, s[10:11]
	v_mov_b32_e32 v23, v31
.LBB112_24:
	s_or_b64 exec, exec, s[6:7]
	v_mov_b32_e32 v31, v23
	s_cbranch_execz .LBB112_26
	s_branch .LBB112_37
.LBB112_25:
                                        ; implicit-def: $vgpr31
                                        ; implicit-def: $vgpr33
.LBB112_26:
	v_mov_b32_e32 v31, 0
	v_mov_b32_e32 v30, 0
	;; [unrolled: 1-line block ×4, first 2 shown]
	s_and_saveexec_b64 s[6:7], s[2:3]
	s_cbranch_execz .LBB112_36
; %bb.27:
	v_or_b32_e32 v0, 16, v22
	v_subrev_co_u32_e32 v0, vcc, s16, v0
	v_not_b32_e32 v3, v17
	s_nop 0
	v_subb_co_u32_e64 v1, s[2:3], 0, 0, vcc
	v_lshl_add_u64 v[0:1], v[0:1], 0, v[16:17]
	v_cmp_gt_i64_e32 vcc, v[0:1], v[26:27]
	v_not_b32_e32 v2, v16
	v_mov_b32_e32 v30, 0
	v_cndmask_b32_e32 v1, v27, v1, vcc
	v_cndmask_b32_e32 v0, v26, v0, vcc
	v_sub_co_u32_e32 v4, vcc, s16, v22
	v_mov_b32_e32 v31, v30
	s_nop 0
	v_subb_co_u32_e64 v5, s[2:3], 0, 0, vcc
	v_lshl_add_u64 v[2:3], v[4:5], 0, v[2:3]
	v_lshl_add_u64 v[0:1], v[2:3], 0, v[0:1]
	v_and_b32_e32 v2, 48, v0
	v_mov_b32_e32 v3, v30
	v_cmp_ne_u64_e32 vcc, 48, v[2:3]
	v_mov_b64_e32 v[32:33], v[30:31]
	s_and_saveexec_b64 s[2:3], vcc
	s_cbranch_execz .LBB112_31
; %bb.28:
	v_lshrrev_b32_e32 v2, 4, v0
	v_add_u32_e32 v2, 1, v2
	v_and_b32_e32 v4, 3, v2
	v_sub_co_u32_e32 v4, vcc, 0, v4
	v_lshl_add_u64 v[2:3], v[24:25], 2, s[8:9]
	s_nop 0
	v_subb_co_u32_e64 v5, s[18:19], 0, 0, vcc
	s_mov_b64 s[10:11], 0
	s_mov_b64 s[18:19], 0x200
	v_mov_b32_e32 v31, v30
	v_mov_b32_e32 v32, v30
	;; [unrolled: 1-line block ×3, first 2 shown]
.LBB112_29:                             ; =>This Inner Loop Header: Depth=1
	global_load_dword v10, v[2:3], off
	global_load_dwordx4 v[6:9], v[28:29], off
	v_lshl_add_u64 v[4:5], v[4:5], 0, 1
	v_cmp_eq_u64_e32 vcc, 0, v[4:5]
	v_lshl_add_u64 v[24:25], v[24:25], 0, 16
	v_lshl_add_u64 v[2:3], v[2:3], 0, 64
	s_or_b64 s[10:11], vcc, s[10:11]
	s_waitcnt vmcnt(1)
	v_subrev_u32_e32 v10, s16, v10
	v_lshlrev_b32_e32 v10, 2, v10
	v_ashrrev_i32_e32 v11, 31, v10
	s_waitcnt lgkmcnt(0)
	v_lshl_add_u64 v[14:15], v[10:11], 1, s[4:5]
	global_load_dwordx2 v[16:17], v[14:15], off
	global_load_dwordx4 v[10:13], v[28:29], off offset:16
	s_waitcnt vmcnt(2)
	v_and_b32_e32 v15, 0xffff0000, v6
	v_lshlrev_b32_e32 v14, 16, v6
	v_and_b32_e32 v19, 0xffff0000, v7
	v_lshlrev_b32_e32 v18, 16, v7
	;; [unrolled: 2-line block ×4, first 2 shown]
	v_lshl_add_u64 v[28:29], v[28:29], 0, s[18:19]
	s_waitcnt vmcnt(1)
	v_lshlrev_b32_e32 v40, 16, v17
	s_waitcnt vmcnt(0)
	v_and_b32_e32 v9, 0xffff0000, v10
	v_lshlrev_b32_e32 v8, 16, v10
	v_and_b32_e32 v37, 0xffff0000, v11
	v_lshlrev_b32_e32 v36, 16, v11
	v_and_b32_e32 v11, 0xffff0000, v12
	v_lshlrev_b32_e32 v10, 16, v12
	v_lshlrev_b32_e32 v12, 16, v16
	v_and_b32_e32 v39, 0xffff0000, v13
	v_lshlrev_b32_e32 v38, 16, v13
	v_and_b32_e32 v16, 0xffff0000, v16
	v_pk_fma_f32 v[14:15], v[14:15], v[12:13], v[32:33] op_sel_hi:[1,0,1]
	v_pk_fma_f32 v[12:13], v[18:19], v[12:13], v[30:31] op_sel_hi:[1,0,1]
	;; [unrolled: 1-line block ×4, first 2 shown]
	v_and_b32_e32 v42, 0xffff0000, v17
	v_pk_fma_f32 v[6:7], v[8:9], v[40:41], v[6:7] op_sel_hi:[1,0,1]
	v_pk_fma_f32 v[8:9], v[36:37], v[40:41], v[12:13] op_sel_hi:[1,0,1]
	;; [unrolled: 1-line block ×4, first 2 shown]
	s_andn2_b64 exec, exec, s[10:11]
	s_cbranch_execnz .LBB112_29
; %bb.30:
	s_or_b64 exec, exec, s[10:11]
.LBB112_31:
	s_or_b64 exec, exec, s[2:3]
	v_cmp_lt_u64_e32 vcc, 47, v[0:1]
	s_and_saveexec_b64 s[2:3], vcc
	s_cbranch_execz .LBB112_35
; %bb.32:
	v_lshl_add_u64 v[0:1], v[24:25], 2, s[8:9]
	s_mov_b64 s[8:9], 0x80
	v_lshl_add_u64 v[34:35], v[0:1], 0, s[8:9]
	s_mov_b64 s[8:9], 0
	s_mov_b64 s[10:11], 0x800
	;; [unrolled: 1-line block ×3, first 2 shown]
.LBB112_33:                             ; =>This Inner Loop Header: Depth=1
	global_load_dwordx4 v[0:3], v[28:29], off
	global_load_dwordx4 v[4:7], v[28:29], off offset:16
	global_load_dwordx4 v[8:11], v[28:29], off offset:512
	;; [unrolled: 1-line block ×4, first 2 shown]
	global_load_dword v21, v[34:35], off offset:-128
	global_load_dword v23, v[34:35], off offset:-64
	global_load_dword v70, v[34:35], off
	global_load_dword v71, v[34:35], off offset:64
	global_load_dwordx4 v[36:39], v[28:29], off offset:1040
	global_load_dwordx4 v[40:43], v[28:29], off offset:1536
	;; [unrolled: 1-line block ×3, first 2 shown]
	v_lshl_add_u64 v[24:25], v[24:25], 0, 64
	v_cmp_ge_i64_e32 vcc, v[24:25], v[26:27]
	v_lshl_add_u64 v[28:29], v[28:29], 0, s[10:11]
	v_lshl_add_u64 v[34:35], v[34:35], 0, s[18:19]
	s_or_b64 s[8:9], vcc, s[8:9]
	s_waitcnt vmcnt(11)
	v_and_b32_e32 v49, 0xffff0000, v0
	v_lshlrev_b32_e32 v48, 16, v0
	v_and_b32_e32 v51, 0xffff0000, v1
	v_lshlrev_b32_e32 v50, 16, v1
	;; [unrolled: 2-line block ×4, first 2 shown]
	s_waitcnt vmcnt(10)
	v_and_b32_e32 v3, 0xffff0000, v4
	v_lshlrev_b32_e32 v2, 16, v4
	v_and_b32_e32 v55, 0xffff0000, v5
	v_lshlrev_b32_e32 v54, 16, v5
	;; [unrolled: 2-line block ×3, first 2 shown]
	s_waitcnt vmcnt(6)
	v_subrev_u32_e32 v6, s16, v21
	v_and_b32_e32 v57, 0xffff0000, v8
	v_lshlrev_b32_e32 v56, 16, v8
	v_and_b32_e32 v59, 0xffff0000, v10
	v_lshlrev_b32_e32 v58, 16, v10
	;; [unrolled: 2-line block ×3, first 2 shown]
	s_waitcnt vmcnt(5)
	v_subrev_u32_e32 v7, s16, v23
	s_waitcnt vmcnt(4)
	v_subrev_u32_e32 v8, s16, v70
	;; [unrolled: 2-line block ×3, first 2 shown]
	v_lshlrev_b32_e32 v6, 2, v6
	v_lshlrev_b32_e32 v70, 2, v7
	;; [unrolled: 1-line block ×4, first 2 shown]
	v_ashrrev_i32_e32 v7, 31, v6
	v_ashrrev_i32_e32 v71, 31, v70
	;; [unrolled: 1-line block ×4, first 2 shown]
	s_waitcnt lgkmcnt(0)
	v_lshl_add_u64 v[6:7], v[6:7], 1, s[4:5]
	v_lshl_add_u64 v[70:71], v[70:71], 1, s[4:5]
	;; [unrolled: 1-line block ×4, first 2 shown]
	global_load_dwordx2 v[76:77], v[6:7], off
	global_load_dwordx2 v[78:79], v[70:71], off
	;; [unrolled: 1-line block ×4, first 2 shown]
	s_waitcnt vmcnt(4)
	v_and_b32_e32 v87, 0xffff0000, v46
	v_lshlrev_b32_e32 v86, 16, v46
	v_and_b32_e32 v7, 0xffff0000, v9
	v_lshlrev_b32_e32 v6, 16, v9
	;; [unrolled: 2-line block ×22, first 2 shown]
	s_waitcnt vmcnt(3)
	v_lshlrev_b32_e32 v46, 16, v76
	v_and_b32_e32 v76, 0xffff0000, v76
	v_pk_fma_f32 v[32:33], v[48:49], v[46:47], v[32:33] op_sel_hi:[1,0,1]
	v_pk_fma_f32 v[30:31], v[50:51], v[46:47], v[30:31] op_sel_hi:[1,0,1]
	v_lshlrev_b32_e32 v90, 16, v77
	v_pk_fma_f32 v[0:1], v[0:1], v[76:77], v[32:33] op_sel_hi:[1,0,1]
	v_pk_fma_f32 v[30:31], v[52:53], v[76:77], v[30:31] op_sel_hi:[1,0,1]
	v_and_b32_e32 v92, 0xffff0000, v77
	v_pk_fma_f32 v[0:1], v[2:3], v[90:91], v[0:1] op_sel_hi:[1,0,1]
	v_pk_fma_f32 v[30:31], v[54:55], v[90:91], v[30:31] op_sel_hi:[1,0,1]
	s_waitcnt vmcnt(2)
	v_lshlrev_b32_e32 v94, 16, v78
	v_pk_fma_f32 v[0:1], v[4:5], v[92:93], v[0:1] op_sel_hi:[1,0,1]
	v_pk_fma_f32 v[4:5], v[68:69], v[92:93], v[30:31] op_sel_hi:[1,0,1]
	v_and_b32_e32 v48, 0xffff0000, v78
	v_pk_fma_f32 v[0:1], v[56:57], v[94:95], v[0:1] op_sel_hi:[1,0,1]
	v_pk_fma_f32 v[4:5], v[6:7], v[94:95], v[4:5] op_sel_hi:[1,0,1]
	v_lshlrev_b32_e32 v46, 16, v79
	v_pk_fma_f32 v[0:1], v[58:59], v[48:49], v[0:1] op_sel_hi:[1,0,1]
	v_pk_fma_f32 v[4:5], v[8:9], v[48:49], v[4:5] op_sel_hi:[1,0,1]
	v_and_b32_e32 v50, 0xffff0000, v79
	v_pk_fma_f32 v[0:1], v[60:61], v[46:47], v[0:1] op_sel_hi:[1,0,1]
	v_pk_fma_f32 v[4:5], v[10:11], v[46:47], v[4:5] op_sel_hi:[1,0,1]
	s_waitcnt vmcnt(1)
	v_lshlrev_b32_e32 v78, 16, v80
	v_pk_fma_f32 v[0:1], v[62:63], v[50:51], v[0:1] op_sel_hi:[1,0,1]
	v_pk_fma_f32 v[4:5], v[12:13], v[50:51], v[4:5] op_sel_hi:[1,0,1]
	;; [unrolled: 13-line block ×3, first 2 shown]
	v_and_b32_e32 v2, 0xffff0000, v82
	v_pk_fma_f32 v[0:1], v[38:39], v[80:81], v[0:1] op_sel_hi:[1,0,1]
	v_pk_fma_f32 v[4:5], v[74:75], v[80:81], v[4:5] op_sel_hi:[1,0,1]
	v_lshlrev_b32_e32 v54, 16, v83
	v_pk_fma_f32 v[0:1], v[40:41], v[2:3], v[0:1] op_sel_hi:[1,0,1]
	v_pk_fma_f32 v[2:3], v[84:85], v[2:3], v[4:5] op_sel_hi:[1,0,1]
	v_and_b32_e32 v82, 0xffff0000, v83
	v_pk_fma_f32 v[0:1], v[42:43], v[54:55], v[0:1] op_sel_hi:[1,0,1]
	v_pk_fma_f32 v[2:3], v[88:89], v[54:55], v[2:3] op_sel_hi:[1,0,1]
	v_pk_fma_f32 v[32:33], v[86:87], v[82:83], v[0:1] op_sel_hi:[1,0,1]
	v_pk_fma_f32 v[30:31], v[44:45], v[82:83], v[2:3] op_sel_hi:[1,0,1]
	s_andn2_b64 exec, exec, s[8:9]
	s_cbranch_execnz .LBB112_33
; %bb.34:
	s_or_b64 exec, exec, s[8:9]
.LBB112_35:
	s_or_b64 exec, exec, s[2:3]
.LBB112_36:
	s_or_b64 exec, exec, s[6:7]
.LBB112_37:
	v_mov_b32_dpp v0, v32 row_shr:1 row_mask:0xf bank_mask:0xf
	v_mov_b32_dpp v1, v33 row_shr:1 row_mask:0xf bank_mask:0xf
	;; [unrolled: 1-line block ×4, first 2 shown]
	v_pk_add_f32 v[0:1], v[32:33], v[0:1]
	v_pk_add_f32 v[4:5], v[30:31], v[4:5]
	v_cmp_eq_u32_e32 vcc, 15, v22
	v_mov_b32_dpp v2, v0 row_shr:2 row_mask:0xf bank_mask:0xf
	v_mov_b32_dpp v3, v1 row_shr:2 row_mask:0xf bank_mask:0xf
	;; [unrolled: 1-line block ×4, first 2 shown]
	v_pk_add_f32 v[0:1], v[0:1], v[2:3]
	v_pk_add_f32 v[4:5], v[4:5], v[6:7]
	s_nop 0
	v_mov_b32_dpp v2, v0 row_shr:4 row_mask:0xf bank_mask:0xe
	v_mov_b32_dpp v3, v1 row_shr:4 row_mask:0xf bank_mask:0xe
	;; [unrolled: 1-line block ×4, first 2 shown]
	v_pk_add_f32 v[0:1], v[0:1], v[2:3]
	v_pk_add_f32 v[4:5], v[4:5], v[6:7]
	s_nop 0
	v_mov_b32_dpp v2, v0 row_shr:8 row_mask:0xf bank_mask:0xc
	v_mov_b32_dpp v3, v1 row_shr:8 row_mask:0xf bank_mask:0xc
	;; [unrolled: 1-line block ×4, first 2 shown]
	s_and_b64 exec, exec, vcc
	s_cbranch_execz .LBB112_10
; %bb.38:
	s_load_dwordx2 s[0:1], s[0:1], 0x50
	v_cmp_eq_f32_e64 s[2:3], s14, 0
	v_pk_add_f32 v[2:3], v[0:1], v[2:3]
	v_pk_add_f32 v[0:1], v[4:5], v[6:7]
	s_and_b64 vcc, exec, s[2:3]
	v_lshlrev_b32_e32 v4, 2, v20
	s_cbranch_vccz .LBB112_40
; %bb.39:
	v_ashrrev_i32_e32 v5, 31, v4
	s_waitcnt lgkmcnt(0)
	v_lshl_add_u64 v[10:11], v[4:5], 2, s[0:1]
	v_pk_mul_f32 v[6:7], s[12:13], v[2:3] op_sel_hi:[0,1]
	v_pk_mul_f32 v[8:9], s[12:13], v[0:1] op_sel_hi:[0,1]
	global_store_dwordx4 v[10:11], v[6:9], off
	s_cbranch_execnz .LBB112_10
	s_branch .LBB112_41
.LBB112_40:
.LBB112_41:
	v_ashrrev_i32_e32 v5, 31, v4
	s_waitcnt lgkmcnt(0)
	v_lshl_add_u64 v[8:9], v[4:5], 2, s[0:1]
	global_load_dwordx4 v[4:7], v[8:9], off
	v_pk_mul_f32 v[2:3], s[12:13], v[2:3] op_sel_hi:[0,1]
	v_pk_mul_f32 v[10:11], s[12:13], v[0:1] op_sel_hi:[0,1]
	s_waitcnt vmcnt(0)
	v_pk_fma_f32 v[0:1], s[14:15], v[4:5], v[2:3] op_sel_hi:[0,1,1]
	v_pk_fma_f32 v[2:3], s[14:15], v[6:7], v[10:11] op_sel_hi:[0,1,1]
	global_store_dwordx4 v[8:9], v[0:3], off
	s_endpgm
	.section	.rodata,"a",@progbits
	.p2align	6, 0x0
	.amdhsa_kernel _ZN9rocsparseL18bsrxmvn_4x4_kernelILj128ELj16Efli18rocsparse_bfloat16S1_fEEvT3_20rocsparse_direction_NS_24const_host_device_scalarIT1_EES2_PKS2_PKT2_SB_S8_PKT4_PKT5_S6_PT6_21rocsparse_index_base_b
		.amdhsa_group_segment_fixed_size 0
		.amdhsa_private_segment_fixed_size 0
		.amdhsa_kernarg_size 96
		.amdhsa_user_sgpr_count 2
		.amdhsa_user_sgpr_dispatch_ptr 0
		.amdhsa_user_sgpr_queue_ptr 0
		.amdhsa_user_sgpr_kernarg_segment_ptr 1
		.amdhsa_user_sgpr_dispatch_id 0
		.amdhsa_user_sgpr_kernarg_preload_length 0
		.amdhsa_user_sgpr_kernarg_preload_offset 0
		.amdhsa_user_sgpr_private_segment_size 0
		.amdhsa_uses_dynamic_stack 0
		.amdhsa_enable_private_segment 0
		.amdhsa_system_sgpr_workgroup_id_x 1
		.amdhsa_system_sgpr_workgroup_id_y 0
		.amdhsa_system_sgpr_workgroup_id_z 0
		.amdhsa_system_sgpr_workgroup_info 0
		.amdhsa_system_vgpr_workitem_id 0
		.amdhsa_next_free_vgpr 102
		.amdhsa_next_free_sgpr 24
		.amdhsa_accum_offset 104
		.amdhsa_reserve_vcc 1
		.amdhsa_float_round_mode_32 0
		.amdhsa_float_round_mode_16_64 0
		.amdhsa_float_denorm_mode_32 3
		.amdhsa_float_denorm_mode_16_64 3
		.amdhsa_dx10_clamp 1
		.amdhsa_ieee_mode 1
		.amdhsa_fp16_overflow 0
		.amdhsa_tg_split 0
		.amdhsa_exception_fp_ieee_invalid_op 0
		.amdhsa_exception_fp_denorm_src 0
		.amdhsa_exception_fp_ieee_div_zero 0
		.amdhsa_exception_fp_ieee_overflow 0
		.amdhsa_exception_fp_ieee_underflow 0
		.amdhsa_exception_fp_ieee_inexact 0
		.amdhsa_exception_int_div_zero 0
	.end_amdhsa_kernel
	.section	.text._ZN9rocsparseL18bsrxmvn_4x4_kernelILj128ELj16Efli18rocsparse_bfloat16S1_fEEvT3_20rocsparse_direction_NS_24const_host_device_scalarIT1_EES2_PKS2_PKT2_SB_S8_PKT4_PKT5_S6_PT6_21rocsparse_index_base_b,"axG",@progbits,_ZN9rocsparseL18bsrxmvn_4x4_kernelILj128ELj16Efli18rocsparse_bfloat16S1_fEEvT3_20rocsparse_direction_NS_24const_host_device_scalarIT1_EES2_PKS2_PKT2_SB_S8_PKT4_PKT5_S6_PT6_21rocsparse_index_base_b,comdat
.Lfunc_end112:
	.size	_ZN9rocsparseL18bsrxmvn_4x4_kernelILj128ELj16Efli18rocsparse_bfloat16S1_fEEvT3_20rocsparse_direction_NS_24const_host_device_scalarIT1_EES2_PKS2_PKT2_SB_S8_PKT4_PKT5_S6_PT6_21rocsparse_index_base_b, .Lfunc_end112-_ZN9rocsparseL18bsrxmvn_4x4_kernelILj128ELj16Efli18rocsparse_bfloat16S1_fEEvT3_20rocsparse_direction_NS_24const_host_device_scalarIT1_EES2_PKS2_PKT2_SB_S8_PKT4_PKT5_S6_PT6_21rocsparse_index_base_b
                                        ; -- End function
	.set _ZN9rocsparseL18bsrxmvn_4x4_kernelILj128ELj16Efli18rocsparse_bfloat16S1_fEEvT3_20rocsparse_direction_NS_24const_host_device_scalarIT1_EES2_PKS2_PKT2_SB_S8_PKT4_PKT5_S6_PT6_21rocsparse_index_base_b.num_vgpr, 102
	.set _ZN9rocsparseL18bsrxmvn_4x4_kernelILj128ELj16Efli18rocsparse_bfloat16S1_fEEvT3_20rocsparse_direction_NS_24const_host_device_scalarIT1_EES2_PKS2_PKT2_SB_S8_PKT4_PKT5_S6_PT6_21rocsparse_index_base_b.num_agpr, 0
	.set _ZN9rocsparseL18bsrxmvn_4x4_kernelILj128ELj16Efli18rocsparse_bfloat16S1_fEEvT3_20rocsparse_direction_NS_24const_host_device_scalarIT1_EES2_PKS2_PKT2_SB_S8_PKT4_PKT5_S6_PT6_21rocsparse_index_base_b.numbered_sgpr, 24
	.set _ZN9rocsparseL18bsrxmvn_4x4_kernelILj128ELj16Efli18rocsparse_bfloat16S1_fEEvT3_20rocsparse_direction_NS_24const_host_device_scalarIT1_EES2_PKS2_PKT2_SB_S8_PKT4_PKT5_S6_PT6_21rocsparse_index_base_b.num_named_barrier, 0
	.set _ZN9rocsparseL18bsrxmvn_4x4_kernelILj128ELj16Efli18rocsparse_bfloat16S1_fEEvT3_20rocsparse_direction_NS_24const_host_device_scalarIT1_EES2_PKS2_PKT2_SB_S8_PKT4_PKT5_S6_PT6_21rocsparse_index_base_b.private_seg_size, 0
	.set _ZN9rocsparseL18bsrxmvn_4x4_kernelILj128ELj16Efli18rocsparse_bfloat16S1_fEEvT3_20rocsparse_direction_NS_24const_host_device_scalarIT1_EES2_PKS2_PKT2_SB_S8_PKT4_PKT5_S6_PT6_21rocsparse_index_base_b.uses_vcc, 1
	.set _ZN9rocsparseL18bsrxmvn_4x4_kernelILj128ELj16Efli18rocsparse_bfloat16S1_fEEvT3_20rocsparse_direction_NS_24const_host_device_scalarIT1_EES2_PKS2_PKT2_SB_S8_PKT4_PKT5_S6_PT6_21rocsparse_index_base_b.uses_flat_scratch, 0
	.set _ZN9rocsparseL18bsrxmvn_4x4_kernelILj128ELj16Efli18rocsparse_bfloat16S1_fEEvT3_20rocsparse_direction_NS_24const_host_device_scalarIT1_EES2_PKS2_PKT2_SB_S8_PKT4_PKT5_S6_PT6_21rocsparse_index_base_b.has_dyn_sized_stack, 0
	.set _ZN9rocsparseL18bsrxmvn_4x4_kernelILj128ELj16Efli18rocsparse_bfloat16S1_fEEvT3_20rocsparse_direction_NS_24const_host_device_scalarIT1_EES2_PKS2_PKT2_SB_S8_PKT4_PKT5_S6_PT6_21rocsparse_index_base_b.has_recursion, 0
	.set _ZN9rocsparseL18bsrxmvn_4x4_kernelILj128ELj16Efli18rocsparse_bfloat16S1_fEEvT3_20rocsparse_direction_NS_24const_host_device_scalarIT1_EES2_PKS2_PKT2_SB_S8_PKT4_PKT5_S6_PT6_21rocsparse_index_base_b.has_indirect_call, 0
	.section	.AMDGPU.csdata,"",@progbits
; Kernel info:
; codeLenInByte = 4052
; TotalNumSgprs: 30
; NumVgprs: 102
; NumAgprs: 0
; TotalNumVgprs: 102
; ScratchSize: 0
; MemoryBound: 0
; FloatMode: 240
; IeeeMode: 1
; LDSByteSize: 0 bytes/workgroup (compile time only)
; SGPRBlocks: 3
; VGPRBlocks: 12
; NumSGPRsForWavesPerEU: 30
; NumVGPRsForWavesPerEU: 102
; AccumOffset: 104
; Occupancy: 4
; WaveLimiterHint : 1
; COMPUTE_PGM_RSRC2:SCRATCH_EN: 0
; COMPUTE_PGM_RSRC2:USER_SGPR: 2
; COMPUTE_PGM_RSRC2:TRAP_HANDLER: 0
; COMPUTE_PGM_RSRC2:TGID_X_EN: 1
; COMPUTE_PGM_RSRC2:TGID_Y_EN: 0
; COMPUTE_PGM_RSRC2:TGID_Z_EN: 0
; COMPUTE_PGM_RSRC2:TIDIG_COMP_CNT: 0
; COMPUTE_PGM_RSRC3_GFX90A:ACCUM_OFFSET: 25
; COMPUTE_PGM_RSRC3_GFX90A:TG_SPLIT: 0
	.section	.text._ZN9rocsparseL18bsrxmvn_4x4_kernelILj128ELj32Efli18rocsparse_bfloat16S1_fEEvT3_20rocsparse_direction_NS_24const_host_device_scalarIT1_EES2_PKS2_PKT2_SB_S8_PKT4_PKT5_S6_PT6_21rocsparse_index_base_b,"axG",@progbits,_ZN9rocsparseL18bsrxmvn_4x4_kernelILj128ELj32Efli18rocsparse_bfloat16S1_fEEvT3_20rocsparse_direction_NS_24const_host_device_scalarIT1_EES2_PKS2_PKT2_SB_S8_PKT4_PKT5_S6_PT6_21rocsparse_index_base_b,comdat
	.globl	_ZN9rocsparseL18bsrxmvn_4x4_kernelILj128ELj32Efli18rocsparse_bfloat16S1_fEEvT3_20rocsparse_direction_NS_24const_host_device_scalarIT1_EES2_PKS2_PKT2_SB_S8_PKT4_PKT5_S6_PT6_21rocsparse_index_base_b ; -- Begin function _ZN9rocsparseL18bsrxmvn_4x4_kernelILj128ELj32Efli18rocsparse_bfloat16S1_fEEvT3_20rocsparse_direction_NS_24const_host_device_scalarIT1_EES2_PKS2_PKT2_SB_S8_PKT4_PKT5_S6_PT6_21rocsparse_index_base_b
	.p2align	8
	.type	_ZN9rocsparseL18bsrxmvn_4x4_kernelILj128ELj32Efli18rocsparse_bfloat16S1_fEEvT3_20rocsparse_direction_NS_24const_host_device_scalarIT1_EES2_PKS2_PKT2_SB_S8_PKT4_PKT5_S6_PT6_21rocsparse_index_base_b,@function
_ZN9rocsparseL18bsrxmvn_4x4_kernelILj128ELj32Efli18rocsparse_bfloat16S1_fEEvT3_20rocsparse_direction_NS_24const_host_device_scalarIT1_EES2_PKS2_PKT2_SB_S8_PKT4_PKT5_S6_PT6_21rocsparse_index_base_b: ; @_ZN9rocsparseL18bsrxmvn_4x4_kernelILj128ELj32Efli18rocsparse_bfloat16S1_fEEvT3_20rocsparse_direction_NS_24const_host_device_scalarIT1_EES2_PKS2_PKT2_SB_S8_PKT4_PKT5_S6_PT6_21rocsparse_index_base_b
; %bb.0:
	s_load_dwordx2 s[16:17], s[0:1], 0x58
	s_load_dwordx2 s[12:13], s[0:1], 0x8
	;; [unrolled: 1-line block ×3, first 2 shown]
	s_waitcnt lgkmcnt(0)
	s_bitcmp1_b32 s17, 0
	s_cselect_b64 s[6:7], -1, 0
	s_xor_b64 s[4:5], s[6:7], -1
	s_and_b64 vcc, exec, s[6:7]
	s_cbranch_vccnz .LBB113_2
; %bb.1:
	s_load_dword s12, s[12:13], 0x0
.LBB113_2:
	s_andn2_b64 vcc, exec, s[4:5]
	s_cbranch_vccnz .LBB113_4
; %bb.3:
	s_load_dword s14, s[14:15], 0x0
.LBB113_4:
	s_waitcnt lgkmcnt(0)
	v_cmp_neq_f32_e64 s[4:5], s12, 0
	v_cmp_neq_f32_e64 s[6:7], s14, 1.0
	s_or_b64 s[4:5], s[4:5], s[6:7]
	s_andn2_b64 vcc, exec, s[4:5]
	s_cbranch_vccnz .LBB113_10
; %bb.5:
	s_load_dwordx2 s[4:5], s[0:1], 0x18
	s_load_dwordx2 s[18:19], s[0:1], 0x0
	v_lshrrev_b32_e32 v1, 5, v0
	v_lshl_or_b32 v24, s2, 2, v1
	s_mov_b64 s[2:3], 0
	s_waitcnt lgkmcnt(0)
	s_cmp_lg_u64 s[4:5], 0
	s_cbranch_scc0 .LBB113_11
; %bb.6:
	s_load_dword s6, s[0:1], 0x10
                                        ; implicit-def: $vgpr1
	s_waitcnt lgkmcnt(0)
	v_cmp_gt_i32_e32 vcc, s6, v24
	s_and_saveexec_b64 s[6:7], vcc
	s_xor_b64 s[6:7], exec, s[6:7]
	s_cbranch_execz .LBB113_8
; %bb.7:
	v_ashrrev_i32_e32 v25, 31, v24
	v_lshl_add_u64 v[2:3], v[24:25], 2, s[4:5]
	global_load_dword v1, v[2:3], off
	s_mov_b64 s[2:3], exec
	s_waitcnt vmcnt(0)
	v_subrev_u32_e32 v1, s16, v1
.LBB113_8:
	s_or_b64 exec, exec, s[6:7]
	s_branch .LBB113_12
.LBB113_9:
	v_cmp_gt_i32_e32 vcc, s18, v24
	s_andn2_b64 s[2:3], s[2:3], exec
	s_and_b64 s[4:5], vcc, exec
	s_or_b64 s[2:3], s[2:3], s[4:5]
	s_and_saveexec_b64 s[4:5], s[2:3]
	s_cbranch_execnz .LBB113_13
.LBB113_10:
	s_endpgm
.LBB113_11:
                                        ; implicit-def: $vgpr1
	s_cbranch_execnz .LBB113_9
.LBB113_12:
	v_mov_b32_e32 v24, v1
	s_and_saveexec_b64 s[4:5], s[2:3]
	s_cbranch_execz .LBB113_10
.LBB113_13:
	s_load_dwordx8 s[4:11], s[0:1], 0x20
	v_ashrrev_i32_e32 v25, 31, v24
	v_lshlrev_b64 v[2:3], 3, v[24:25]
	v_and_b32_e32 v26, 31, v0
	v_mov_b32_e32 v27, 0
	s_waitcnt lgkmcnt(0)
	v_lshl_add_u64 v[4:5], s[4:5], 0, v[2:3]
	s_cmp_eq_u64 s[6:7], 0
	v_lshl_add_u64 v[2:3], s[6:7], 0, v[2:3]
	global_load_dwordx2 v[38:39], v[4:5], off
	v_lshl_add_u64 v[4:5], v[4:5], 0, 8
	s_cselect_b64 vcc, -1, 0
	v_cndmask_b32_e32 v3, v3, v5, vcc
	v_cndmask_b32_e32 v2, v2, v4, vcc
	global_load_dwordx2 v[2:3], v[2:3], off
	s_load_dwordx2 s[4:5], s[0:1], 0x40
	s_cmp_eq_u32 s19, 1
	s_waitcnt vmcnt(1)
	v_subrev_co_u32_e32 v0, vcc, s16, v38
	s_nop 1
	v_subbrev_co_u32_e32 v1, vcc, 0, v39, vcc
	v_lshl_add_u64 v[28:29], v[0:1], 0, v[26:27]
	s_waitcnt vmcnt(0)
	v_subrev_co_u32_e32 v30, vcc, s16, v2
	v_lshlrev_b64 v[0:1], 5, v[28:29]
	s_nop 0
	v_subbrev_co_u32_e32 v31, vcc, 0, v3, vcc
	v_lshl_add_u64 v[32:33], s[10:11], 0, v[0:1]
	v_cmp_lt_i64_e64 s[2:3], v[28:29], v[30:31]
	s_cbranch_scc1 .LBB113_25
; %bb.14:
	v_mov_b32_e32 v34, v27
	v_mov_b32_e32 v37, v27
	;; [unrolled: 1-line block ×3, first 2 shown]
	s_and_saveexec_b64 s[6:7], s[2:3]
	s_cbranch_execz .LBB113_24
; %bb.15:
	v_or_b32_e32 v0, 32, v26
	v_subrev_co_u32_e32 v0, vcc, s16, v0
	v_not_b32_e32 v3, v39
	s_nop 0
	v_subb_co_u32_e64 v1, s[10:11], 0, 0, vcc
	v_lshl_add_u64 v[0:1], v[0:1], 0, v[38:39]
	v_cmp_gt_i64_e32 vcc, v[0:1], v[30:31]
	v_not_b32_e32 v2, v38
	v_mov_b32_e32 v34, 0
	v_cndmask_b32_e32 v1, v31, v1, vcc
	v_cndmask_b32_e32 v0, v30, v0, vcc
	v_sub_co_u32_e32 v4, vcc, s16, v26
	v_mov_b32_e32 v35, v34
	s_nop 0
	v_subb_co_u32_e64 v5, s[10:11], 0, 0, vcc
	v_lshl_add_u64 v[2:3], v[4:5], 0, v[2:3]
	v_lshl_add_u64 v[0:1], v[2:3], 0, v[0:1]
	v_and_b32_e32 v2, 0x60, v0
	v_mov_b32_e32 v3, v34
	s_mov_b64 s[10:11], 0x60
	v_cmp_ne_u64_e32 vcc, s[10:11], v[2:3]
	v_mov_b64_e32 v[36:37], v[34:35]
	v_mov_b64_e32 v[40:41], v[28:29]
	;; [unrolled: 1-line block ×3, first 2 shown]
	s_and_saveexec_b64 s[10:11], vcc
	s_cbranch_execz .LBB113_19
; %bb.16:
	v_lshrrev_b32_e32 v2, 5, v0
	v_add_u32_e32 v2, 1, v2
	v_and_b32_e32 v2, 3, v2
	v_sub_co_u32_e32 v2, vcc, 0, v2
	s_mov_b64 s[18:19], 0
	s_nop 0
	v_subb_co_u32_e64 v3, s[20:21], 0, 0, vcc
	v_lshl_add_u64 v[4:5], v[28:29], 2, s[8:9]
	s_mov_b64 s[20:21], 0x400
	s_mov_b64 s[22:23], 0x80
	v_mov_b64_e32 v[42:43], v[32:33]
	v_mov_b64_e32 v[40:41], v[28:29]
	v_mov_b32_e32 v35, v34
	v_mov_b32_e32 v36, v34
	;; [unrolled: 1-line block ×3, first 2 shown]
.LBB113_17:                             ; =>This Inner Loop Header: Depth=1
	global_load_dword v14, v[4:5], off
	global_load_dwordx4 v[6:9], v[42:43], off
	global_load_dwordx4 v[10:13], v[42:43], off offset:16
	v_lshl_add_u64 v[2:3], v[2:3], 0, 1
	v_cmp_eq_u64_e32 vcc, 0, v[2:3]
	v_lshl_add_u64 v[42:43], v[42:43], 0, s[20:21]
	v_lshl_add_u64 v[40:41], v[40:41], 0, 32
	;; [unrolled: 1-line block ×3, first 2 shown]
	s_or_b64 s[18:19], vcc, s[18:19]
	s_waitcnt vmcnt(2)
	v_subrev_u32_e32 v14, s16, v14
	v_lshlrev_b32_e32 v14, 2, v14
	v_ashrrev_i32_e32 v15, 31, v14
	s_waitcnt lgkmcnt(0)
	v_lshl_add_u64 v[14:15], v[14:15], 1, s[4:5]
	global_load_dwordx2 v[14:15], v[14:15], off
	s_waitcnt vmcnt(2)
	v_lshlrev_b32_e32 v19, 16, v8
	v_lshlrev_b32_e32 v18, 16, v6
	v_and_b32_e32 v21, 0xffff0000, v8
	v_lshlrev_b32_e32 v23, 16, v9
	v_and_b32_e32 v17, 0xffff0000, v9
	s_waitcnt vmcnt(1)
	v_lshlrev_b32_e32 v9, 16, v12
	v_lshlrev_b32_e32 v8, 16, v10
	v_and_b32_e32 v44, 0xffff0000, v10
	v_and_b32_e32 v20, 0xffff0000, v6
	;; [unrolled: 1-line block ×3, first 2 shown]
	v_lshlrev_b32_e32 v22, 16, v7
	v_and_b32_e32 v6, 0xffff0000, v11
	v_lshlrev_b32_e32 v47, 16, v13
	v_lshlrev_b32_e32 v46, 16, v11
	v_and_b32_e32 v16, 0xffff0000, v7
	v_and_b32_e32 v7, 0xffff0000, v13
	s_waitcnt vmcnt(0)
	v_lshlrev_b32_e32 v10, 16, v14
	v_and_b32_e32 v12, 0xffff0000, v14
	v_pk_fma_f32 v[18:19], v[18:19], v[10:11], v[36:37] op_sel_hi:[1,0,1]
	v_pk_fma_f32 v[8:9], v[8:9], v[10:11], v[34:35] op_sel_hi:[1,0,1]
	v_lshlrev_b32_e32 v14, 16, v15
	v_pk_fma_f32 v[10:11], v[20:21], v[12:13], v[18:19] op_sel_hi:[1,0,1]
	v_pk_fma_f32 v[8:9], v[44:45], v[12:13], v[8:9] op_sel_hi:[1,0,1]
	v_and_b32_e32 v48, 0xffff0000, v15
	v_pk_fma_f32 v[10:11], v[22:23], v[14:15], v[10:11] op_sel_hi:[1,0,1]
	v_pk_fma_f32 v[8:9], v[46:47], v[14:15], v[8:9] op_sel_hi:[1,0,1]
	;; [unrolled: 1-line block ×4, first 2 shown]
	s_andn2_b64 exec, exec, s[18:19]
	s_cbranch_execnz .LBB113_17
; %bb.18:
	s_or_b64 exec, exec, s[18:19]
.LBB113_19:
	s_or_b64 exec, exec, s[10:11]
	s_mov_b64 s[10:11], 0x5f
	v_cmp_lt_u64_e32 vcc, s[10:11], v[0:1]
	s_and_saveexec_b64 s[10:11], vcc
	s_cbranch_execz .LBB113_23
; %bb.20:
	v_lshl_add_u64 v[0:1], v[40:41], 2, s[8:9]
	s_mov_b64 s[18:19], 0x100
	v_lshl_add_u64 v[44:45], v[0:1], 0, s[18:19]
	s_mov_b64 s[18:19], 0
	s_mov_b64 s[20:21], 0x1000
	;; [unrolled: 1-line block ×4, first 2 shown]
.LBB113_21:                             ; =>This Inner Loop Header: Depth=1
	global_load_dword v25, v[44:45], off offset:-256
	global_load_dwordx4 v[0:3], v[42:43], off
	global_load_dwordx4 v[8:11], v[42:43], off offset:16
	global_load_dword v27, v[44:45], off offset:-128
	global_load_dword v66, v[44:45], off
	global_load_dword v67, v[44:45], off offset:128
	global_load_dwordx4 v[4:7], v[42:43], off offset:3072
	global_load_dwordx4 v[12:15], v[42:43], off offset:1024
	;; [unrolled: 1-line block ×6, first 2 shown]
	v_lshl_add_u64 v[40:41], v[40:41], 0, s[22:23]
	v_cmp_ge_i64_e32 vcc, v[40:41], v[30:31]
	v_lshl_add_u64 v[42:43], v[42:43], 0, s[20:21]
	v_lshl_add_u64 v[44:45], v[44:45], 0, s[24:25]
	s_or_b64 s[18:19], vcc, s[18:19]
	s_waitcnt vmcnt(11)
	v_subrev_u32_e32 v25, s16, v25
	s_waitcnt vmcnt(10)
	v_lshlrev_b32_e32 v56, 16, v0
	v_and_b32_e32 v58, 0xffff0000, v0
	s_waitcnt vmcnt(9)
	v_and_b32_e32 v0, 0xffff0000, v9
	v_lshlrev_b32_e32 v64, 16, v9
	s_waitcnt vmcnt(8)
	v_subrev_u32_e32 v9, s16, v27
	s_waitcnt vmcnt(7)
	v_subrev_u32_e32 v27, s16, v66
	;; [unrolled: 2-line block ×3, first 2 shown]
	v_lshlrev_b32_e32 v72, 2, v25
	v_lshlrev_b32_e32 v74, 2, v9
	;; [unrolled: 1-line block ×4, first 2 shown]
	v_ashrrev_i32_e32 v73, 31, v72
	v_ashrrev_i32_e32 v75, 31, v74
	;; [unrolled: 1-line block ×4, first 2 shown]
	s_waitcnt lgkmcnt(0)
	v_lshl_add_u64 v[72:73], v[72:73], 1, s[4:5]
	v_lshl_add_u64 v[74:75], v[74:75], 1, s[4:5]
	;; [unrolled: 1-line block ×4, first 2 shown]
	global_load_dwordx2 v[80:81], v[72:73], off
	global_load_dwordx2 v[82:83], v[74:75], off
	;; [unrolled: 1-line block ×4, first 2 shown]
	v_lshlrev_b32_e32 v57, 16, v2
	v_and_b32_e32 v59, 0xffff0000, v2
	v_lshlrev_b32_e32 v61, 16, v3
	v_and_b32_e32 v55, 0xffff0000, v3
	v_lshlrev_b32_e32 v3, 16, v10
	v_lshlrev_b32_e32 v2, 16, v8
	s_waitcnt vmcnt(5)
	v_lshlrev_b32_e32 v76, 16, v46
	v_and_b32_e32 v78, 0xffff0000, v46
	s_waitcnt vmcnt(4)
	v_lshlrev_b32_e32 v46, 16, v50
	v_and_b32_e32 v90, 0xffff0000, v50
	v_lshlrev_b32_e32 v50, 16, v20
	v_and_b32_e32 v94, 0xffff0000, v20
	v_and_b32_e32 v63, 0xffff0000, v10
	;; [unrolled: 1-line block ×3, first 2 shown]
	v_lshlrev_b32_e32 v60, 16, v1
	v_lshlrev_b32_e32 v65, 16, v11
	v_and_b32_e32 v54, 0xffff0000, v1
	v_and_b32_e32 v1, 0xffff0000, v11
	v_lshlrev_b32_e32 v11, 16, v14
	v_lshlrev_b32_e32 v10, 16, v12
	;; [unrolled: 1-line block ×3, first 2 shown]
	v_and_b32_e32 v67, 0xffff0000, v14
	v_and_b32_e32 v66, 0xffff0000, v12
	;; [unrolled: 1-line block ×3, first 2 shown]
	v_lshlrev_b32_e32 v69, 16, v15
	v_lshlrev_b32_e32 v68, 16, v13
	;; [unrolled: 1-line block ×4, first 2 shown]
	v_and_b32_e32 v15, 0xffff0000, v15
	v_and_b32_e32 v14, 0xffff0000, v13
	;; [unrolled: 1-line block ×4, first 2 shown]
	v_lshlrev_b32_e32 v13, 16, v18
	v_lshlrev_b32_e32 v12, 16, v16
	;; [unrolled: 1-line block ×3, first 2 shown]
	v_and_b32_e32 v71, 0xffff0000, v18
	v_and_b32_e32 v70, 0xffff0000, v16
	;; [unrolled: 1-line block ×3, first 2 shown]
	v_lshlrev_b32_e32 v73, 16, v19
	v_lshlrev_b32_e32 v72, 16, v17
	;; [unrolled: 1-line block ×4, first 2 shown]
	v_and_b32_e32 v19, 0xffff0000, v19
	v_and_b32_e32 v18, 0xffff0000, v17
	;; [unrolled: 1-line block ×4, first 2 shown]
	v_lshlrev_b32_e32 v17, 16, v6
	v_lshlrev_b32_e32 v16, 16, v4
	v_lshlrev_b32_e32 v51, 16, v22
	v_and_b32_e32 v75, 0xffff0000, v6
	v_and_b32_e32 v74, 0xffff0000, v4
	;; [unrolled: 1-line block ×3, first 2 shown]
	v_lshlrev_b32_e32 v8, 16, v5
	v_lshlrev_b32_e32 v9, 16, v7
	v_and_b32_e32 v6, 0xffff0000, v5
	v_lshlrev_b32_e32 v4, 16, v21
	v_lshlrev_b32_e32 v5, 16, v23
	v_and_b32_e32 v7, 0xffff0000, v7
	v_and_b32_e32 v23, 0xffff0000, v23
	;; [unrolled: 1-line block ×3, first 2 shown]
	s_waitcnt vmcnt(3)
	v_lshlrev_b32_e32 v20, 16, v80
	v_and_b32_e32 v80, 0xffff0000, v80
	v_pk_fma_f32 v[36:37], v[56:57], v[20:21], v[36:37] op_sel_hi:[1,0,1]
	v_pk_fma_f32 v[2:3], v[2:3], v[20:21], v[34:35] op_sel_hi:[1,0,1]
	v_lshlrev_b32_e32 v96, 16, v81
	v_pk_fma_f32 v[36:37], v[58:59], v[80:81], v[36:37] op_sel_hi:[1,0,1]
	v_pk_fma_f32 v[2:3], v[62:63], v[80:81], v[2:3] op_sel_hi:[1,0,1]
	v_and_b32_e32 v98, 0xffff0000, v81
	v_pk_fma_f32 v[36:37], v[60:61], v[96:97], v[36:37] op_sel_hi:[1,0,1]
	v_pk_fma_f32 v[2:3], v[64:65], v[96:97], v[2:3] op_sel_hi:[1,0,1]
	s_waitcnt vmcnt(2)
	v_lshlrev_b32_e32 v100, 16, v82
	v_pk_fma_f32 v[36:37], v[54:55], v[98:99], v[36:37] op_sel_hi:[1,0,1]
	v_pk_fma_f32 v[0:1], v[0:1], v[98:99], v[2:3] op_sel_hi:[1,0,1]
	v_and_b32_e32 v56, 0xffff0000, v82
	v_pk_fma_f32 v[2:3], v[10:11], v[100:101], v[36:37] op_sel_hi:[1,0,1]
	v_pk_fma_f32 v[0:1], v[76:77], v[100:101], v[0:1] op_sel_hi:[1,0,1]
	v_lshlrev_b32_e32 v20, 16, v83
	v_pk_fma_f32 v[2:3], v[66:67], v[56:57], v[2:3] op_sel_hi:[1,0,1]
	v_pk_fma_f32 v[0:1], v[78:79], v[56:57], v[0:1] op_sel_hi:[1,0,1]
	v_and_b32_e32 v34, 0xffff0000, v83
	v_pk_fma_f32 v[2:3], v[68:69], v[20:21], v[2:3] op_sel_hi:[1,0,1]
	v_pk_fma_f32 v[0:1], v[88:89], v[20:21], v[0:1] op_sel_hi:[1,0,1]
	s_waitcnt vmcnt(1)
	v_lshlrev_b32_e32 v82, 16, v84
	v_pk_fma_f32 v[2:3], v[14:15], v[34:35], v[2:3] op_sel_hi:[1,0,1]
	v_pk_fma_f32 v[0:1], v[48:49], v[34:35], v[0:1] op_sel_hi:[1,0,1]
	;; [unrolled: 13-line block ×3, first 2 shown]
	v_and_b32_e32 v60, 0xffff0000, v86
	v_pk_fma_f32 v[2:3], v[16:17], v[84:85], v[2:3] op_sel_hi:[1,0,1]
	v_pk_fma_f32 v[0:1], v[50:51], v[84:85], v[0:1] op_sel_hi:[1,0,1]
	v_lshlrev_b32_e32 v64, 16, v87
	v_pk_fma_f32 v[2:3], v[74:75], v[60:61], v[2:3] op_sel_hi:[1,0,1]
	v_pk_fma_f32 v[0:1], v[94:95], v[60:61], v[0:1] op_sel_hi:[1,0,1]
	v_and_b32_e32 v86, 0xffff0000, v87
	v_pk_fma_f32 v[2:3], v[8:9], v[64:65], v[2:3] op_sel_hi:[1,0,1]
	v_pk_fma_f32 v[0:1], v[4:5], v[64:65], v[0:1] op_sel_hi:[1,0,1]
	;; [unrolled: 1-line block ×4, first 2 shown]
	s_andn2_b64 exec, exec, s[18:19]
	s_cbranch_execnz .LBB113_21
; %bb.22:
	s_or_b64 exec, exec, s[18:19]
.LBB113_23:
	s_or_b64 exec, exec, s[10:11]
	v_mov_b32_e32 v27, v35
.LBB113_24:
	s_or_b64 exec, exec, s[6:7]
	v_mov_b32_e32 v35, v27
	s_cbranch_execz .LBB113_26
	s_branch .LBB113_37
.LBB113_25:
                                        ; implicit-def: $vgpr35
                                        ; implicit-def: $vgpr37
.LBB113_26:
	v_mov_b32_e32 v35, 0
	v_mov_b32_e32 v34, 0
	;; [unrolled: 1-line block ×4, first 2 shown]
	s_and_saveexec_b64 s[6:7], s[2:3]
	s_cbranch_execz .LBB113_36
; %bb.27:
	v_or_b32_e32 v0, 32, v26
	v_subrev_co_u32_e32 v0, vcc, s16, v0
	v_not_b32_e32 v3, v39
	s_nop 0
	v_subb_co_u32_e64 v1, s[2:3], 0, 0, vcc
	v_lshl_add_u64 v[0:1], v[0:1], 0, v[38:39]
	v_cmp_gt_i64_e32 vcc, v[0:1], v[30:31]
	v_not_b32_e32 v2, v38
	v_mov_b32_e32 v34, 0
	v_cndmask_b32_e32 v1, v31, v1, vcc
	v_cndmask_b32_e32 v0, v30, v0, vcc
	v_sub_co_u32_e32 v4, vcc, s16, v26
	v_mov_b32_e32 v35, v34
	s_nop 0
	v_subb_co_u32_e64 v5, s[2:3], 0, 0, vcc
	v_lshl_add_u64 v[2:3], v[4:5], 0, v[2:3]
	v_lshl_add_u64 v[0:1], v[2:3], 0, v[0:1]
	v_and_b32_e32 v2, 0x60, v0
	v_mov_b32_e32 v3, v34
	s_mov_b64 s[2:3], 0x60
	v_cmp_ne_u64_e32 vcc, s[2:3], v[2:3]
	v_mov_b64_e32 v[36:37], v[34:35]
	s_and_saveexec_b64 s[2:3], vcc
	s_cbranch_execz .LBB113_31
; %bb.28:
	v_lshrrev_b32_e32 v2, 5, v0
	v_add_u32_e32 v2, 1, v2
	v_and_b32_e32 v4, 3, v2
	v_sub_co_u32_e32 v4, vcc, 0, v4
	v_lshl_add_u64 v[2:3], v[28:29], 2, s[8:9]
	s_nop 0
	v_subb_co_u32_e64 v5, s[18:19], 0, 0, vcc
	s_mov_b64 s[10:11], 0
	s_mov_b64 s[18:19], 0x400
	;; [unrolled: 1-line block ×3, first 2 shown]
	v_mov_b32_e32 v35, v34
	v_mov_b32_e32 v36, v34
	;; [unrolled: 1-line block ×3, first 2 shown]
.LBB113_29:                             ; =>This Inner Loop Header: Depth=1
	global_load_dword v10, v[2:3], off
	global_load_dwordx4 v[6:9], v[32:33], off
	v_lshl_add_u64 v[4:5], v[4:5], 0, 1
	v_cmp_eq_u64_e32 vcc, 0, v[4:5]
	v_lshl_add_u64 v[28:29], v[28:29], 0, 32
	v_lshl_add_u64 v[2:3], v[2:3], 0, s[20:21]
	s_or_b64 s[10:11], vcc, s[10:11]
	s_waitcnt vmcnt(1)
	v_subrev_u32_e32 v10, s16, v10
	v_lshlrev_b32_e32 v10, 2, v10
	v_ashrrev_i32_e32 v11, 31, v10
	s_waitcnt lgkmcnt(0)
	v_lshl_add_u64 v[14:15], v[10:11], 1, s[4:5]
	global_load_dwordx2 v[16:17], v[14:15], off
	global_load_dwordx4 v[10:13], v[32:33], off offset:16
	s_waitcnt vmcnt(2)
	v_and_b32_e32 v15, 0xffff0000, v6
	v_lshlrev_b32_e32 v14, 16, v6
	v_and_b32_e32 v19, 0xffff0000, v8
	v_lshlrev_b32_e32 v18, 16, v8
	;; [unrolled: 2-line block ×4, first 2 shown]
	v_lshl_add_u64 v[32:33], v[32:33], 0, s[18:19]
	s_waitcnt vmcnt(1)
	v_lshlrev_b32_e32 v40, 16, v17
	s_waitcnt vmcnt(0)
	v_and_b32_e32 v9, 0xffff0000, v10
	v_lshlrev_b32_e32 v8, 16, v10
	v_and_b32_e32 v23, 0xffff0000, v11
	v_lshlrev_b32_e32 v22, 16, v11
	;; [unrolled: 2-line block ×3, first 2 shown]
	v_lshlrev_b32_e32 v12, 16, v16
	v_and_b32_e32 v39, 0xffff0000, v13
	v_lshlrev_b32_e32 v38, 16, v13
	v_and_b32_e32 v16, 0xffff0000, v16
	v_pk_fma_f32 v[14:15], v[14:15], v[12:13], v[36:37] op_sel_hi:[1,0,1]
	v_pk_fma_f32 v[12:13], v[20:21], v[12:13], v[34:35] op_sel_hi:[1,0,1]
	;; [unrolled: 1-line block ×4, first 2 shown]
	v_and_b32_e32 v42, 0xffff0000, v17
	v_pk_fma_f32 v[8:9], v[8:9], v[40:41], v[14:15] op_sel_hi:[1,0,1]
	v_pk_fma_f32 v[6:7], v[22:23], v[40:41], v[6:7] op_sel_hi:[1,0,1]
	;; [unrolled: 1-line block ×4, first 2 shown]
	s_andn2_b64 exec, exec, s[10:11]
	s_cbranch_execnz .LBB113_29
; %bb.30:
	s_or_b64 exec, exec, s[10:11]
.LBB113_31:
	s_or_b64 exec, exec, s[2:3]
	s_mov_b64 s[2:3], 0x5f
	v_cmp_lt_u64_e32 vcc, s[2:3], v[0:1]
	s_and_saveexec_b64 s[2:3], vcc
	s_cbranch_execz .LBB113_35
; %bb.32:
	v_lshl_add_u64 v[0:1], v[28:29], 2, s[8:9]
	s_mov_b64 s[8:9], 0x100
	v_lshl_add_u64 v[20:21], v[0:1], 0, s[8:9]
	s_mov_b64 s[8:9], 0
	s_mov_b64 s[10:11], 0x1000
	;; [unrolled: 1-line block ×4, first 2 shown]
.LBB113_33:                             ; =>This Inner Loop Header: Depth=1
	global_load_dwordx4 v[0:3], v[32:33], off
	global_load_dwordx4 v[8:11], v[32:33], off offset:16
	global_load_dwordx4 v[4:7], v[32:33], off offset:1024
	;; [unrolled: 1-line block ×4, first 2 shown]
	global_load_dword v25, v[20:21], off offset:-256
	global_load_dword v27, v[20:21], off offset:-128
	global_load_dword v68, v[20:21], off
	global_load_dword v69, v[20:21], off offset:128
	global_load_dwordx4 v[38:41], v[32:33], off offset:2064
	global_load_dwordx4 v[42:45], v[32:33], off offset:3072
	;; [unrolled: 1-line block ×3, first 2 shown]
	v_lshl_add_u64 v[28:29], v[28:29], 0, s[18:19]
	v_cmp_ge_i64_e32 vcc, v[28:29], v[30:31]
	v_lshl_add_u64 v[32:33], v[32:33], 0, s[10:11]
	v_lshl_add_u64 v[20:21], v[20:21], 0, s[20:21]
	s_or_b64 s[8:9], vcc, s[8:9]
	s_waitcnt vmcnt(11)
	v_and_b32_e32 v23, 0xffff0000, v0
	v_lshlrev_b32_e32 v22, 16, v0
	v_and_b32_e32 v51, 0xffff0000, v2
	v_lshlrev_b32_e32 v50, 16, v2
	;; [unrolled: 2-line block ×4, first 2 shown]
	s_waitcnt vmcnt(10)
	v_and_b32_e32 v3, 0xffff0000, v8
	v_lshlrev_b32_e32 v2, 16, v8
	v_and_b32_e32 v55, 0xffff0000, v9
	v_lshlrev_b32_e32 v54, 16, v9
	;; [unrolled: 2-line block ×4, first 2 shown]
	s_waitcnt vmcnt(9)
	v_and_b32_e32 v11, 0xffff0000, v4
	v_lshlrev_b32_e32 v10, 16, v4
	s_waitcnt vmcnt(6)
	v_subrev_u32_e32 v4, s16, v25
	v_and_b32_e32 v59, 0xffff0000, v6
	v_lshlrev_b32_e32 v58, 16, v6
	v_and_b32_e32 v61, 0xffff0000, v12
	v_lshlrev_b32_e32 v60, 16, v12
	;; [unrolled: 2-line block ×3, first 2 shown]
	s_waitcnt vmcnt(5)
	v_subrev_u32_e32 v6, s16, v27
	s_waitcnt vmcnt(4)
	v_subrev_u32_e32 v12, s16, v68
	;; [unrolled: 2-line block ×3, first 2 shown]
	v_lshlrev_b32_e32 v68, 2, v4
	v_lshlrev_b32_e32 v70, 2, v6
	;; [unrolled: 1-line block ×4, first 2 shown]
	v_ashrrev_i32_e32 v69, 31, v68
	v_ashrrev_i32_e32 v71, 31, v70
	;; [unrolled: 1-line block ×4, first 2 shown]
	s_waitcnt lgkmcnt(0)
	v_lshl_add_u64 v[68:69], v[68:69], 1, s[4:5]
	v_lshl_add_u64 v[70:71], v[70:71], 1, s[4:5]
	;; [unrolled: 1-line block ×4, first 2 shown]
	global_load_dwordx2 v[76:77], v[68:69], off
	global_load_dwordx2 v[78:79], v[70:71], off
	;; [unrolled: 1-line block ×4, first 2 shown]
	v_and_b32_e32 v65, 0xffff0000, v16
	v_lshlrev_b32_e32 v64, 16, v16
	v_and_b32_e32 v67, 0xffff0000, v18
	v_lshlrev_b32_e32 v66, 16, v18
	;; [unrolled: 2-line block ×8, first 2 shown]
	s_waitcnt vmcnt(6)
	v_and_b32_e32 v19, 0xffff0000, v38
	v_lshlrev_b32_e32 v18, 16, v38
	v_and_b32_e32 v71, 0xffff0000, v40
	v_lshlrev_b32_e32 v70, 16, v40
	v_and_b32_e32 v73, 0xffff0000, v39
	v_lshlrev_b32_e32 v72, 16, v39
	v_and_b32_e32 v39, 0xffff0000, v41
	v_lshlrev_b32_e32 v38, 16, v41
	s_waitcnt vmcnt(5)
	v_and_b32_e32 v41, 0xffff0000, v42
	v_lshlrev_b32_e32 v40, 16, v42
	v_and_b32_e32 v75, 0xffff0000, v43
	v_lshlrev_b32_e32 v74, 16, v43
	v_and_b32_e32 v43, 0xffff0000, v44
	v_lshlrev_b32_e32 v42, 16, v44
	v_and_b32_e32 v85, 0xffff0000, v45
	v_lshlrev_b32_e32 v84, 16, v45
	;; [unrolled: 9-line block ×3, first 2 shown]
	s_waitcnt vmcnt(3)
	v_lshlrev_b32_e32 v48, 16, v76
	v_and_b32_e32 v76, 0xffff0000, v76
	v_pk_fma_f32 v[22:23], v[22:23], v[48:49], v[36:37] op_sel_hi:[1,0,1]
	v_pk_fma_f32 v[34:35], v[52:53], v[48:49], v[34:35] op_sel_hi:[1,0,1]
	v_lshlrev_b32_e32 v90, 16, v77
	v_pk_fma_f32 v[22:23], v[50:51], v[76:77], v[22:23] op_sel_hi:[1,0,1]
	v_pk_fma_f32 v[0:1], v[0:1], v[76:77], v[34:35] op_sel_hi:[1,0,1]
	v_and_b32_e32 v92, 0xffff0000, v77
	v_pk_fma_f32 v[2:3], v[2:3], v[90:91], v[22:23] op_sel_hi:[1,0,1]
	v_pk_fma_f32 v[0:1], v[54:55], v[90:91], v[0:1] op_sel_hi:[1,0,1]
	s_waitcnt vmcnt(2)
	v_lshlrev_b32_e32 v94, 16, v78
	v_pk_fma_f32 v[2:3], v[8:9], v[92:93], v[2:3] op_sel_hi:[1,0,1]
	v_pk_fma_f32 v[0:1], v[56:57], v[92:93], v[0:1] op_sel_hi:[1,0,1]
	v_and_b32_e32 v36, 0xffff0000, v78
	v_pk_fma_f32 v[2:3], v[10:11], v[94:95], v[2:3] op_sel_hi:[1,0,1]
	v_pk_fma_f32 v[0:1], v[68:69], v[94:95], v[0:1] op_sel_hi:[1,0,1]
	v_lshlrev_b32_e32 v48, 16, v79
	v_pk_fma_f32 v[2:3], v[58:59], v[36:37], v[2:3] op_sel_hi:[1,0,1]
	v_pk_fma_f32 v[0:1], v[4:5], v[36:37], v[0:1] op_sel_hi:[1,0,1]
	v_and_b32_e32 v52, 0xffff0000, v79
	v_pk_fma_f32 v[2:3], v[60:61], v[48:49], v[2:3] op_sel_hi:[1,0,1]
	v_pk_fma_f32 v[0:1], v[6:7], v[48:49], v[0:1] op_sel_hi:[1,0,1]
	s_waitcnt vmcnt(1)
	v_lshlrev_b32_e32 v78, 16, v80
	v_pk_fma_f32 v[2:3], v[62:63], v[52:53], v[2:3] op_sel_hi:[1,0,1]
	v_pk_fma_f32 v[0:1], v[12:13], v[52:53], v[0:1] op_sel_hi:[1,0,1]
	;; [unrolled: 13-line block ×3, first 2 shown]
	v_and_b32_e32 v22, 0xffff0000, v82
	v_pk_fma_f32 v[2:3], v[40:41], v[80:81], v[2:3] op_sel_hi:[1,0,1]
	v_pk_fma_f32 v[0:1], v[74:75], v[80:81], v[0:1] op_sel_hi:[1,0,1]
	v_lshlrev_b32_e32 v54, 16, v83
	v_pk_fma_f32 v[2:3], v[42:43], v[22:23], v[2:3] op_sel_hi:[1,0,1]
	v_pk_fma_f32 v[0:1], v[84:85], v[22:23], v[0:1] op_sel_hi:[1,0,1]
	v_and_b32_e32 v82, 0xffff0000, v83
	v_pk_fma_f32 v[2:3], v[44:45], v[54:55], v[2:3] op_sel_hi:[1,0,1]
	v_pk_fma_f32 v[0:1], v[86:87], v[54:55], v[0:1] op_sel_hi:[1,0,1]
	;; [unrolled: 1-line block ×4, first 2 shown]
	s_andn2_b64 exec, exec, s[8:9]
	s_cbranch_execnz .LBB113_33
; %bb.34:
	s_or_b64 exec, exec, s[8:9]
.LBB113_35:
	s_or_b64 exec, exec, s[2:3]
.LBB113_36:
	s_or_b64 exec, exec, s[6:7]
.LBB113_37:
	v_mov_b32_dpp v0, v36 row_shr:1 row_mask:0xf bank_mask:0xf
	v_mov_b32_dpp v1, v37 row_shr:1 row_mask:0xf bank_mask:0xf
	;; [unrolled: 1-line block ×4, first 2 shown]
	v_pk_add_f32 v[0:1], v[36:37], v[0:1]
	v_pk_add_f32 v[4:5], v[34:35], v[4:5]
	v_cmp_eq_u32_e32 vcc, 31, v26
	v_mov_b32_dpp v2, v0 row_shr:2 row_mask:0xf bank_mask:0xf
	v_mov_b32_dpp v3, v1 row_shr:2 row_mask:0xf bank_mask:0xf
	v_mov_b32_dpp v6, v4 row_shr:2 row_mask:0xf bank_mask:0xf
	v_mov_b32_dpp v7, v5 row_shr:2 row_mask:0xf bank_mask:0xf
	v_pk_add_f32 v[0:1], v[0:1], v[2:3]
	v_pk_add_f32 v[4:5], v[4:5], v[6:7]
	s_nop 0
	v_mov_b32_dpp v2, v0 row_shr:4 row_mask:0xf bank_mask:0xe
	v_mov_b32_dpp v3, v1 row_shr:4 row_mask:0xf bank_mask:0xe
	v_mov_b32_dpp v6, v4 row_shr:4 row_mask:0xf bank_mask:0xe
	v_mov_b32_dpp v7, v5 row_shr:4 row_mask:0xf bank_mask:0xe
	v_pk_add_f32 v[0:1], v[0:1], v[2:3]
	v_pk_add_f32 v[4:5], v[4:5], v[6:7]
	s_nop 0
	v_mov_b32_dpp v2, v0 row_shr:8 row_mask:0xf bank_mask:0xc
	v_mov_b32_dpp v3, v1 row_shr:8 row_mask:0xf bank_mask:0xc
	v_mov_b32_dpp v6, v4 row_shr:8 row_mask:0xf bank_mask:0xc
	v_mov_b32_dpp v7, v5 row_shr:8 row_mask:0xf bank_mask:0xc
	v_pk_add_f32 v[0:1], v[0:1], v[2:3]
	v_pk_add_f32 v[4:5], v[4:5], v[6:7]
	s_nop 0
	v_mov_b32_dpp v2, v0 row_bcast:15 row_mask:0xa bank_mask:0xf
	v_mov_b32_dpp v3, v1 row_bcast:15 row_mask:0xa bank_mask:0xf
	;; [unrolled: 1-line block ×4, first 2 shown]
	s_and_b64 exec, exec, vcc
	s_cbranch_execz .LBB113_10
; %bb.38:
	s_load_dwordx2 s[0:1], s[0:1], 0x50
	v_cmp_eq_f32_e64 s[2:3], s14, 0
	v_pk_add_f32 v[2:3], v[0:1], v[2:3]
	v_pk_add_f32 v[0:1], v[4:5], v[6:7]
	s_and_b64 vcc, exec, s[2:3]
	v_lshlrev_b32_e32 v4, 2, v24
	s_cbranch_vccz .LBB113_40
; %bb.39:
	v_ashrrev_i32_e32 v5, 31, v4
	s_waitcnt lgkmcnt(0)
	v_lshl_add_u64 v[10:11], v[4:5], 2, s[0:1]
	v_pk_mul_f32 v[6:7], s[12:13], v[2:3] op_sel_hi:[0,1]
	v_pk_mul_f32 v[8:9], s[12:13], v[0:1] op_sel_hi:[0,1]
	global_store_dwordx4 v[10:11], v[6:9], off
	s_cbranch_execnz .LBB113_10
	s_branch .LBB113_41
.LBB113_40:
.LBB113_41:
	v_ashrrev_i32_e32 v5, 31, v4
	s_waitcnt lgkmcnt(0)
	v_lshl_add_u64 v[8:9], v[4:5], 2, s[0:1]
	global_load_dwordx4 v[4:7], v[8:9], off
	v_pk_mul_f32 v[2:3], s[12:13], v[2:3] op_sel_hi:[0,1]
	v_pk_mul_f32 v[10:11], s[12:13], v[0:1] op_sel_hi:[0,1]
	s_waitcnt vmcnt(0)
	v_pk_fma_f32 v[0:1], s[14:15], v[4:5], v[2:3] op_sel_hi:[0,1,1]
	v_pk_fma_f32 v[2:3], s[14:15], v[6:7], v[10:11] op_sel_hi:[0,1,1]
	global_store_dwordx4 v[8:9], v[0:3], off
	s_endpgm
	.section	.rodata,"a",@progbits
	.p2align	6, 0x0
	.amdhsa_kernel _ZN9rocsparseL18bsrxmvn_4x4_kernelILj128ELj32Efli18rocsparse_bfloat16S1_fEEvT3_20rocsparse_direction_NS_24const_host_device_scalarIT1_EES2_PKS2_PKT2_SB_S8_PKT4_PKT5_S6_PT6_21rocsparse_index_base_b
		.amdhsa_group_segment_fixed_size 0
		.amdhsa_private_segment_fixed_size 0
		.amdhsa_kernarg_size 96
		.amdhsa_user_sgpr_count 2
		.amdhsa_user_sgpr_dispatch_ptr 0
		.amdhsa_user_sgpr_queue_ptr 0
		.amdhsa_user_sgpr_kernarg_segment_ptr 1
		.amdhsa_user_sgpr_dispatch_id 0
		.amdhsa_user_sgpr_kernarg_preload_length 0
		.amdhsa_user_sgpr_kernarg_preload_offset 0
		.amdhsa_user_sgpr_private_segment_size 0
		.amdhsa_uses_dynamic_stack 0
		.amdhsa_enable_private_segment 0
		.amdhsa_system_sgpr_workgroup_id_x 1
		.amdhsa_system_sgpr_workgroup_id_y 0
		.amdhsa_system_sgpr_workgroup_id_z 0
		.amdhsa_system_sgpr_workgroup_info 0
		.amdhsa_system_vgpr_workitem_id 0
		.amdhsa_next_free_vgpr 102
		.amdhsa_next_free_sgpr 26
		.amdhsa_accum_offset 104
		.amdhsa_reserve_vcc 1
		.amdhsa_float_round_mode_32 0
		.amdhsa_float_round_mode_16_64 0
		.amdhsa_float_denorm_mode_32 3
		.amdhsa_float_denorm_mode_16_64 3
		.amdhsa_dx10_clamp 1
		.amdhsa_ieee_mode 1
		.amdhsa_fp16_overflow 0
		.amdhsa_tg_split 0
		.amdhsa_exception_fp_ieee_invalid_op 0
		.amdhsa_exception_fp_denorm_src 0
		.amdhsa_exception_fp_ieee_div_zero 0
		.amdhsa_exception_fp_ieee_overflow 0
		.amdhsa_exception_fp_ieee_underflow 0
		.amdhsa_exception_fp_ieee_inexact 0
		.amdhsa_exception_int_div_zero 0
	.end_amdhsa_kernel
	.section	.text._ZN9rocsparseL18bsrxmvn_4x4_kernelILj128ELj32Efli18rocsparse_bfloat16S1_fEEvT3_20rocsparse_direction_NS_24const_host_device_scalarIT1_EES2_PKS2_PKT2_SB_S8_PKT4_PKT5_S6_PT6_21rocsparse_index_base_b,"axG",@progbits,_ZN9rocsparseL18bsrxmvn_4x4_kernelILj128ELj32Efli18rocsparse_bfloat16S1_fEEvT3_20rocsparse_direction_NS_24const_host_device_scalarIT1_EES2_PKS2_PKT2_SB_S8_PKT4_PKT5_S6_PT6_21rocsparse_index_base_b,comdat
.Lfunc_end113:
	.size	_ZN9rocsparseL18bsrxmvn_4x4_kernelILj128ELj32Efli18rocsparse_bfloat16S1_fEEvT3_20rocsparse_direction_NS_24const_host_device_scalarIT1_EES2_PKS2_PKT2_SB_S8_PKT4_PKT5_S6_PT6_21rocsparse_index_base_b, .Lfunc_end113-_ZN9rocsparseL18bsrxmvn_4x4_kernelILj128ELj32Efli18rocsparse_bfloat16S1_fEEvT3_20rocsparse_direction_NS_24const_host_device_scalarIT1_EES2_PKS2_PKT2_SB_S8_PKT4_PKT5_S6_PT6_21rocsparse_index_base_b
                                        ; -- End function
	.set _ZN9rocsparseL18bsrxmvn_4x4_kernelILj128ELj32Efli18rocsparse_bfloat16S1_fEEvT3_20rocsparse_direction_NS_24const_host_device_scalarIT1_EES2_PKS2_PKT2_SB_S8_PKT4_PKT5_S6_PT6_21rocsparse_index_base_b.num_vgpr, 102
	.set _ZN9rocsparseL18bsrxmvn_4x4_kernelILj128ELj32Efli18rocsparse_bfloat16S1_fEEvT3_20rocsparse_direction_NS_24const_host_device_scalarIT1_EES2_PKS2_PKT2_SB_S8_PKT4_PKT5_S6_PT6_21rocsparse_index_base_b.num_agpr, 0
	.set _ZN9rocsparseL18bsrxmvn_4x4_kernelILj128ELj32Efli18rocsparse_bfloat16S1_fEEvT3_20rocsparse_direction_NS_24const_host_device_scalarIT1_EES2_PKS2_PKT2_SB_S8_PKT4_PKT5_S6_PT6_21rocsparse_index_base_b.numbered_sgpr, 26
	.set _ZN9rocsparseL18bsrxmvn_4x4_kernelILj128ELj32Efli18rocsparse_bfloat16S1_fEEvT3_20rocsparse_direction_NS_24const_host_device_scalarIT1_EES2_PKS2_PKT2_SB_S8_PKT4_PKT5_S6_PT6_21rocsparse_index_base_b.num_named_barrier, 0
	.set _ZN9rocsparseL18bsrxmvn_4x4_kernelILj128ELj32Efli18rocsparse_bfloat16S1_fEEvT3_20rocsparse_direction_NS_24const_host_device_scalarIT1_EES2_PKS2_PKT2_SB_S8_PKT4_PKT5_S6_PT6_21rocsparse_index_base_b.private_seg_size, 0
	.set _ZN9rocsparseL18bsrxmvn_4x4_kernelILj128ELj32Efli18rocsparse_bfloat16S1_fEEvT3_20rocsparse_direction_NS_24const_host_device_scalarIT1_EES2_PKS2_PKT2_SB_S8_PKT4_PKT5_S6_PT6_21rocsparse_index_base_b.uses_vcc, 1
	.set _ZN9rocsparseL18bsrxmvn_4x4_kernelILj128ELj32Efli18rocsparse_bfloat16S1_fEEvT3_20rocsparse_direction_NS_24const_host_device_scalarIT1_EES2_PKS2_PKT2_SB_S8_PKT4_PKT5_S6_PT6_21rocsparse_index_base_b.uses_flat_scratch, 0
	.set _ZN9rocsparseL18bsrxmvn_4x4_kernelILj128ELj32Efli18rocsparse_bfloat16S1_fEEvT3_20rocsparse_direction_NS_24const_host_device_scalarIT1_EES2_PKS2_PKT2_SB_S8_PKT4_PKT5_S6_PT6_21rocsparse_index_base_b.has_dyn_sized_stack, 0
	.set _ZN9rocsparseL18bsrxmvn_4x4_kernelILj128ELj32Efli18rocsparse_bfloat16S1_fEEvT3_20rocsparse_direction_NS_24const_host_device_scalarIT1_EES2_PKS2_PKT2_SB_S8_PKT4_PKT5_S6_PT6_21rocsparse_index_base_b.has_recursion, 0
	.set _ZN9rocsparseL18bsrxmvn_4x4_kernelILj128ELj32Efli18rocsparse_bfloat16S1_fEEvT3_20rocsparse_direction_NS_24const_host_device_scalarIT1_EES2_PKS2_PKT2_SB_S8_PKT4_PKT5_S6_PT6_21rocsparse_index_base_b.has_indirect_call, 0
	.section	.AMDGPU.csdata,"",@progbits
; Kernel info:
; codeLenInByte = 4172
; TotalNumSgprs: 32
; NumVgprs: 102
; NumAgprs: 0
; TotalNumVgprs: 102
; ScratchSize: 0
; MemoryBound: 0
; FloatMode: 240
; IeeeMode: 1
; LDSByteSize: 0 bytes/workgroup (compile time only)
; SGPRBlocks: 3
; VGPRBlocks: 12
; NumSGPRsForWavesPerEU: 32
; NumVGPRsForWavesPerEU: 102
; AccumOffset: 104
; Occupancy: 4
; WaveLimiterHint : 1
; COMPUTE_PGM_RSRC2:SCRATCH_EN: 0
; COMPUTE_PGM_RSRC2:USER_SGPR: 2
; COMPUTE_PGM_RSRC2:TRAP_HANDLER: 0
; COMPUTE_PGM_RSRC2:TGID_X_EN: 1
; COMPUTE_PGM_RSRC2:TGID_Y_EN: 0
; COMPUTE_PGM_RSRC2:TGID_Z_EN: 0
; COMPUTE_PGM_RSRC2:TIDIG_COMP_CNT: 0
; COMPUTE_PGM_RSRC3_GFX90A:ACCUM_OFFSET: 25
; COMPUTE_PGM_RSRC3_GFX90A:TG_SPLIT: 0
	.section	.text._ZN9rocsparseL18bsrxmvn_4x4_kernelILj128ELj64Efli18rocsparse_bfloat16S1_fEEvT3_20rocsparse_direction_NS_24const_host_device_scalarIT1_EES2_PKS2_PKT2_SB_S8_PKT4_PKT5_S6_PT6_21rocsparse_index_base_b,"axG",@progbits,_ZN9rocsparseL18bsrxmvn_4x4_kernelILj128ELj64Efli18rocsparse_bfloat16S1_fEEvT3_20rocsparse_direction_NS_24const_host_device_scalarIT1_EES2_PKS2_PKT2_SB_S8_PKT4_PKT5_S6_PT6_21rocsparse_index_base_b,comdat
	.globl	_ZN9rocsparseL18bsrxmvn_4x4_kernelILj128ELj64Efli18rocsparse_bfloat16S1_fEEvT3_20rocsparse_direction_NS_24const_host_device_scalarIT1_EES2_PKS2_PKT2_SB_S8_PKT4_PKT5_S6_PT6_21rocsparse_index_base_b ; -- Begin function _ZN9rocsparseL18bsrxmvn_4x4_kernelILj128ELj64Efli18rocsparse_bfloat16S1_fEEvT3_20rocsparse_direction_NS_24const_host_device_scalarIT1_EES2_PKS2_PKT2_SB_S8_PKT4_PKT5_S6_PT6_21rocsparse_index_base_b
	.p2align	8
	.type	_ZN9rocsparseL18bsrxmvn_4x4_kernelILj128ELj64Efli18rocsparse_bfloat16S1_fEEvT3_20rocsparse_direction_NS_24const_host_device_scalarIT1_EES2_PKS2_PKT2_SB_S8_PKT4_PKT5_S6_PT6_21rocsparse_index_base_b,@function
_ZN9rocsparseL18bsrxmvn_4x4_kernelILj128ELj64Efli18rocsparse_bfloat16S1_fEEvT3_20rocsparse_direction_NS_24const_host_device_scalarIT1_EES2_PKS2_PKT2_SB_S8_PKT4_PKT5_S6_PT6_21rocsparse_index_base_b: ; @_ZN9rocsparseL18bsrxmvn_4x4_kernelILj128ELj64Efli18rocsparse_bfloat16S1_fEEvT3_20rocsparse_direction_NS_24const_host_device_scalarIT1_EES2_PKS2_PKT2_SB_S8_PKT4_PKT5_S6_PT6_21rocsparse_index_base_b
; %bb.0:
	s_load_dwordx2 s[16:17], s[0:1], 0x58
	s_load_dwordx2 s[12:13], s[0:1], 0x8
	;; [unrolled: 1-line block ×3, first 2 shown]
	s_waitcnt lgkmcnt(0)
	s_bitcmp1_b32 s17, 0
	s_cselect_b64 s[6:7], -1, 0
	s_xor_b64 s[4:5], s[6:7], -1
	s_and_b64 vcc, exec, s[6:7]
	s_cbranch_vccnz .LBB114_2
; %bb.1:
	s_load_dword s12, s[12:13], 0x0
.LBB114_2:
	s_andn2_b64 vcc, exec, s[4:5]
	s_cbranch_vccnz .LBB114_4
; %bb.3:
	s_load_dword s14, s[14:15], 0x0
.LBB114_4:
	s_waitcnt lgkmcnt(0)
	v_cmp_neq_f32_e64 s[4:5], s12, 0
	v_cmp_neq_f32_e64 s[6:7], s14, 1.0
	s_or_b64 s[4:5], s[4:5], s[6:7]
	s_andn2_b64 vcc, exec, s[4:5]
	s_cbranch_vccnz .LBB114_10
; %bb.5:
	s_load_dwordx2 s[4:5], s[0:1], 0x18
	s_load_dwordx2 s[18:19], s[0:1], 0x0
	v_lshrrev_b32_e32 v1, 6, v0
	v_lshl_or_b32 v28, s2, 1, v1
	s_mov_b64 s[2:3], 0
	s_waitcnt lgkmcnt(0)
	s_cmp_lg_u64 s[4:5], 0
	s_cbranch_scc0 .LBB114_11
; %bb.6:
	s_load_dword s6, s[0:1], 0x10
                                        ; implicit-def: $vgpr1
	s_waitcnt lgkmcnt(0)
	v_cmp_gt_i32_e32 vcc, s6, v28
	s_and_saveexec_b64 s[6:7], vcc
	s_xor_b64 s[6:7], exec, s[6:7]
	s_cbranch_execz .LBB114_8
; %bb.7:
	v_ashrrev_i32_e32 v29, 31, v28
	v_lshl_add_u64 v[2:3], v[28:29], 2, s[4:5]
	global_load_dword v1, v[2:3], off
	s_mov_b64 s[2:3], exec
	s_waitcnt vmcnt(0)
	v_subrev_u32_e32 v1, s16, v1
.LBB114_8:
	s_or_b64 exec, exec, s[6:7]
	s_branch .LBB114_12
.LBB114_9:
	v_cmp_gt_i32_e32 vcc, s18, v28
	s_andn2_b64 s[2:3], s[2:3], exec
	s_and_b64 s[4:5], vcc, exec
	s_or_b64 s[2:3], s[2:3], s[4:5]
	s_and_saveexec_b64 s[4:5], s[2:3]
	s_cbranch_execnz .LBB114_13
.LBB114_10:
	s_endpgm
.LBB114_11:
                                        ; implicit-def: $vgpr1
	s_cbranch_execnz .LBB114_9
.LBB114_12:
	v_mov_b32_e32 v28, v1
	s_and_saveexec_b64 s[4:5], s[2:3]
	s_cbranch_execz .LBB114_10
.LBB114_13:
	s_load_dwordx8 s[4:11], s[0:1], 0x20
	v_ashrrev_i32_e32 v29, 31, v28
	v_lshlrev_b64 v[2:3], 3, v[28:29]
	v_and_b32_e32 v30, 63, v0
	v_mov_b32_e32 v31, 0
	s_waitcnt lgkmcnt(0)
	v_lshl_add_u64 v[4:5], s[4:5], 0, v[2:3]
	s_cmp_eq_u64 s[6:7], 0
	v_lshl_add_u64 v[2:3], s[6:7], 0, v[2:3]
	global_load_dwordx2 v[42:43], v[4:5], off
	v_lshl_add_u64 v[4:5], v[4:5], 0, 8
	s_cselect_b64 vcc, -1, 0
	v_cndmask_b32_e32 v3, v3, v5, vcc
	v_cndmask_b32_e32 v2, v2, v4, vcc
	global_load_dwordx2 v[2:3], v[2:3], off
	s_load_dwordx2 s[4:5], s[0:1], 0x40
	s_cmp_eq_u32 s19, 1
	s_waitcnt vmcnt(1)
	v_subrev_co_u32_e32 v0, vcc, s16, v42
	s_nop 1
	v_subbrev_co_u32_e32 v1, vcc, 0, v43, vcc
	v_lshl_add_u64 v[32:33], v[0:1], 0, v[30:31]
	s_waitcnt vmcnt(0)
	v_subrev_co_u32_e32 v34, vcc, s16, v2
	v_lshlrev_b64 v[0:1], 5, v[32:33]
	s_nop 0
	v_subbrev_co_u32_e32 v35, vcc, 0, v3, vcc
	v_lshl_add_u64 v[36:37], s[10:11], 0, v[0:1]
	v_cmp_lt_i64_e64 s[2:3], v[32:33], v[34:35]
	s_cbranch_scc1 .LBB114_25
; %bb.14:
	v_mov_b32_e32 v38, v31
	v_mov_b32_e32 v41, v31
	;; [unrolled: 1-line block ×3, first 2 shown]
	s_and_saveexec_b64 s[6:7], s[2:3]
	s_cbranch_execz .LBB114_24
; %bb.15:
	v_or_b32_e32 v0, 64, v30
	v_subrev_co_u32_e32 v0, vcc, s16, v0
	v_not_b32_e32 v3, v43
	s_nop 0
	v_subb_co_u32_e64 v1, s[10:11], 0, 0, vcc
	v_lshl_add_u64 v[0:1], v[0:1], 0, v[42:43]
	v_cmp_gt_i64_e32 vcc, v[0:1], v[34:35]
	v_not_b32_e32 v2, v42
	v_mov_b32_e32 v38, 0
	v_cndmask_b32_e32 v1, v35, v1, vcc
	v_cndmask_b32_e32 v0, v34, v0, vcc
	v_sub_co_u32_e32 v4, vcc, s16, v30
	v_mov_b32_e32 v39, v38
	s_nop 0
	v_subb_co_u32_e64 v5, s[10:11], 0, 0, vcc
	v_lshl_add_u64 v[2:3], v[4:5], 0, v[2:3]
	v_lshl_add_u64 v[0:1], v[2:3], 0, v[0:1]
	v_and_b32_e32 v2, 0xc0, v0
	v_mov_b32_e32 v3, v38
	s_mov_b64 s[10:11], 0xc0
	v_cmp_ne_u64_e32 vcc, s[10:11], v[2:3]
	v_mov_b64_e32 v[40:41], v[38:39]
	v_mov_b64_e32 v[44:45], v[32:33]
	;; [unrolled: 1-line block ×3, first 2 shown]
	s_and_saveexec_b64 s[10:11], vcc
	s_cbranch_execz .LBB114_19
; %bb.16:
	v_lshrrev_b32_e32 v2, 6, v0
	v_add_u32_e32 v2, 1, v2
	v_and_b32_e32 v2, 3, v2
	v_sub_co_u32_e32 v4, vcc, 0, v2
	s_mov_b64 s[18:19], 0
	s_nop 0
	v_subb_co_u32_e64 v5, s[20:21], 0, 0, vcc
	v_lshl_add_u64 v[6:7], v[32:33], 2, s[8:9]
	s_mov_b64 s[20:21], 0x800
	s_mov_b64 s[22:23], 0x100
	v_mov_b64_e32 v[2:3], v[36:37]
	v_mov_b64_e32 v[44:45], v[32:33]
	v_mov_b32_e32 v39, v38
	v_mov_b32_e32 v40, v38
	;; [unrolled: 1-line block ×3, first 2 shown]
.LBB114_17:                             ; =>This Inner Loop Header: Depth=1
	global_load_dword v16, v[6:7], off
	global_load_dwordx4 v[8:11], v[2:3], off
	global_load_dwordx4 v[12:15], v[2:3], off offset:16
	v_lshl_add_u64 v[4:5], v[4:5], 0, 1
	v_cmp_eq_u64_e32 vcc, 0, v[4:5]
	v_lshl_add_u64 v[2:3], v[2:3], 0, s[20:21]
	v_lshl_add_u64 v[44:45], v[44:45], 0, 64
	;; [unrolled: 1-line block ×3, first 2 shown]
	s_or_b64 s[18:19], vcc, s[18:19]
	s_waitcnt vmcnt(2)
	v_subrev_u32_e32 v16, s16, v16
	v_lshlrev_b32_e32 v16, 2, v16
	v_ashrrev_i32_e32 v17, 31, v16
	s_waitcnt lgkmcnt(0)
	v_lshl_add_u64 v[16:17], v[16:17], 1, s[4:5]
	global_load_dwordx2 v[16:17], v[16:17], off
	s_waitcnt vmcnt(2)
	v_lshlrev_b32_e32 v19, 16, v10
	v_lshlrev_b32_e32 v18, 16, v8
	v_and_b32_e32 v21, 0xffff0000, v10
	v_and_b32_e32 v20, 0xffff0000, v8
	v_lshlrev_b32_e32 v22, 16, v9
	v_and_b32_e32 v10, 0xffff0000, v9
	s_waitcnt vmcnt(1)
	v_lshlrev_b32_e32 v9, 16, v14
	v_lshlrev_b32_e32 v8, 16, v12
	v_and_b32_e32 v24, 0xffff0000, v12
	v_and_b32_e32 v25, 0xffff0000, v14
	v_lshlrev_b32_e32 v23, 16, v11
	v_lshlrev_b32_e32 v27, 16, v15
	;; [unrolled: 1-line block ×3, first 2 shown]
	v_and_b32_e32 v14, 0xffff0000, v13
	v_and_b32_e32 v11, 0xffff0000, v11
	v_and_b32_e32 v15, 0xffff0000, v15
	s_waitcnt vmcnt(0)
	v_lshlrev_b32_e32 v12, 16, v16
	v_and_b32_e32 v16, 0xffff0000, v16
	v_pk_fma_f32 v[18:19], v[18:19], v[12:13], v[40:41] op_sel_hi:[1,0,1]
	v_pk_fma_f32 v[8:9], v[8:9], v[12:13], v[38:39] op_sel_hi:[1,0,1]
	v_lshlrev_b32_e32 v46, 16, v17
	v_pk_fma_f32 v[12:13], v[20:21], v[16:17], v[18:19] op_sel_hi:[1,0,1]
	v_pk_fma_f32 v[8:9], v[24:25], v[16:17], v[8:9] op_sel_hi:[1,0,1]
	v_and_b32_e32 v48, 0xffff0000, v17
	v_pk_fma_f32 v[12:13], v[22:23], v[46:47], v[12:13] op_sel_hi:[1,0,1]
	v_pk_fma_f32 v[8:9], v[26:27], v[46:47], v[8:9] op_sel_hi:[1,0,1]
	v_pk_fma_f32 v[40:41], v[10:11], v[48:49], v[12:13] op_sel_hi:[1,0,1]
	v_pk_fma_f32 v[38:39], v[14:15], v[48:49], v[8:9] op_sel_hi:[1,0,1]
	s_andn2_b64 exec, exec, s[18:19]
	s_cbranch_execnz .LBB114_17
; %bb.18:
	s_or_b64 exec, exec, s[18:19]
.LBB114_19:
	s_or_b64 exec, exec, s[10:11]
	s_mov_b64 s[10:11], 0xbf
	v_cmp_lt_u64_e32 vcc, s[10:11], v[0:1]
	s_and_saveexec_b64 s[10:11], vcc
	s_cbranch_execz .LBB114_23
; %bb.20:
	s_mov_b64 s[18:19], 0x1000
	v_lshl_add_u64 v[46:47], v[2:3], 0, s[18:19]
	v_lshl_add_u64 v[0:1], v[44:45], 2, s[8:9]
	s_mov_b64 s[18:19], 0x200
	v_lshl_add_u64 v[48:49], v[0:1], 0, s[18:19]
	s_mov_b64 s[18:19], 0
	s_mov_b64 s[20:21], 0x100
	;; [unrolled: 1-line block ×4, first 2 shown]
.LBB114_21:                             ; =>This Inner Loop Header: Depth=1
	global_load_dword v29, v[48:49], off offset:-512
	global_load_dwordx4 v[4:7], v[46:47], off offset:-4096
	global_load_dwordx4 v[8:11], v[46:47], off offset:-4080
	global_load_dword v31, v[48:49], off offset:-256
	global_load_dwordx4 v[12:15], v[46:47], off offset:-2048
	global_load_dwordx4 v[0:3], v[46:47], off offset:-2032
	global_load_dword v66, v[48:49], off
	global_load_dword v67, v[48:49], off offset:256
	global_load_dwordx4 v[16:19], v[46:47], off offset:2048
	global_load_dwordx4 v[20:23], v[46:47], off
	global_load_dwordx4 v[24:27], v[46:47], off offset:2064
	global_load_dwordx4 v[50:53], v[46:47], off offset:16
	v_lshl_add_u64 v[44:45], v[44:45], 0, s[20:21]
	v_cmp_ge_i64_e32 vcc, v[44:45], v[34:35]
	v_lshl_add_u64 v[46:47], v[46:47], 0, s[22:23]
	v_lshl_add_u64 v[48:49], v[48:49], 0, s[24:25]
	s_or_b64 s[18:19], vcc, s[18:19]
	s_waitcnt vmcnt(11)
	v_subrev_u32_e32 v29, s16, v29
	v_lshlrev_b32_e32 v72, 2, v29
	s_waitcnt vmcnt(10)
	v_lshlrev_b32_e32 v55, 16, v6
	s_waitcnt vmcnt(8)
	v_subrev_u32_e32 v31, s16, v31
	v_lshlrev_b32_e32 v74, 2, v31
	v_ashrrev_i32_e32 v75, 31, v74
	s_waitcnt vmcnt(5)
	v_subrev_u32_e32 v73, s16, v66
	s_waitcnt vmcnt(4)
	v_subrev_u32_e32 v67, s16, v67
	v_lshlrev_b32_e32 v76, 2, v73
	v_lshlrev_b32_e32 v78, 2, v67
	v_ashrrev_i32_e32 v73, 31, v72
	v_ashrrev_i32_e32 v77, 31, v76
	;; [unrolled: 1-line block ×3, first 2 shown]
	s_waitcnt lgkmcnt(0)
	v_lshl_add_u64 v[72:73], v[72:73], 1, s[4:5]
	v_lshl_add_u64 v[74:75], v[74:75], 1, s[4:5]
	;; [unrolled: 1-line block ×4, first 2 shown]
	global_load_dwordx2 v[80:81], v[72:73], off
	global_load_dwordx2 v[82:83], v[74:75], off
	;; [unrolled: 1-line block ×4, first 2 shown]
	v_lshlrev_b32_e32 v54, 16, v4
	v_and_b32_e32 v57, 0xffff0000, v6
	v_and_b32_e32 v56, 0xffff0000, v4
	v_lshlrev_b32_e32 v58, 16, v5
	v_and_b32_e32 v6, 0xffff0000, v5
	v_lshlrev_b32_e32 v5, 16, v10
	v_lshlrev_b32_e32 v4, 16, v8
	v_and_b32_e32 v61, 0xffff0000, v10
	v_lshlrev_b32_e32 v62, 16, v9
	v_and_b32_e32 v10, 0xffff0000, v9
	v_lshlrev_b32_e32 v9, 16, v14
	v_lshlrev_b32_e32 v64, 16, v0
	v_and_b32_e32 v69, 0xffff0000, v14
	v_lshlrev_b32_e32 v70, 16, v13
	v_and_b32_e32 v14, 0xffff0000, v13
	s_waitcnt vmcnt(6)
	v_lshlrev_b32_e32 v13, 16, v22
	v_and_b32_e32 v73, 0xffff0000, v22
	v_lshlrev_b32_e32 v74, 16, v21
	v_and_b32_e32 v22, 0xffff0000, v21
	;; [unrolled: 2-line block ×3, first 2 shown]
	v_and_b32_e32 v18, 0xffff0000, v0
	s_waitcnt vmcnt(4)
	v_lshlrev_b32_e32 v0, 16, v50
	v_and_b32_e32 v90, 0xffff0000, v50
	v_lshlrev_b32_e32 v50, 16, v24
	v_and_b32_e32 v94, 0xffff0000, v24
	v_and_b32_e32 v60, 0xffff0000, v8
	v_lshlrev_b32_e32 v65, 16, v2
	v_lshlrev_b32_e32 v79, 16, v19
	v_and_b32_e32 v67, 0xffff0000, v19
	v_and_b32_e32 v19, 0xffff0000, v2
	v_lshlrev_b32_e32 v88, 16, v1
	v_and_b32_e32 v2, 0xffff0000, v1
	v_lshlrev_b32_e32 v1, 16, v52
	;; [unrolled: 2-line block ×5, first 2 shown]
	v_lshlrev_b32_e32 v63, 16, v11
	v_and_b32_e32 v7, 0xffff0000, v7
	v_and_b32_e32 v11, 0xffff0000, v11
	v_lshlrev_b32_e32 v8, 16, v12
	v_and_b32_e32 v68, 0xffff0000, v12
	v_lshlrev_b32_e32 v71, 16, v15
	v_lshlrev_b32_e32 v89, 16, v3
	v_and_b32_e32 v15, 0xffff0000, v15
	v_and_b32_e32 v3, 0xffff0000, v3
	v_lshlrev_b32_e32 v12, 16, v20
	v_and_b32_e32 v72, 0xffff0000, v20
	v_lshlrev_b32_e32 v75, 16, v23
	v_lshlrev_b32_e32 v93, 16, v53
	v_and_b32_e32 v23, 0xffff0000, v23
	v_and_b32_e32 v53, 0xffff0000, v53
	v_lshlrev_b32_e32 v20, 16, v16
	v_and_b32_e32 v76, 0xffff0000, v16
	v_lshlrev_b32_e32 v78, 16, v17
	v_lshlrev_b32_e32 v97, 16, v27
	v_lshlrev_b32_e32 v96, 16, v25
	v_and_b32_e32 v66, 0xffff0000, v17
	v_and_b32_e32 v16, 0xffff0000, v25
	;; [unrolled: 1-line block ×3, first 2 shown]
	s_waitcnt vmcnt(3)
	v_lshlrev_b32_e32 v24, 16, v80
	v_and_b32_e32 v26, 0xffff0000, v80
	v_pk_fma_f32 v[40:41], v[54:55], v[24:25], v[40:41] op_sel_hi:[1,0,1]
	v_pk_fma_f32 v[4:5], v[4:5], v[24:25], v[38:39] op_sel_hi:[1,0,1]
	v_lshlrev_b32_e32 v80, 16, v81
	v_pk_fma_f32 v[40:41], v[56:57], v[26:27], v[40:41] op_sel_hi:[1,0,1]
	v_pk_fma_f32 v[4:5], v[60:61], v[26:27], v[4:5] op_sel_hi:[1,0,1]
	v_and_b32_e32 v98, 0xffff0000, v81
	v_pk_fma_f32 v[40:41], v[58:59], v[80:81], v[40:41] op_sel_hi:[1,0,1]
	v_pk_fma_f32 v[4:5], v[62:63], v[80:81], v[4:5] op_sel_hi:[1,0,1]
	s_waitcnt vmcnt(2)
	v_lshlrev_b32_e32 v100, 16, v82
	v_pk_fma_f32 v[6:7], v[6:7], v[98:99], v[40:41] op_sel_hi:[1,0,1]
	v_pk_fma_f32 v[4:5], v[10:11], v[98:99], v[4:5] op_sel_hi:[1,0,1]
	v_and_b32_e32 v54, 0xffff0000, v82
	v_pk_fma_f32 v[6:7], v[8:9], v[100:101], v[6:7] op_sel_hi:[1,0,1]
	v_pk_fma_f32 v[4:5], v[64:65], v[100:101], v[4:5] op_sel_hi:[1,0,1]
	v_lshlrev_b32_e32 v24, 16, v83
	v_pk_fma_f32 v[6:7], v[68:69], v[54:55], v[6:7] op_sel_hi:[1,0,1]
	v_pk_fma_f32 v[4:5], v[18:19], v[54:55], v[4:5] op_sel_hi:[1,0,1]
	v_and_b32_e32 v38, 0xffff0000, v83
	v_pk_fma_f32 v[6:7], v[70:71], v[24:25], v[6:7] op_sel_hi:[1,0,1]
	v_pk_fma_f32 v[4:5], v[88:89], v[24:25], v[4:5] op_sel_hi:[1,0,1]
	s_waitcnt vmcnt(1)
	v_lshlrev_b32_e32 v82, 16, v84
	v_pk_fma_f32 v[6:7], v[14:15], v[38:39], v[6:7] op_sel_hi:[1,0,1]
	v_pk_fma_f32 v[2:3], v[2:3], v[38:39], v[4:5] op_sel_hi:[1,0,1]
	v_and_b32_e32 v56, 0xffff0000, v84
	v_pk_fma_f32 v[4:5], v[12:13], v[82:83], v[6:7] op_sel_hi:[1,0,1]
	v_pk_fma_f32 v[0:1], v[0:1], v[82:83], v[2:3] op_sel_hi:[1,0,1]
	v_lshlrev_b32_e32 v26, 16, v85
	v_pk_fma_f32 v[2:3], v[72:73], v[56:57], v[4:5] op_sel_hi:[1,0,1]
	v_pk_fma_f32 v[0:1], v[90:91], v[56:57], v[0:1] op_sel_hi:[1,0,1]
	v_and_b32_e32 v60, 0xffff0000, v85
	v_pk_fma_f32 v[2:3], v[74:75], v[26:27], v[2:3] op_sel_hi:[1,0,1]
	v_pk_fma_f32 v[0:1], v[92:93], v[26:27], v[0:1] op_sel_hi:[1,0,1]
	s_waitcnt vmcnt(0)
	v_lshlrev_b32_e32 v84, 16, v86
	v_pk_fma_f32 v[2:3], v[22:23], v[60:61], v[2:3] op_sel_hi:[1,0,1]
	v_pk_fma_f32 v[0:1], v[52:53], v[60:61], v[0:1] op_sel_hi:[1,0,1]
	v_and_b32_e32 v58, 0xffff0000, v86
	v_pk_fma_f32 v[2:3], v[20:21], v[84:85], v[2:3] op_sel_hi:[1,0,1]
	v_pk_fma_f32 v[0:1], v[50:51], v[84:85], v[0:1] op_sel_hi:[1,0,1]
	v_lshlrev_b32_e32 v62, 16, v87
	v_pk_fma_f32 v[2:3], v[76:77], v[58:59], v[2:3] op_sel_hi:[1,0,1]
	v_pk_fma_f32 v[0:1], v[94:95], v[58:59], v[0:1] op_sel_hi:[1,0,1]
	v_and_b32_e32 v80, 0xffff0000, v87
	v_pk_fma_f32 v[2:3], v[78:79], v[62:63], v[2:3] op_sel_hi:[1,0,1]
	v_pk_fma_f32 v[0:1], v[96:97], v[62:63], v[0:1] op_sel_hi:[1,0,1]
	;; [unrolled: 1-line block ×4, first 2 shown]
	s_andn2_b64 exec, exec, s[18:19]
	s_cbranch_execnz .LBB114_21
; %bb.22:
	s_or_b64 exec, exec, s[18:19]
.LBB114_23:
	s_or_b64 exec, exec, s[10:11]
	v_mov_b32_e32 v31, v39
.LBB114_24:
	s_or_b64 exec, exec, s[6:7]
	v_mov_b32_e32 v39, v31
	s_cbranch_execz .LBB114_26
	s_branch .LBB114_37
.LBB114_25:
                                        ; implicit-def: $vgpr39
                                        ; implicit-def: $vgpr41
.LBB114_26:
	v_mov_b32_e32 v39, 0
	v_mov_b32_e32 v38, 0
	;; [unrolled: 1-line block ×4, first 2 shown]
	s_and_saveexec_b64 s[6:7], s[2:3]
	s_cbranch_execz .LBB114_36
; %bb.27:
	v_or_b32_e32 v0, 64, v30
	v_subrev_co_u32_e32 v0, vcc, s16, v0
	v_not_b32_e32 v3, v43
	s_nop 0
	v_subb_co_u32_e64 v1, s[2:3], 0, 0, vcc
	v_lshl_add_u64 v[0:1], v[0:1], 0, v[42:43]
	v_cmp_gt_i64_e32 vcc, v[0:1], v[34:35]
	v_not_b32_e32 v2, v42
	v_mov_b32_e32 v38, 0
	v_cndmask_b32_e32 v1, v35, v1, vcc
	v_cndmask_b32_e32 v0, v34, v0, vcc
	v_sub_co_u32_e32 v4, vcc, s16, v30
	v_mov_b32_e32 v39, v38
	s_nop 0
	v_subb_co_u32_e64 v5, s[2:3], 0, 0, vcc
	v_lshl_add_u64 v[2:3], v[4:5], 0, v[2:3]
	v_lshl_add_u64 v[0:1], v[2:3], 0, v[0:1]
	v_and_b32_e32 v2, 0xc0, v0
	v_mov_b32_e32 v3, v38
	s_mov_b64 s[2:3], 0xc0
	v_cmp_ne_u64_e32 vcc, s[2:3], v[2:3]
	v_mov_b64_e32 v[40:41], v[38:39]
	s_and_saveexec_b64 s[2:3], vcc
	s_cbranch_execz .LBB114_31
; %bb.28:
	v_lshrrev_b32_e32 v2, 6, v0
	v_add_u32_e32 v2, 1, v2
	v_and_b32_e32 v4, 3, v2
	v_sub_co_u32_e32 v4, vcc, 0, v4
	v_lshl_add_u64 v[2:3], v[32:33], 2, s[8:9]
	s_nop 0
	v_subb_co_u32_e64 v5, s[18:19], 0, 0, vcc
	s_mov_b64 s[10:11], 0
	s_mov_b64 s[18:19], 0x800
	;; [unrolled: 1-line block ×3, first 2 shown]
	v_mov_b32_e32 v39, v38
	v_mov_b32_e32 v40, v38
	;; [unrolled: 1-line block ×3, first 2 shown]
.LBB114_29:                             ; =>This Inner Loop Header: Depth=1
	global_load_dword v10, v[2:3], off
	global_load_dwordx4 v[6:9], v[36:37], off
	v_lshl_add_u64 v[4:5], v[4:5], 0, 1
	v_cmp_eq_u64_e32 vcc, 0, v[4:5]
	v_lshl_add_u64 v[32:33], v[32:33], 0, 64
	v_lshl_add_u64 v[2:3], v[2:3], 0, s[20:21]
	s_or_b64 s[10:11], vcc, s[10:11]
	s_waitcnt vmcnt(1)
	v_subrev_u32_e32 v10, s16, v10
	v_lshlrev_b32_e32 v10, 2, v10
	v_ashrrev_i32_e32 v11, 31, v10
	s_waitcnt lgkmcnt(0)
	v_lshl_add_u64 v[14:15], v[10:11], 1, s[4:5]
	global_load_dwordx2 v[16:17], v[14:15], off
	global_load_dwordx4 v[10:13], v[36:37], off offset:16
	s_waitcnt vmcnt(2)
	v_and_b32_e32 v15, 0xffff0000, v6
	v_lshlrev_b32_e32 v14, 16, v6
	v_and_b32_e32 v19, 0xffff0000, v8
	v_lshlrev_b32_e32 v18, 16, v8
	;; [unrolled: 2-line block ×4, first 2 shown]
	v_lshl_add_u64 v[36:37], v[36:37], 0, s[18:19]
	s_waitcnt vmcnt(1)
	v_lshlrev_b32_e32 v26, 16, v17
	s_waitcnt vmcnt(0)
	v_and_b32_e32 v21, 0xffff0000, v10
	v_lshlrev_b32_e32 v20, 16, v10
	v_and_b32_e32 v9, 0xffff0000, v11
	v_lshlrev_b32_e32 v8, 16, v11
	;; [unrolled: 2-line block ×3, first 2 shown]
	v_lshlrev_b32_e32 v12, 16, v16
	v_and_b32_e32 v25, 0xffff0000, v13
	v_lshlrev_b32_e32 v24, 16, v13
	v_and_b32_e32 v16, 0xffff0000, v16
	v_pk_fma_f32 v[14:15], v[14:15], v[12:13], v[40:41] op_sel_hi:[1,0,1]
	v_pk_fma_f32 v[12:13], v[22:23], v[12:13], v[38:39] op_sel_hi:[1,0,1]
	;; [unrolled: 1-line block ×4, first 2 shown]
	v_and_b32_e32 v42, 0xffff0000, v17
	v_pk_fma_f32 v[12:13], v[20:21], v[26:27], v[14:15] op_sel_hi:[1,0,1]
	v_pk_fma_f32 v[6:7], v[8:9], v[26:27], v[6:7] op_sel_hi:[1,0,1]
	;; [unrolled: 1-line block ×4, first 2 shown]
	s_andn2_b64 exec, exec, s[10:11]
	s_cbranch_execnz .LBB114_29
; %bb.30:
	s_or_b64 exec, exec, s[10:11]
.LBB114_31:
	s_or_b64 exec, exec, s[2:3]
	s_mov_b64 s[2:3], 0xbf
	v_cmp_lt_u64_e32 vcc, s[2:3], v[0:1]
	s_and_saveexec_b64 s[2:3], vcc
	s_cbranch_execz .LBB114_35
; %bb.32:
	v_lshl_add_u64 v[0:1], v[32:33], 2, s[8:9]
	s_mov_b64 s[8:9], 0x200
	v_lshl_add_u64 v[16:17], v[0:1], 0, s[8:9]
	s_mov_b64 s[8:9], 0
	s_mov_b64 s[10:11], 0x1000
	s_movk_i32 s13, 0x1000
	s_mov_b64 s[18:19], 0x100
	s_mov_b64 s[20:21], 0x400
	s_mov_b64 s[22:23], 0x2000
.LBB114_33:                             ; =>This Inner Loop Header: Depth=1
	global_load_dwordx4 v[0:3], v[36:37], off
	global_load_dwordx4 v[4:7], v[36:37], off offset:16
	global_load_dwordx4 v[8:11], v[36:37], off offset:2048
	;; [unrolled: 1-line block ×3, first 2 shown]
	global_load_dword v29, v[16:17], off offset:-512
	global_load_dword v31, v[16:17], off offset:-256
	global_load_dword v66, v[16:17], off
	global_load_dword v67, v[16:17], off offset:256
	v_add_co_u32_e32 v50, vcc, s13, v36
	v_lshl_add_u64 v[26:27], v[36:37], 0, s[10:11]
	s_nop 0
	v_addc_co_u32_e32 v51, vcc, 0, v37, vcc
	global_load_dwordx4 v[18:21], v[50:51], off
	global_load_dwordx4 v[22:25], v[26:27], off offset:2064
	global_load_dwordx4 v[42:45], v[26:27], off offset:16
	;; [unrolled: 1-line block ×3, first 2 shown]
	v_lshl_add_u64 v[32:33], v[32:33], 0, s[18:19]
	v_cmp_ge_i64_e32 vcc, v[32:33], v[34:35]
	v_lshl_add_u64 v[16:17], v[16:17], 0, s[20:21]
	v_lshl_add_u64 v[36:37], v[36:37], 0, s[22:23]
	s_or_b64 s[8:9], vcc, s[8:9]
	s_waitcnt vmcnt(11)
	v_and_b32_e32 v27, 0xffff0000, v0
	v_lshlrev_b32_e32 v26, 16, v0
	v_and_b32_e32 v51, 0xffff0000, v2
	v_lshlrev_b32_e32 v50, 16, v2
	s_waitcnt vmcnt(10)
	v_and_b32_e32 v53, 0xffff0000, v4
	v_lshlrev_b32_e32 v52, 16, v4
	v_and_b32_e32 v55, 0xffff0000, v1
	v_lshlrev_b32_e32 v54, 16, v1
	;; [unrolled: 2-line block ×6, first 2 shown]
	s_waitcnt vmcnt(9)
	v_and_b32_e32 v7, 0xffff0000, v8
	v_lshlrev_b32_e32 v6, 16, v8
	v_and_b32_e32 v59, 0xffff0000, v9
	v_lshlrev_b32_e32 v58, 16, v9
	;; [unrolled: 2-line block ×3, first 2 shown]
	s_waitcnt vmcnt(7)
	v_subrev_u32_e32 v10, s16, v29
	v_and_b32_e32 v61, 0xffff0000, v12
	v_lshlrev_b32_e32 v60, 16, v12
	v_and_b32_e32 v63, 0xffff0000, v14
	v_lshlrev_b32_e32 v62, 16, v14
	;; [unrolled: 2-line block ×3, first 2 shown]
	s_waitcnt vmcnt(6)
	v_subrev_u32_e32 v11, s16, v31
	s_waitcnt vmcnt(5)
	v_subrev_u32_e32 v12, s16, v66
	;; [unrolled: 2-line block ×3, first 2 shown]
	v_lshlrev_b32_e32 v10, 2, v10
	v_lshlrev_b32_e32 v66, 2, v11
	v_lshlrev_b32_e32 v68, 2, v12
	v_lshlrev_b32_e32 v70, 2, v14
	v_ashrrev_i32_e32 v11, 31, v10
	v_ashrrev_i32_e32 v67, 31, v66
	;; [unrolled: 1-line block ×4, first 2 shown]
	s_waitcnt lgkmcnt(0)
	v_lshl_add_u64 v[10:11], v[10:11], 1, s[4:5]
	v_lshl_add_u64 v[66:67], v[66:67], 1, s[4:5]
	;; [unrolled: 1-line block ×4, first 2 shown]
	global_load_dwordx2 v[72:73], v[10:11], off
	global_load_dwordx2 v[74:75], v[66:67], off
	;; [unrolled: 1-line block ×4, first 2 shown]
	v_and_b32_e32 v11, 0xffff0000, v13
	v_lshlrev_b32_e32 v10, 16, v13
	v_and_b32_e32 v13, 0xffff0000, v15
	v_lshlrev_b32_e32 v12, 16, v15
	s_waitcnt vmcnt(7)
	v_and_b32_e32 v15, 0xffff0000, v18
	v_lshlrev_b32_e32 v14, 16, v18
	v_and_b32_e32 v67, 0xffff0000, v20
	v_lshlrev_b32_e32 v66, 16, v20
	v_and_b32_e32 v69, 0xffff0000, v19
	v_lshlrev_b32_e32 v68, 16, v19
	v_and_b32_e32 v19, 0xffff0000, v21
	v_lshlrev_b32_e32 v18, 16, v21
	s_waitcnt vmcnt(5)
	v_and_b32_e32 v21, 0xffff0000, v42
	v_lshlrev_b32_e32 v20, 16, v42
	v_and_b32_e32 v71, 0xffff0000, v44
	v_lshlrev_b32_e32 v70, 16, v44
	;; [unrolled: 9-line block ×3, first 2 shown]
	v_and_b32_e32 v85, 0xffff0000, v47
	v_lshlrev_b32_e32 v84, 16, v47
	v_and_b32_e32 v47, 0xffff0000, v49
	v_lshlrev_b32_e32 v46, 16, v49
	;; [unrolled: 2-line block ×6, first 2 shown]
	s_waitcnt vmcnt(3)
	v_lshlrev_b32_e32 v24, 16, v72
	v_and_b32_e32 v72, 0xffff0000, v72
	v_pk_fma_f32 v[26:27], v[26:27], v[24:25], v[40:41] op_sel_hi:[1,0,1]
	v_pk_fma_f32 v[24:25], v[54:55], v[24:25], v[38:39] op_sel_hi:[1,0,1]
	v_lshlrev_b32_e32 v90, 16, v73
	v_pk_fma_f32 v[26:27], v[50:51], v[72:73], v[26:27] op_sel_hi:[1,0,1]
	v_pk_fma_f32 v[0:1], v[0:1], v[72:73], v[24:25] op_sel_hi:[1,0,1]
	v_and_b32_e32 v92, 0xffff0000, v73
	v_pk_fma_f32 v[26:27], v[52:53], v[90:91], v[26:27] op_sel_hi:[1,0,1]
	v_pk_fma_f32 v[0:1], v[2:3], v[90:91], v[0:1] op_sel_hi:[1,0,1]
	s_waitcnt vmcnt(2)
	v_lshlrev_b32_e32 v94, 16, v74
	v_pk_fma_f32 v[4:5], v[4:5], v[92:93], v[26:27] op_sel_hi:[1,0,1]
	v_pk_fma_f32 v[0:1], v[56:57], v[92:93], v[0:1] op_sel_hi:[1,0,1]
	v_and_b32_e32 v40, 0xffff0000, v74
	v_pk_fma_f32 v[4:5], v[6:7], v[94:95], v[4:5] op_sel_hi:[1,0,1]
	v_pk_fma_f32 v[0:1], v[58:59], v[94:95], v[0:1] op_sel_hi:[1,0,1]
	v_lshlrev_b32_e32 v38, 16, v75
	v_pk_fma_f32 v[4:5], v[8:9], v[40:41], v[4:5] op_sel_hi:[1,0,1]
	v_pk_fma_f32 v[0:1], v[64:65], v[40:41], v[0:1] op_sel_hi:[1,0,1]
	v_and_b32_e32 v54, 0xffff0000, v75
	v_pk_fma_f32 v[4:5], v[60:61], v[38:39], v[4:5] op_sel_hi:[1,0,1]
	v_pk_fma_f32 v[0:1], v[10:11], v[38:39], v[0:1] op_sel_hi:[1,0,1]
	s_waitcnt vmcnt(1)
	v_lshlrev_b32_e32 v74, 16, v76
	v_pk_fma_f32 v[4:5], v[62:63], v[54:55], v[4:5] op_sel_hi:[1,0,1]
	v_pk_fma_f32 v[0:1], v[12:13], v[54:55], v[0:1] op_sel_hi:[1,0,1]
	;; [unrolled: 13-line block ×3, first 2 shown]
	v_and_b32_e32 v52, 0xffff0000, v78
	v_pk_fma_f32 v[4:5], v[44:45], v[76:77], v[4:5] op_sel_hi:[1,0,1]
	v_pk_fma_f32 v[0:1], v[84:85], v[76:77], v[0:1] op_sel_hi:[1,0,1]
	v_lshlrev_b32_e32 v2, 16, v79
	v_pk_fma_f32 v[4:5], v[82:83], v[52:53], v[4:5] op_sel_hi:[1,0,1]
	v_pk_fma_f32 v[0:1], v[46:47], v[52:53], v[0:1] op_sel_hi:[1,0,1]
	v_and_b32_e32 v78, 0xffff0000, v79
	v_pk_fma_f32 v[4:5], v[48:49], v[2:3], v[4:5] op_sel_hi:[1,0,1]
	v_pk_fma_f32 v[0:1], v[86:87], v[2:3], v[0:1] op_sel_hi:[1,0,1]
	;; [unrolled: 1-line block ×4, first 2 shown]
	s_andn2_b64 exec, exec, s[8:9]
	s_cbranch_execnz .LBB114_33
; %bb.34:
	s_or_b64 exec, exec, s[8:9]
.LBB114_35:
	s_or_b64 exec, exec, s[2:3]
.LBB114_36:
	s_or_b64 exec, exec, s[6:7]
.LBB114_37:
	v_mov_b32_dpp v0, v40 row_shr:1 row_mask:0xf bank_mask:0xf
	v_mov_b32_dpp v1, v41 row_shr:1 row_mask:0xf bank_mask:0xf
	;; [unrolled: 1-line block ×4, first 2 shown]
	v_pk_add_f32 v[0:1], v[40:41], v[0:1]
	v_pk_add_f32 v[4:5], v[38:39], v[4:5]
	v_cmp_eq_u32_e32 vcc, 63, v30
	v_mov_b32_dpp v2, v0 row_shr:2 row_mask:0xf bank_mask:0xf
	v_mov_b32_dpp v3, v1 row_shr:2 row_mask:0xf bank_mask:0xf
	v_mov_b32_dpp v6, v4 row_shr:2 row_mask:0xf bank_mask:0xf
	v_mov_b32_dpp v7, v5 row_shr:2 row_mask:0xf bank_mask:0xf
	v_pk_add_f32 v[0:1], v[0:1], v[2:3]
	v_pk_add_f32 v[4:5], v[4:5], v[6:7]
	s_nop 0
	v_mov_b32_dpp v2, v0 row_shr:4 row_mask:0xf bank_mask:0xe
	v_mov_b32_dpp v3, v1 row_shr:4 row_mask:0xf bank_mask:0xe
	v_mov_b32_dpp v6, v4 row_shr:4 row_mask:0xf bank_mask:0xe
	v_mov_b32_dpp v7, v5 row_shr:4 row_mask:0xf bank_mask:0xe
	v_pk_add_f32 v[0:1], v[0:1], v[2:3]
	v_pk_add_f32 v[4:5], v[4:5], v[6:7]
	s_nop 0
	;; [unrolled: 7-line block ×3, first 2 shown]
	v_mov_b32_dpp v2, v0 row_bcast:15 row_mask:0xa bank_mask:0xf
	v_mov_b32_dpp v3, v1 row_bcast:15 row_mask:0xa bank_mask:0xf
	;; [unrolled: 1-line block ×4, first 2 shown]
	v_pk_add_f32 v[0:1], v[0:1], v[2:3]
	v_pk_add_f32 v[4:5], v[4:5], v[6:7]
	s_nop 0
	v_mov_b32_dpp v2, v0 row_bcast:31 row_mask:0xc bank_mask:0xf
	v_mov_b32_dpp v3, v1 row_bcast:31 row_mask:0xc bank_mask:0xf
	;; [unrolled: 1-line block ×4, first 2 shown]
	s_and_b64 exec, exec, vcc
	s_cbranch_execz .LBB114_10
; %bb.38:
	s_load_dwordx2 s[0:1], s[0:1], 0x50
	v_cmp_eq_f32_e64 s[2:3], s14, 0
	v_pk_add_f32 v[2:3], v[0:1], v[2:3]
	v_pk_add_f32 v[0:1], v[4:5], v[6:7]
	s_and_b64 vcc, exec, s[2:3]
	v_lshlrev_b32_e32 v4, 2, v28
	s_cbranch_vccz .LBB114_40
; %bb.39:
	v_ashrrev_i32_e32 v5, 31, v4
	s_waitcnt lgkmcnt(0)
	v_lshl_add_u64 v[10:11], v[4:5], 2, s[0:1]
	v_pk_mul_f32 v[6:7], s[12:13], v[2:3] op_sel_hi:[0,1]
	v_pk_mul_f32 v[8:9], s[12:13], v[0:1] op_sel_hi:[0,1]
	global_store_dwordx4 v[10:11], v[6:9], off
	s_cbranch_execnz .LBB114_10
	s_branch .LBB114_41
.LBB114_40:
.LBB114_41:
	v_ashrrev_i32_e32 v5, 31, v4
	s_waitcnt lgkmcnt(0)
	v_lshl_add_u64 v[8:9], v[4:5], 2, s[0:1]
	global_load_dwordx4 v[4:7], v[8:9], off
	v_pk_mul_f32 v[2:3], s[12:13], v[2:3] op_sel_hi:[0,1]
	v_pk_mul_f32 v[10:11], s[12:13], v[0:1] op_sel_hi:[0,1]
	s_waitcnt vmcnt(0)
	v_pk_fma_f32 v[0:1], s[14:15], v[4:5], v[2:3] op_sel_hi:[0,1,1]
	v_pk_fma_f32 v[2:3], s[14:15], v[6:7], v[10:11] op_sel_hi:[0,1,1]
	global_store_dwordx4 v[8:9], v[0:3], off
	s_endpgm
	.section	.rodata,"a",@progbits
	.p2align	6, 0x0
	.amdhsa_kernel _ZN9rocsparseL18bsrxmvn_4x4_kernelILj128ELj64Efli18rocsparse_bfloat16S1_fEEvT3_20rocsparse_direction_NS_24const_host_device_scalarIT1_EES2_PKS2_PKT2_SB_S8_PKT4_PKT5_S6_PT6_21rocsparse_index_base_b
		.amdhsa_group_segment_fixed_size 0
		.amdhsa_private_segment_fixed_size 0
		.amdhsa_kernarg_size 96
		.amdhsa_user_sgpr_count 2
		.amdhsa_user_sgpr_dispatch_ptr 0
		.amdhsa_user_sgpr_queue_ptr 0
		.amdhsa_user_sgpr_kernarg_segment_ptr 1
		.amdhsa_user_sgpr_dispatch_id 0
		.amdhsa_user_sgpr_kernarg_preload_length 0
		.amdhsa_user_sgpr_kernarg_preload_offset 0
		.amdhsa_user_sgpr_private_segment_size 0
		.amdhsa_uses_dynamic_stack 0
		.amdhsa_enable_private_segment 0
		.amdhsa_system_sgpr_workgroup_id_x 1
		.amdhsa_system_sgpr_workgroup_id_y 0
		.amdhsa_system_sgpr_workgroup_id_z 0
		.amdhsa_system_sgpr_workgroup_info 0
		.amdhsa_system_vgpr_workitem_id 0
		.amdhsa_next_free_vgpr 102
		.amdhsa_next_free_sgpr 26
		.amdhsa_accum_offset 104
		.amdhsa_reserve_vcc 1
		.amdhsa_float_round_mode_32 0
		.amdhsa_float_round_mode_16_64 0
		.amdhsa_float_denorm_mode_32 3
		.amdhsa_float_denorm_mode_16_64 3
		.amdhsa_dx10_clamp 1
		.amdhsa_ieee_mode 1
		.amdhsa_fp16_overflow 0
		.amdhsa_tg_split 0
		.amdhsa_exception_fp_ieee_invalid_op 0
		.amdhsa_exception_fp_denorm_src 0
		.amdhsa_exception_fp_ieee_div_zero 0
		.amdhsa_exception_fp_ieee_overflow 0
		.amdhsa_exception_fp_ieee_underflow 0
		.amdhsa_exception_fp_ieee_inexact 0
		.amdhsa_exception_int_div_zero 0
	.end_amdhsa_kernel
	.section	.text._ZN9rocsparseL18bsrxmvn_4x4_kernelILj128ELj64Efli18rocsparse_bfloat16S1_fEEvT3_20rocsparse_direction_NS_24const_host_device_scalarIT1_EES2_PKS2_PKT2_SB_S8_PKT4_PKT5_S6_PT6_21rocsparse_index_base_b,"axG",@progbits,_ZN9rocsparseL18bsrxmvn_4x4_kernelILj128ELj64Efli18rocsparse_bfloat16S1_fEEvT3_20rocsparse_direction_NS_24const_host_device_scalarIT1_EES2_PKS2_PKT2_SB_S8_PKT4_PKT5_S6_PT6_21rocsparse_index_base_b,comdat
.Lfunc_end114:
	.size	_ZN9rocsparseL18bsrxmvn_4x4_kernelILj128ELj64Efli18rocsparse_bfloat16S1_fEEvT3_20rocsparse_direction_NS_24const_host_device_scalarIT1_EES2_PKS2_PKT2_SB_S8_PKT4_PKT5_S6_PT6_21rocsparse_index_base_b, .Lfunc_end114-_ZN9rocsparseL18bsrxmvn_4x4_kernelILj128ELj64Efli18rocsparse_bfloat16S1_fEEvT3_20rocsparse_direction_NS_24const_host_device_scalarIT1_EES2_PKS2_PKT2_SB_S8_PKT4_PKT5_S6_PT6_21rocsparse_index_base_b
                                        ; -- End function
	.set _ZN9rocsparseL18bsrxmvn_4x4_kernelILj128ELj64Efli18rocsparse_bfloat16S1_fEEvT3_20rocsparse_direction_NS_24const_host_device_scalarIT1_EES2_PKS2_PKT2_SB_S8_PKT4_PKT5_S6_PT6_21rocsparse_index_base_b.num_vgpr, 102
	.set _ZN9rocsparseL18bsrxmvn_4x4_kernelILj128ELj64Efli18rocsparse_bfloat16S1_fEEvT3_20rocsparse_direction_NS_24const_host_device_scalarIT1_EES2_PKS2_PKT2_SB_S8_PKT4_PKT5_S6_PT6_21rocsparse_index_base_b.num_agpr, 0
	.set _ZN9rocsparseL18bsrxmvn_4x4_kernelILj128ELj64Efli18rocsparse_bfloat16S1_fEEvT3_20rocsparse_direction_NS_24const_host_device_scalarIT1_EES2_PKS2_PKT2_SB_S8_PKT4_PKT5_S6_PT6_21rocsparse_index_base_b.numbered_sgpr, 26
	.set _ZN9rocsparseL18bsrxmvn_4x4_kernelILj128ELj64Efli18rocsparse_bfloat16S1_fEEvT3_20rocsparse_direction_NS_24const_host_device_scalarIT1_EES2_PKS2_PKT2_SB_S8_PKT4_PKT5_S6_PT6_21rocsparse_index_base_b.num_named_barrier, 0
	.set _ZN9rocsparseL18bsrxmvn_4x4_kernelILj128ELj64Efli18rocsparse_bfloat16S1_fEEvT3_20rocsparse_direction_NS_24const_host_device_scalarIT1_EES2_PKS2_PKT2_SB_S8_PKT4_PKT5_S6_PT6_21rocsparse_index_base_b.private_seg_size, 0
	.set _ZN9rocsparseL18bsrxmvn_4x4_kernelILj128ELj64Efli18rocsparse_bfloat16S1_fEEvT3_20rocsparse_direction_NS_24const_host_device_scalarIT1_EES2_PKS2_PKT2_SB_S8_PKT4_PKT5_S6_PT6_21rocsparse_index_base_b.uses_vcc, 1
	.set _ZN9rocsparseL18bsrxmvn_4x4_kernelILj128ELj64Efli18rocsparse_bfloat16S1_fEEvT3_20rocsparse_direction_NS_24const_host_device_scalarIT1_EES2_PKS2_PKT2_SB_S8_PKT4_PKT5_S6_PT6_21rocsparse_index_base_b.uses_flat_scratch, 0
	.set _ZN9rocsparseL18bsrxmvn_4x4_kernelILj128ELj64Efli18rocsparse_bfloat16S1_fEEvT3_20rocsparse_direction_NS_24const_host_device_scalarIT1_EES2_PKS2_PKT2_SB_S8_PKT4_PKT5_S6_PT6_21rocsparse_index_base_b.has_dyn_sized_stack, 0
	.set _ZN9rocsparseL18bsrxmvn_4x4_kernelILj128ELj64Efli18rocsparse_bfloat16S1_fEEvT3_20rocsparse_direction_NS_24const_host_device_scalarIT1_EES2_PKS2_PKT2_SB_S8_PKT4_PKT5_S6_PT6_21rocsparse_index_base_b.has_recursion, 0
	.set _ZN9rocsparseL18bsrxmvn_4x4_kernelILj128ELj64Efli18rocsparse_bfloat16S1_fEEvT3_20rocsparse_direction_NS_24const_host_device_scalarIT1_EES2_PKS2_PKT2_SB_S8_PKT4_PKT5_S6_PT6_21rocsparse_index_base_b.has_indirect_call, 0
	.section	.AMDGPU.csdata,"",@progbits
; Kernel info:
; codeLenInByte = 4268
; TotalNumSgprs: 32
; NumVgprs: 102
; NumAgprs: 0
; TotalNumVgprs: 102
; ScratchSize: 0
; MemoryBound: 0
; FloatMode: 240
; IeeeMode: 1
; LDSByteSize: 0 bytes/workgroup (compile time only)
; SGPRBlocks: 3
; VGPRBlocks: 12
; NumSGPRsForWavesPerEU: 32
; NumVGPRsForWavesPerEU: 102
; AccumOffset: 104
; Occupancy: 4
; WaveLimiterHint : 1
; COMPUTE_PGM_RSRC2:SCRATCH_EN: 0
; COMPUTE_PGM_RSRC2:USER_SGPR: 2
; COMPUTE_PGM_RSRC2:TRAP_HANDLER: 0
; COMPUTE_PGM_RSRC2:TGID_X_EN: 1
; COMPUTE_PGM_RSRC2:TGID_Y_EN: 0
; COMPUTE_PGM_RSRC2:TGID_Z_EN: 0
; COMPUTE_PGM_RSRC2:TIDIG_COMP_CNT: 0
; COMPUTE_PGM_RSRC3_GFX90A:ACCUM_OFFSET: 25
; COMPUTE_PGM_RSRC3_GFX90A:TG_SPLIT: 0
	.section	.text._ZN9rocsparseL18bsrxmvn_4x4_kernelILj128ELj4Efll18rocsparse_bfloat16S1_fEEvT3_20rocsparse_direction_NS_24const_host_device_scalarIT1_EES2_PKS2_PKT2_SB_S8_PKT4_PKT5_S6_PT6_21rocsparse_index_base_b,"axG",@progbits,_ZN9rocsparseL18bsrxmvn_4x4_kernelILj128ELj4Efll18rocsparse_bfloat16S1_fEEvT3_20rocsparse_direction_NS_24const_host_device_scalarIT1_EES2_PKS2_PKT2_SB_S8_PKT4_PKT5_S6_PT6_21rocsparse_index_base_b,comdat
	.globl	_ZN9rocsparseL18bsrxmvn_4x4_kernelILj128ELj4Efll18rocsparse_bfloat16S1_fEEvT3_20rocsparse_direction_NS_24const_host_device_scalarIT1_EES2_PKS2_PKT2_SB_S8_PKT4_PKT5_S6_PT6_21rocsparse_index_base_b ; -- Begin function _ZN9rocsparseL18bsrxmvn_4x4_kernelILj128ELj4Efll18rocsparse_bfloat16S1_fEEvT3_20rocsparse_direction_NS_24const_host_device_scalarIT1_EES2_PKS2_PKT2_SB_S8_PKT4_PKT5_S6_PT6_21rocsparse_index_base_b
	.p2align	8
	.type	_ZN9rocsparseL18bsrxmvn_4x4_kernelILj128ELj4Efll18rocsparse_bfloat16S1_fEEvT3_20rocsparse_direction_NS_24const_host_device_scalarIT1_EES2_PKS2_PKT2_SB_S8_PKT4_PKT5_S6_PT6_21rocsparse_index_base_b,@function
_ZN9rocsparseL18bsrxmvn_4x4_kernelILj128ELj4Efll18rocsparse_bfloat16S1_fEEvT3_20rocsparse_direction_NS_24const_host_device_scalarIT1_EES2_PKS2_PKT2_SB_S8_PKT4_PKT5_S6_PT6_21rocsparse_index_base_b: ; @_ZN9rocsparseL18bsrxmvn_4x4_kernelILj128ELj4Efll18rocsparse_bfloat16S1_fEEvT3_20rocsparse_direction_NS_24const_host_device_scalarIT1_EES2_PKS2_PKT2_SB_S8_PKT4_PKT5_S6_PT6_21rocsparse_index_base_b
; %bb.0:
	s_load_dwordx2 s[4:5], s[0:1], 0x60
	s_load_dwordx4 s[12:15], s[0:1], 0x10
	s_load_dwordx2 s[16:17], s[0:1], 0x50
	s_waitcnt lgkmcnt(0)
	s_bitcmp1_b32 s5, 0
	s_cselect_b64 s[8:9], -1, 0
	s_xor_b64 s[6:7], s[8:9], -1
	s_and_b64 vcc, exec, s[8:9]
	s_cbranch_vccnz .LBB115_2
; %bb.1:
	s_load_dword s12, s[12:13], 0x0
.LBB115_2:
	s_andn2_b64 vcc, exec, s[6:7]
	s_cbranch_vccnz .LBB115_4
; %bb.3:
	s_load_dword s16, s[16:17], 0x0
.LBB115_4:
	s_waitcnt lgkmcnt(0)
	v_cmp_neq_f32_e64 s[6:7], s12, 0
	v_cmp_neq_f32_e64 s[8:9], s16, 1.0
	s_or_b64 s[6:7], s[6:7], s[8:9]
	s_andn2_b64 vcc, exec, s[6:7]
	s_cbranch_vccnz .LBB115_10
; %bb.5:
	s_load_dwordx2 s[6:7], s[0:1], 0x20
	v_lshrrev_b32_e32 v1, 2, v0
	v_lshl_or_b32 v2, s2, 5, v1
	v_mov_b32_e32 v3, 0
	s_mov_b64 s[2:3], 0
	s_waitcnt lgkmcnt(0)
	s_cmp_lg_u64 s[6:7], 0
	s_cbranch_scc0 .LBB115_11
; %bb.6:
	v_cmp_gt_i64_e32 vcc, s[14:15], v[2:3]
                                        ; implicit-def: $vgpr20_vgpr21
                                        ; implicit-def: $vgpr22_vgpr23
	s_and_saveexec_b64 s[8:9], vcc
	s_xor_b64 s[8:9], exec, s[8:9]
	s_cbranch_execz .LBB115_8
; %bb.7:
	v_lshl_add_u64 v[4:5], v[2:3], 3, s[6:7]
	global_load_dwordx2 v[4:5], v[4:5], off
	s_mov_b32 s5, 0
	s_mov_b64 s[2:3], exec
	v_mov_b64_e32 v[22:23], s[4:5]
	s_waitcnt vmcnt(0)
	v_subrev_co_u32_e32 v20, vcc, s4, v4
	s_nop 1
	v_subbrev_co_u32_e32 v21, vcc, 0, v5, vcc
.LBB115_8:
	s_or_b64 exec, exec, s[8:9]
.LBB115_9:
	s_and_saveexec_b64 s[4:5], s[2:3]
	s_cbranch_execnz .LBB115_15
.LBB115_10:
	s_endpgm
.LBB115_11:
                                        ; implicit-def: $vgpr20_vgpr21
                                        ; implicit-def: $vgpr22_vgpr23
	s_cbranch_execz .LBB115_9
; %bb.12:
	s_load_dwordx2 s[6:7], s[0:1], 0x0
	s_waitcnt lgkmcnt(0)
	v_cmp_gt_i64_e32 vcc, s[6:7], v[2:3]
	s_and_saveexec_b64 s[6:7], vcc
; %bb.13:
	s_mov_b32 s5, 0
	s_or_b64 s[2:3], s[2:3], exec
; %bb.14:
	s_or_b64 exec, exec, s[6:7]
	v_mov_b64_e32 v[22:23], s[4:5]
	v_mov_b64_e32 v[20:21], v[2:3]
	s_and_saveexec_b64 s[4:5], s[2:3]
	s_cbranch_execz .LBB115_10
.LBB115_15:
	s_load_dwordx8 s[4:11], s[0:1], 0x28
	v_lshlrev_b64 v[2:3], 3, v[20:21]
	v_and_b32_e32 v24, 3, v0
	v_mov_b32_e32 v25, 0
	s_waitcnt lgkmcnt(0)
	v_lshl_add_u64 v[4:5], s[4:5], 0, v[2:3]
	s_cmp_eq_u64 s[6:7], 0
	v_lshl_add_u64 v[2:3], s[6:7], 0, v[2:3]
	global_load_dwordx2 v[8:9], v[4:5], off
	v_lshl_add_u64 v[4:5], v[4:5], 0, 8
	s_cselect_b64 vcc, -1, 0
	v_cndmask_b32_e32 v3, v3, v5, vcc
	v_cndmask_b32_e32 v2, v2, v4, vcc
	global_load_dwordx2 v[2:3], v[2:3], off
	s_load_dword s2, s[0:1], 0x8
	s_load_dwordx2 s[4:5], s[0:1], 0x48
	s_waitcnt lgkmcnt(0)
	s_cmp_eq_u32 s2, 1
	s_waitcnt vmcnt(1)
	v_sub_co_u32_e32 v0, vcc, v8, v22
	s_nop 1
	v_subb_co_u32_e32 v1, vcc, v9, v23, vcc
	v_lshl_add_u64 v[26:27], v[0:1], 0, v[24:25]
	s_waitcnt vmcnt(0)
	v_sub_co_u32_e32 v28, vcc, v2, v22
	v_lshlrev_b64 v[0:1], 5, v[26:27]
	s_nop 0
	v_subb_co_u32_e32 v29, vcc, v3, v23, vcc
	v_lshl_add_u64 v[30:31], s[10:11], 0, v[0:1]
	v_cmp_lt_i64_e64 s[2:3], v[26:27], v[28:29]
	s_cbranch_scc1 .LBB115_27
; %bb.16:
	v_mov_b32_e32 v34, v25
	v_mov_b32_e32 v33, v25
	;; [unrolled: 1-line block ×3, first 2 shown]
	s_and_saveexec_b64 s[6:7], s[2:3]
	s_cbranch_execz .LBB115_26
; %bb.17:
	v_or_b32_e32 v0, 4, v24
	v_sub_co_u32_e32 v0, vcc, v0, v22
	v_not_b32_e32 v3, v9
	s_nop 0
	v_subb_co_u32_e32 v1, vcc, 0, v23, vcc
	v_lshl_add_u64 v[0:1], v[0:1], 0, v[8:9]
	v_cmp_gt_i64_e32 vcc, v[0:1], v[28:29]
	v_not_b32_e32 v2, v8
	v_mov_b32_e32 v33, 0
	v_cndmask_b32_e32 v1, v29, v1, vcc
	v_cndmask_b32_e32 v0, v28, v0, vcc
	v_sub_co_u32_e32 v4, vcc, v22, v24
	v_mov_b32_e32 v34, v33
	s_nop 0
	v_subbrev_co_u32_e32 v5, vcc, 0, v23, vcc
	v_lshl_add_u64 v[2:3], v[4:5], 0, v[2:3]
	v_lshl_add_u64 v[0:1], v[2:3], 0, v[0:1]
	v_and_b32_e32 v32, 12, v0
	v_cmp_ne_u64_e32 vcc, 12, v[32:33]
	v_mov_b32_e32 v32, v33
	v_mov_b32_e32 v35, v33
	v_mov_b64_e32 v[10:11], v[26:27]
	v_mov_b64_e32 v[12:13], v[30:31]
	s_and_saveexec_b64 s[10:11], vcc
	s_cbranch_execz .LBB115_21
; %bb.18:
	v_lshrrev_b32_e32 v2, 2, v0
	v_add_u32_e32 v2, 1, v2
	v_and_b32_e32 v4, 3, v2
	v_sub_co_u32_e32 v4, vcc, 0, v4
	v_mov_b32_e32 v32, 0
	s_nop 0
	v_subb_co_u32_e64 v5, s[18:19], 0, 0, vcc
	v_lshl_add_u64 v[2:3], v[26:27], 3, s[8:9]
	s_mov_b64 s[14:15], 0
	s_mov_b64 s[18:19], 0x80
	v_mov_b64_e32 v[12:13], v[30:31]
	v_mov_b64_e32 v[10:11], v[26:27]
	v_mov_b32_e32 v33, v32
	v_mov_b32_e32 v34, v32
	;; [unrolled: 1-line block ×3, first 2 shown]
.LBB115_19:                             ; =>This Inner Loop Header: Depth=1
	global_load_dwordx2 v[6:7], v[2:3], off
	global_load_dwordx4 v[14:17], v[12:13], off
	global_load_dwordx4 v[36:39], v[12:13], off offset:16
	v_lshl_add_u64 v[4:5], v[4:5], 0, 1
	v_lshl_add_u64 v[12:13], v[12:13], 0, s[18:19]
	;; [unrolled: 1-line block ×4, first 2 shown]
	s_waitcnt vmcnt(2)
	v_sub_co_u32_e32 v6, vcc, v6, v22
	s_nop 1
	v_subb_co_u32_e32 v7, vcc, v7, v23, vcc
	v_lshl_add_u64 v[6:7], v[6:7], 3, s[4:5]
	global_load_dwordx2 v[6:7], v[6:7], off
	s_waitcnt vmcnt(2)
	v_lshlrev_b32_e32 v18, 16, v14
	v_lshlrev_b32_e32 v19, 16, v16
	v_and_b32_e32 v41, 0xffff0000, v16
	v_and_b32_e32 v40, 0xffff0000, v14
	v_lshlrev_b32_e32 v42, 16, v15
	v_and_b32_e32 v16, 0xffff0000, v15
	s_waitcnt vmcnt(1)
	v_lshlrev_b32_e32 v14, 16, v36
	v_lshlrev_b32_e32 v15, 16, v38
	v_and_b32_e32 v44, 0xffff0000, v36
	v_and_b32_e32 v45, 0xffff0000, v38
	v_lshlrev_b32_e32 v43, 16, v17
	v_lshlrev_b32_e32 v47, 16, v39
	;; [unrolled: 1-line block ×3, first 2 shown]
	v_cmp_eq_u64_e32 vcc, 0, v[4:5]
	v_and_b32_e32 v17, 0xffff0000, v17
	v_and_b32_e32 v39, 0xffff0000, v39
	;; [unrolled: 1-line block ×3, first 2 shown]
	s_or_b64 s[14:15], vcc, s[14:15]
	s_waitcnt vmcnt(0)
	v_lshlrev_b32_e32 v36, 16, v6
	v_and_b32_e32 v6, 0xffff0000, v6
	v_pk_fma_f32 v[18:19], v[18:19], v[36:37], v[32:33] op_sel_hi:[1,0,1]
	v_pk_fma_f32 v[14:15], v[14:15], v[36:37], v[34:35] op_sel_hi:[1,0,1]
	v_lshlrev_b32_e32 v48, 16, v7
	v_and_b32_e32 v50, 0xffff0000, v7
	v_pk_fma_f32 v[18:19], v[40:41], v[6:7], v[18:19] op_sel_hi:[1,0,1]
	v_pk_fma_f32 v[6:7], v[44:45], v[6:7], v[14:15] op_sel_hi:[1,0,1]
	;; [unrolled: 1-line block ×6, first 2 shown]
	s_andn2_b64 exec, exec, s[14:15]
	s_cbranch_execnz .LBB115_19
; %bb.20:
	s_or_b64 exec, exec, s[14:15]
.LBB115_21:
	s_or_b64 exec, exec, s[10:11]
	v_cmp_lt_u64_e32 vcc, 11, v[0:1]
	s_and_saveexec_b64 s[10:11], vcc
	s_cbranch_execz .LBB115_25
; %bb.22:
	v_lshl_add_u64 v[0:1], v[10:11], 3, s[8:9]
	v_lshl_add_u64 v[14:15], v[0:1], 0, 64
	s_mov_b64 s[14:15], 0
	s_mov_b64 s[18:19], 0x80
	s_mov_b64 s[20:21], 0x200
.LBB115_23:                             ; =>This Inner Loop Header: Depth=1
	global_load_dwordx2 v[56:57], v[14:15], off offset:-64
	global_load_dwordx4 v[4:7], v[12:13], off
	global_load_dwordx4 v[0:3], v[12:13], off offset:16
	global_load_dwordx2 v[58:59], v[14:15], off offset:-32
	global_load_dwordx2 v[60:61], v[14:15], off
	global_load_dwordx4 v[16:19], v[12:13], off offset:256
	global_load_dwordx4 v[36:39], v[12:13], off offset:128
	;; [unrolled: 1-line block ×3, first 2 shown]
	global_load_dwordx2 v[62:63], v[14:15], off offset:32
	global_load_dwordx4 v[44:47], v[12:13], off offset:144
	global_load_dwordx4 v[48:51], v[12:13], off offset:384
	;; [unrolled: 1-line block ×3, first 2 shown]
	v_lshl_add_u64 v[10:11], v[10:11], 0, 16
	v_cmp_ge_i64_e32 vcc, v[10:11], v[28:29]
	s_or_b64 s[14:15], vcc, s[14:15]
	v_lshl_add_u64 v[14:15], v[14:15], 0, s[18:19]
	v_lshl_add_u64 v[12:13], v[12:13], 0, s[20:21]
	s_waitcnt vmcnt(11)
	v_sub_co_u32_e32 v56, vcc, v56, v22
	s_nop 1
	v_subb_co_u32_e32 v57, vcc, v57, v23, vcc
	s_waitcnt vmcnt(8)
	v_sub_co_u32_e32 v58, vcc, v58, v22
	v_lshl_add_u64 v[56:57], v[56:57], 3, s[4:5]
	s_nop 0
	v_subb_co_u32_e32 v59, vcc, v59, v23, vcc
	s_waitcnt vmcnt(7)
	v_sub_co_u32_e32 v60, vcc, v60, v22
	v_lshl_add_u64 v[58:59], v[58:59], 3, s[4:5]
	s_nop 0
	v_subb_co_u32_e32 v61, vcc, v61, v23, vcc
	s_waitcnt vmcnt(3)
	v_sub_co_u32_e32 v62, vcc, v62, v22
	v_lshl_add_u64 v[60:61], v[60:61], 3, s[4:5]
	s_nop 0
	v_subb_co_u32_e32 v63, vcc, v63, v23, vcc
	v_lshl_add_u64 v[62:63], v[62:63], 3, s[4:5]
	global_load_dwordx2 v[82:83], v[56:57], off
	global_load_dwordx2 v[84:85], v[58:59], off
	;; [unrolled: 1-line block ×4, first 2 shown]
	v_lshlrev_b32_e32 v64, 16, v4
	v_lshlrev_b32_e32 v65, 16, v6
	;; [unrolled: 1-line block ×4, first 2 shown]
	v_and_b32_e32 v71, 0xffff0000, v6
	v_lshlrev_b32_e32 v72, 16, v5
	v_and_b32_e32 v6, 0xffff0000, v5
	v_lshlrev_b32_e32 v5, 16, v38
	;; [unrolled: 2-line block ×5, first 2 shown]
	v_and_b32_e32 v69, 0xffff0000, v19
	v_and_b32_e32 v19, 0xffff0000, v2
	;; [unrolled: 1-line block ×3, first 2 shown]
	v_lshlrev_b32_e32 v56, 16, v1
	v_and_b32_e32 v2, 0xffff0000, v1
	s_waitcnt vmcnt(6)
	v_lshlrev_b32_e32 v1, 16, v46
	v_lshlrev_b32_e32 v0, 16, v44
	v_and_b32_e32 v59, 0xffff0000, v46
	v_and_b32_e32 v58, 0xffff0000, v44
	v_lshlrev_b32_e32 v60, 16, v45
	v_and_b32_e32 v46, 0xffff0000, v45
	v_lshlrev_b32_e32 v45, 16, v42
	v_lshlrev_b32_e32 v44, 16, v40
	v_and_b32_e32 v63, 0xffff0000, v42
	v_and_b32_e32 v62, 0xffff0000, v40
	s_waitcnt vmcnt(5)
	v_lshlrev_b32_e32 v40, 16, v48
	v_and_b32_e32 v42, 0xffff0000, v48
	s_waitcnt vmcnt(4)
	v_lshlrev_b32_e32 v48, 16, v52
	v_and_b32_e32 v94, 0xffff0000, v52
	v_and_b32_e32 v70, 0xffff0000, v4
	v_lshlrev_b32_e32 v73, 16, v7
	v_lshlrev_b32_e32 v57, 16, v3
	v_and_b32_e32 v7, 0xffff0000, v7
	v_and_b32_e32 v3, 0xffff0000, v3
	v_lshlrev_b32_e32 v4, 16, v36
	v_and_b32_e32 v74, 0xffff0000, v36
	v_lshlrev_b32_e32 v77, 16, v39
	v_lshlrev_b32_e32 v61, 16, v47
	v_and_b32_e32 v39, 0xffff0000, v39
	v_and_b32_e32 v47, 0xffff0000, v47
	v_lshlrev_b32_e32 v36, 16, v16
	v_and_b32_e32 v78, 0xffff0000, v16
	v_lshlrev_b32_e32 v80, 16, v17
	v_lshlrev_b32_e32 v91, 16, v43
	;; [unrolled: 1-line block ×3, first 2 shown]
	v_and_b32_e32 v68, 0xffff0000, v17
	v_and_b32_e32 v16, 0xffff0000, v41
	;; [unrolled: 1-line block ×3, first 2 shown]
	v_lshlrev_b32_e32 v41, 16, v50
	v_and_b32_e32 v43, 0xffff0000, v50
	v_lshlrev_b32_e32 v92, 16, v49
	v_and_b32_e32 v50, 0xffff0000, v49
	;; [unrolled: 2-line block ×3, first 2 shown]
	v_lshlrev_b32_e32 v93, 16, v51
	v_lshlrev_b32_e32 v97, 16, v55
	;; [unrolled: 1-line block ×3, first 2 shown]
	v_and_b32_e32 v51, 0xffff0000, v51
	v_and_b32_e32 v55, 0xffff0000, v55
	;; [unrolled: 1-line block ×3, first 2 shown]
	s_waitcnt vmcnt(3)
	v_lshlrev_b32_e32 v52, 16, v82
	v_and_b32_e32 v82, 0xffff0000, v82
	v_pk_fma_f32 v[32:33], v[64:65], v[52:53], v[32:33] op_sel_hi:[1,0,1]
	v_pk_fma_f32 v[34:35], v[66:67], v[52:53], v[34:35] op_sel_hi:[1,0,1]
	v_lshlrev_b32_e32 v98, 16, v83
	v_pk_fma_f32 v[32:33], v[70:71], v[82:83], v[32:33] op_sel_hi:[1,0,1]
	v_pk_fma_f32 v[18:19], v[18:19], v[82:83], v[34:35] op_sel_hi:[1,0,1]
	v_and_b32_e32 v100, 0xffff0000, v83
	v_pk_fma_f32 v[32:33], v[72:73], v[98:99], v[32:33] op_sel_hi:[1,0,1]
	v_pk_fma_f32 v[18:19], v[56:57], v[98:99], v[18:19] op_sel_hi:[1,0,1]
	s_waitcnt vmcnt(2)
	v_lshlrev_b32_e32 v64, 16, v84
	v_pk_fma_f32 v[6:7], v[6:7], v[100:101], v[32:33] op_sel_hi:[1,0,1]
	v_pk_fma_f32 v[2:3], v[2:3], v[100:101], v[18:19] op_sel_hi:[1,0,1]
	v_and_b32_e32 v52, 0xffff0000, v84
	v_pk_fma_f32 v[4:5], v[4:5], v[64:65], v[6:7] op_sel_hi:[1,0,1]
	v_pk_fma_f32 v[0:1], v[0:1], v[64:65], v[2:3] op_sel_hi:[1,0,1]
	v_lshlrev_b32_e32 v66, 16, v85
	v_pk_fma_f32 v[2:3], v[74:75], v[52:53], v[4:5] op_sel_hi:[1,0,1]
	v_pk_fma_f32 v[0:1], v[58:59], v[52:53], v[0:1] op_sel_hi:[1,0,1]
	v_and_b32_e32 v84, 0xffff0000, v85
	v_pk_fma_f32 v[2:3], v[76:77], v[66:67], v[2:3] op_sel_hi:[1,0,1]
	v_pk_fma_f32 v[0:1], v[60:61], v[66:67], v[0:1] op_sel_hi:[1,0,1]
	s_waitcnt vmcnt(1)
	v_lshlrev_b32_e32 v70, 16, v86
	v_pk_fma_f32 v[2:3], v[38:39], v[84:85], v[2:3] op_sel_hi:[1,0,1]
	v_pk_fma_f32 v[0:1], v[46:47], v[84:85], v[0:1] op_sel_hi:[1,0,1]
	;; [unrolled: 13-line block ×3, first 2 shown]
	v_and_b32_e32 v56, 0xffff0000, v88
	v_pk_fma_f32 v[2:3], v[40:41], v[72:73], v[2:3] op_sel_hi:[1,0,1]
	v_pk_fma_f32 v[0:1], v[48:49], v[72:73], v[0:1] op_sel_hi:[1,0,1]
	v_lshlrev_b32_e32 v88, 16, v89
	v_pk_fma_f32 v[2:3], v[42:43], v[56:57], v[2:3] op_sel_hi:[1,0,1]
	v_pk_fma_f32 v[0:1], v[94:95], v[56:57], v[0:1] op_sel_hi:[1,0,1]
	v_and_b32_e32 v98, 0xffff0000, v89
	v_pk_fma_f32 v[2:3], v[92:93], v[88:89], v[2:3] op_sel_hi:[1,0,1]
	v_pk_fma_f32 v[0:1], v[96:97], v[88:89], v[0:1] op_sel_hi:[1,0,1]
	;; [unrolled: 1-line block ×4, first 2 shown]
	s_andn2_b64 exec, exec, s[14:15]
	s_cbranch_execnz .LBB115_23
; %bb.24:
	s_or_b64 exec, exec, s[14:15]
.LBB115_25:
	s_or_b64 exec, exec, s[10:11]
	v_mov_b32_e32 v25, v35
.LBB115_26:
	s_or_b64 exec, exec, s[6:7]
	v_mov_b32_e32 v35, v25
	s_cbranch_execz .LBB115_28
	s_branch .LBB115_39
.LBB115_27:
                                        ; implicit-def: $vgpr35
                                        ; implicit-def: $vgpr33
.LBB115_28:
	v_mov_b32_e32 v35, 0
	v_mov_b32_e32 v34, 0
	;; [unrolled: 1-line block ×4, first 2 shown]
	s_and_saveexec_b64 s[6:7], s[2:3]
	s_cbranch_execz .LBB115_38
; %bb.29:
	v_or_b32_e32 v0, 4, v24
	v_sub_co_u32_e32 v0, vcc, v0, v22
	v_not_b32_e32 v3, v9
	s_nop 0
	v_subb_co_u32_e32 v1, vcc, 0, v23, vcc
	v_lshl_add_u64 v[0:1], v[0:1], 0, v[8:9]
	v_cmp_gt_i64_e32 vcc, v[0:1], v[28:29]
	v_not_b32_e32 v2, v8
	v_mov_b32_e32 v33, 0
	v_cndmask_b32_e32 v1, v29, v1, vcc
	v_cndmask_b32_e32 v0, v28, v0, vcc
	v_sub_co_u32_e32 v4, vcc, v22, v24
	v_mov_b32_e32 v34, v33
	s_nop 0
	v_subbrev_co_u32_e32 v5, vcc, 0, v23, vcc
	v_lshl_add_u64 v[2:3], v[4:5], 0, v[2:3]
	v_lshl_add_u64 v[0:1], v[2:3], 0, v[0:1]
	v_and_b32_e32 v32, 12, v0
	v_cmp_ne_u64_e32 vcc, 12, v[32:33]
	v_mov_b32_e32 v32, v33
	v_mov_b32_e32 v35, v33
	s_and_saveexec_b64 s[2:3], vcc
	s_cbranch_execz .LBB115_33
; %bb.30:
	v_lshrrev_b32_e32 v2, 2, v0
	v_add_u32_e32 v2, 1, v2
	v_and_b32_e32 v4, 3, v2
	v_sub_co_u32_e32 v4, vcc, 0, v4
	v_mov_b32_e32 v32, 0
	s_nop 0
	v_subb_co_u32_e64 v5, s[14:15], 0, 0, vcc
	v_lshl_add_u64 v[2:3], v[26:27], 3, s[8:9]
	s_mov_b64 s[10:11], 0
	s_mov_b64 s[14:15], 0x80
	v_mov_b32_e32 v33, v32
	v_mov_b32_e32 v34, v32
	;; [unrolled: 1-line block ×3, first 2 shown]
.LBB115_31:                             ; =>This Inner Loop Header: Depth=1
	global_load_dwordx2 v[10:11], v[2:3], off
	global_load_dwordx4 v[6:9], v[30:31], off
	v_lshl_add_u64 v[4:5], v[4:5], 0, 1
	v_lshl_add_u64 v[26:27], v[26:27], 0, 4
	;; [unrolled: 1-line block ×3, first 2 shown]
	s_waitcnt vmcnt(1)
	v_sub_co_u32_e32 v10, vcc, v10, v22
	s_nop 1
	v_subb_co_u32_e32 v11, vcc, v11, v23, vcc
	v_lshl_add_u64 v[14:15], v[10:11], 3, s[4:5]
	global_load_dwordx2 v[16:17], v[14:15], off
	global_load_dwordx4 v[10:13], v[30:31], off offset:16
	s_waitcnt vmcnt(2)
	v_and_b32_e32 v15, 0xffff0000, v6
	v_lshlrev_b32_e32 v14, 16, v6
	v_and_b32_e32 v19, 0xffff0000, v7
	v_lshlrev_b32_e32 v18, 16, v7
	;; [unrolled: 2-line block ×4, first 2 shown]
	v_cmp_eq_u64_e32 vcc, 0, v[4:5]
	v_lshl_add_u64 v[30:31], v[30:31], 0, s[14:15]
	s_or_b64 s[10:11], vcc, s[10:11]
	s_waitcnt vmcnt(1)
	v_lshlrev_b32_e32 v42, 16, v17
	s_waitcnt vmcnt(0)
	v_and_b32_e32 v39, 0xffff0000, v12
	v_lshlrev_b32_e32 v38, 16, v12
	v_lshlrev_b32_e32 v12, 16, v16
	v_and_b32_e32 v37, 0xffff0000, v10
	v_lshlrev_b32_e32 v36, 16, v10
	v_and_b32_e32 v9, 0xffff0000, v11
	;; [unrolled: 2-line block ×4, first 2 shown]
	v_pk_fma_f32 v[14:15], v[14:15], v[12:13], v[32:33] op_sel_hi:[1,0,1]
	v_pk_fma_f32 v[12:13], v[18:19], v[12:13], v[34:35] op_sel_hi:[1,0,1]
	;; [unrolled: 1-line block ×4, first 2 shown]
	v_and_b32_e32 v44, 0xffff0000, v17
	v_pk_fma_f32 v[6:7], v[36:37], v[42:43], v[6:7] op_sel_hi:[1,0,1]
	v_pk_fma_f32 v[8:9], v[8:9], v[42:43], v[12:13] op_sel_hi:[1,0,1]
	;; [unrolled: 1-line block ×4, first 2 shown]
	s_andn2_b64 exec, exec, s[10:11]
	s_cbranch_execnz .LBB115_31
; %bb.32:
	s_or_b64 exec, exec, s[10:11]
.LBB115_33:
	s_or_b64 exec, exec, s[2:3]
	v_cmp_lt_u64_e32 vcc, 11, v[0:1]
	s_and_saveexec_b64 s[2:3], vcc
	s_cbranch_execz .LBB115_37
; %bb.34:
	v_lshl_add_u64 v[0:1], v[26:27], 3, s[8:9]
	v_lshl_add_u64 v[36:37], v[0:1], 0, 64
	s_mov_b64 s[8:9], 0
	s_mov_b64 s[10:11], 0x80
	s_mov_b64 s[14:15], 0x200
.LBB115_35:                             ; =>This Inner Loop Header: Depth=1
	global_load_dwordx4 v[0:3], v[30:31], off
	global_load_dwordx4 v[12:15], v[30:31], off offset:16
	global_load_dwordx4 v[4:7], v[30:31], off offset:128
	global_load_dwordx4 v[8:11], v[30:31], off offset:144
	global_load_dwordx4 v[16:19], v[30:31], off offset:256
	global_load_dwordx2 v[50:51], v[36:37], off offset:-64
	global_load_dwordx2 v[52:53], v[36:37], off offset:-32
	global_load_dwordx2 v[54:55], v[36:37], off
	global_load_dwordx2 v[56:57], v[36:37], off offset:32
	global_load_dwordx4 v[38:41], v[30:31], off offset:272
	global_load_dwordx4 v[42:45], v[30:31], off offset:384
	;; [unrolled: 1-line block ×3, first 2 shown]
	v_lshl_add_u64 v[26:27], v[26:27], 0, 16
	v_cmp_ge_i64_e32 vcc, v[26:27], v[28:29]
	s_or_b64 s[8:9], vcc, s[8:9]
	v_lshl_add_u64 v[36:37], v[36:37], 0, s[10:11]
	v_lshl_add_u64 v[30:31], v[30:31], 0, s[14:15]
	s_waitcnt vmcnt(11)
	v_and_b32_e32 v59, 0xffff0000, v0
	v_lshlrev_b32_e32 v58, 16, v0
	s_waitcnt vmcnt(9)
	v_and_b32_e32 v67, 0xffff0000, v4
	v_lshlrev_b32_e32 v66, 16, v4
	v_and_b32_e32 v61, 0xffff0000, v1
	s_waitcnt vmcnt(6)
	v_sub_co_u32_e32 v4, vcc, v50, v22
	v_lshlrev_b32_e32 v60, 16, v1
	v_and_b32_e32 v1, 0xffff0000, v2
	v_lshlrev_b32_e32 v0, 16, v2
	v_and_b32_e32 v63, 0xffff0000, v12
	v_lshlrev_b32_e32 v62, 16, v12
	v_and_b32_e32 v65, 0xffff0000, v14
	v_lshlrev_b32_e32 v64, 16, v14
	v_and_b32_e32 v77, 0xffff0000, v3
	v_lshlrev_b32_e32 v76, 16, v3
	v_and_b32_e32 v3, 0xffff0000, v13
	v_lshlrev_b32_e32 v2, 16, v13
	v_and_b32_e32 v13, 0xffff0000, v15
	v_lshlrev_b32_e32 v12, 16, v15
	v_and_b32_e32 v15, 0xffff0000, v5
	v_lshlrev_b32_e32 v14, 16, v5
	v_subb_co_u32_e32 v5, vcc, v51, v23, vcc
	s_waitcnt vmcnt(5)
	v_sub_co_u32_e32 v50, vcc, v52, v22
	v_lshl_add_u64 v[4:5], v[4:5], 3, s[4:5]
	s_nop 0
	v_subb_co_u32_e32 v51, vcc, v53, v23, vcc
	s_waitcnt vmcnt(4)
	v_sub_co_u32_e32 v52, vcc, v54, v22
	v_lshl_add_u64 v[50:51], v[50:51], 3, s[4:5]
	s_nop 0
	;; [unrolled: 5-line block ×3, first 2 shown]
	v_subb_co_u32_e32 v55, vcc, v57, v23, vcc
	v_lshl_add_u64 v[54:55], v[54:55], 3, s[4:5]
	global_load_dwordx2 v[56:57], v[4:5], off
	global_load_dwordx2 v[78:79], v[50:51], off
	;; [unrolled: 1-line block ×4, first 2 shown]
	s_waitcnt vmcnt(4)
	v_and_b32_e32 v89, 0xffff0000, v48
	v_lshlrev_b32_e32 v88, 16, v48
	v_and_b32_e32 v69, 0xffff0000, v6
	v_lshlrev_b32_e32 v68, 16, v6
	;; [unrolled: 2-line block ×22, first 2 shown]
	s_waitcnt vmcnt(3)
	v_lshlrev_b32_e32 v48, 16, v56
	v_and_b32_e32 v56, 0xffff0000, v56
	v_pk_fma_f32 v[32:33], v[58:59], v[48:49], v[32:33] op_sel_hi:[1,0,1]
	v_pk_fma_f32 v[34:35], v[60:61], v[48:49], v[34:35] op_sel_hi:[1,0,1]
	v_lshlrev_b32_e32 v92, 16, v57
	v_pk_fma_f32 v[0:1], v[0:1], v[56:57], v[32:33] op_sel_hi:[1,0,1]
	v_pk_fma_f32 v[34:35], v[76:77], v[56:57], v[34:35] op_sel_hi:[1,0,1]
	v_and_b32_e32 v94, 0xffff0000, v57
	v_pk_fma_f32 v[0:1], v[62:63], v[92:93], v[0:1] op_sel_hi:[1,0,1]
	v_pk_fma_f32 v[2:3], v[2:3], v[92:93], v[34:35] op_sel_hi:[1,0,1]
	s_waitcnt vmcnt(2)
	v_lshlrev_b32_e32 v58, 16, v78
	v_pk_fma_f32 v[0:1], v[64:65], v[94:95], v[0:1] op_sel_hi:[1,0,1]
	v_pk_fma_f32 v[2:3], v[12:13], v[94:95], v[2:3] op_sel_hi:[1,0,1]
	v_and_b32_e32 v48, 0xffff0000, v78
	v_pk_fma_f32 v[0:1], v[66:67], v[58:59], v[0:1] op_sel_hi:[1,0,1]
	v_pk_fma_f32 v[2:3], v[14:15], v[58:59], v[2:3] op_sel_hi:[1,0,1]
	v_lshlrev_b32_e32 v60, 16, v79
	v_pk_fma_f32 v[0:1], v[68:69], v[48:49], v[0:1] op_sel_hi:[1,0,1]
	v_pk_fma_f32 v[2:3], v[4:5], v[48:49], v[2:3] op_sel_hi:[1,0,1]
	v_and_b32_e32 v78, 0xffff0000, v79
	v_pk_fma_f32 v[0:1], v[70:71], v[60:61], v[0:1] op_sel_hi:[1,0,1]
	v_pk_fma_f32 v[2:3], v[6:7], v[60:61], v[2:3] op_sel_hi:[1,0,1]
	s_waitcnt vmcnt(1)
	v_lshlrev_b32_e32 v32, 16, v80
	v_pk_fma_f32 v[0:1], v[72:73], v[78:79], v[0:1] op_sel_hi:[1,0,1]
	v_pk_fma_f32 v[2:3], v[8:9], v[78:79], v[2:3] op_sel_hi:[1,0,1]
	v_and_b32_e32 v56, 0xffff0000, v80
	v_pk_fma_f32 v[0:1], v[74:75], v[32:33], v[0:1] op_sel_hi:[1,0,1]
	v_pk_fma_f32 v[2:3], v[50:51], v[32:33], v[2:3] op_sel_hi:[1,0,1]
	v_lshlrev_b32_e32 v76, 16, v81
	v_pk_fma_f32 v[0:1], v[10:11], v[56:57], v[0:1] op_sel_hi:[1,0,1]
	v_pk_fma_f32 v[2:3], v[16:17], v[56:57], v[2:3] op_sel_hi:[1,0,1]
	v_and_b32_e32 v80, 0xffff0000, v81
	v_pk_fma_f32 v[0:1], v[18:19], v[76:77], v[0:1] op_sel_hi:[1,0,1]
	v_pk_fma_f32 v[2:3], v[52:53], v[76:77], v[2:3] op_sel_hi:[1,0,1]
	s_waitcnt vmcnt(0)
	v_lshlrev_b32_e32 v62, 16, v82
	v_pk_fma_f32 v[0:1], v[38:39], v[80:81], v[0:1] op_sel_hi:[1,0,1]
	v_pk_fma_f32 v[2:3], v[54:55], v[80:81], v[2:3] op_sel_hi:[1,0,1]
	v_and_b32_e32 v34, 0xffff0000, v82
	v_pk_fma_f32 v[0:1], v[40:41], v[62:63], v[0:1] op_sel_hi:[1,0,1]
	v_pk_fma_f32 v[2:3], v[86:87], v[62:63], v[2:3] op_sel_hi:[1,0,1]
	v_lshlrev_b32_e32 v82, 16, v83
	v_pk_fma_f32 v[0:1], v[84:85], v[34:35], v[0:1] op_sel_hi:[1,0,1]
	v_pk_fma_f32 v[2:3], v[42:43], v[34:35], v[2:3] op_sel_hi:[1,0,1]
	v_and_b32_e32 v92, 0xffff0000, v83
	v_pk_fma_f32 v[0:1], v[44:45], v[82:83], v[0:1] op_sel_hi:[1,0,1]
	v_pk_fma_f32 v[2:3], v[90:91], v[82:83], v[2:3] op_sel_hi:[1,0,1]
	;; [unrolled: 1-line block ×4, first 2 shown]
	s_andn2_b64 exec, exec, s[8:9]
	s_cbranch_execnz .LBB115_35
; %bb.36:
	s_or_b64 exec, exec, s[8:9]
.LBB115_37:
	s_or_b64 exec, exec, s[2:3]
.LBB115_38:
	s_or_b64 exec, exec, s[6:7]
.LBB115_39:
	v_mov_b32_dpp v0, v32 row_shr:1 row_mask:0xf bank_mask:0xf
	v_mov_b32_dpp v1, v33 row_shr:1 row_mask:0xf bank_mask:0xf
	;; [unrolled: 1-line block ×4, first 2 shown]
	v_pk_add_f32 v[0:1], v[32:33], v[0:1]
	v_pk_add_f32 v[6:7], v[34:35], v[4:5]
	v_cmp_eq_u32_e32 vcc, 3, v24
	v_mov_b32_dpp v2, v0 row_shr:2 row_mask:0xf bank_mask:0xf
	v_mov_b32_dpp v3, v1 row_shr:2 row_mask:0xf bank_mask:0xf
	;; [unrolled: 1-line block ×4, first 2 shown]
	s_and_b64 exec, exec, vcc
	s_cbranch_execz .LBB115_10
; %bb.40:
	s_load_dwordx2 s[0:1], s[0:1], 0x58
	v_cmp_eq_f32_e64 s[2:3], s16, 0
	v_pk_add_f32 v[4:5], v[0:1], v[2:3]
	v_pk_add_f32 v[2:3], v[6:7], v[8:9]
	s_and_b64 vcc, exec, s[2:3]
	s_waitcnt lgkmcnt(0)
	v_lshl_add_u64 v[0:1], v[20:21], 4, s[0:1]
	s_cbranch_vccz .LBB115_42
; %bb.41:
	v_pk_mul_f32 v[6:7], s[12:13], v[4:5] op_sel_hi:[0,1]
	v_pk_mul_f32 v[8:9], s[12:13], v[2:3] op_sel_hi:[0,1]
	global_store_dwordx4 v[0:1], v[6:9], off
	s_cbranch_execnz .LBB115_10
	s_branch .LBB115_43
.LBB115_42:
.LBB115_43:
	global_load_dwordx4 v[6:9], v[0:1], off
	v_pk_mul_f32 v[4:5], s[12:13], v[4:5] op_sel_hi:[0,1]
	v_pk_mul_f32 v[10:11], s[12:13], v[2:3] op_sel_hi:[0,1]
	s_waitcnt vmcnt(0)
	v_pk_fma_f32 v[2:3], s[16:17], v[6:7], v[4:5] op_sel_hi:[0,1,1]
	v_pk_fma_f32 v[4:5], s[16:17], v[8:9], v[10:11] op_sel_hi:[0,1,1]
	global_store_dwordx4 v[0:1], v[2:5], off
	s_endpgm
	.section	.rodata,"a",@progbits
	.p2align	6, 0x0
	.amdhsa_kernel _ZN9rocsparseL18bsrxmvn_4x4_kernelILj128ELj4Efll18rocsparse_bfloat16S1_fEEvT3_20rocsparse_direction_NS_24const_host_device_scalarIT1_EES2_PKS2_PKT2_SB_S8_PKT4_PKT5_S6_PT6_21rocsparse_index_base_b
		.amdhsa_group_segment_fixed_size 0
		.amdhsa_private_segment_fixed_size 0
		.amdhsa_kernarg_size 104
		.amdhsa_user_sgpr_count 2
		.amdhsa_user_sgpr_dispatch_ptr 0
		.amdhsa_user_sgpr_queue_ptr 0
		.amdhsa_user_sgpr_kernarg_segment_ptr 1
		.amdhsa_user_sgpr_dispatch_id 0
		.amdhsa_user_sgpr_kernarg_preload_length 0
		.amdhsa_user_sgpr_kernarg_preload_offset 0
		.amdhsa_user_sgpr_private_segment_size 0
		.amdhsa_uses_dynamic_stack 0
		.amdhsa_enable_private_segment 0
		.amdhsa_system_sgpr_workgroup_id_x 1
		.amdhsa_system_sgpr_workgroup_id_y 0
		.amdhsa_system_sgpr_workgroup_id_z 0
		.amdhsa_system_sgpr_workgroup_info 0
		.amdhsa_system_vgpr_workitem_id 0
		.amdhsa_next_free_vgpr 102
		.amdhsa_next_free_sgpr 22
		.amdhsa_accum_offset 104
		.amdhsa_reserve_vcc 1
		.amdhsa_float_round_mode_32 0
		.amdhsa_float_round_mode_16_64 0
		.amdhsa_float_denorm_mode_32 3
		.amdhsa_float_denorm_mode_16_64 3
		.amdhsa_dx10_clamp 1
		.amdhsa_ieee_mode 1
		.amdhsa_fp16_overflow 0
		.amdhsa_tg_split 0
		.amdhsa_exception_fp_ieee_invalid_op 0
		.amdhsa_exception_fp_denorm_src 0
		.amdhsa_exception_fp_ieee_div_zero 0
		.amdhsa_exception_fp_ieee_overflow 0
		.amdhsa_exception_fp_ieee_underflow 0
		.amdhsa_exception_fp_ieee_inexact 0
		.amdhsa_exception_int_div_zero 0
	.end_amdhsa_kernel
	.section	.text._ZN9rocsparseL18bsrxmvn_4x4_kernelILj128ELj4Efll18rocsparse_bfloat16S1_fEEvT3_20rocsparse_direction_NS_24const_host_device_scalarIT1_EES2_PKS2_PKT2_SB_S8_PKT4_PKT5_S6_PT6_21rocsparse_index_base_b,"axG",@progbits,_ZN9rocsparseL18bsrxmvn_4x4_kernelILj128ELj4Efll18rocsparse_bfloat16S1_fEEvT3_20rocsparse_direction_NS_24const_host_device_scalarIT1_EES2_PKS2_PKT2_SB_S8_PKT4_PKT5_S6_PT6_21rocsparse_index_base_b,comdat
.Lfunc_end115:
	.size	_ZN9rocsparseL18bsrxmvn_4x4_kernelILj128ELj4Efll18rocsparse_bfloat16S1_fEEvT3_20rocsparse_direction_NS_24const_host_device_scalarIT1_EES2_PKS2_PKT2_SB_S8_PKT4_PKT5_S6_PT6_21rocsparse_index_base_b, .Lfunc_end115-_ZN9rocsparseL18bsrxmvn_4x4_kernelILj128ELj4Efll18rocsparse_bfloat16S1_fEEvT3_20rocsparse_direction_NS_24const_host_device_scalarIT1_EES2_PKS2_PKT2_SB_S8_PKT4_PKT5_S6_PT6_21rocsparse_index_base_b
                                        ; -- End function
	.set _ZN9rocsparseL18bsrxmvn_4x4_kernelILj128ELj4Efll18rocsparse_bfloat16S1_fEEvT3_20rocsparse_direction_NS_24const_host_device_scalarIT1_EES2_PKS2_PKT2_SB_S8_PKT4_PKT5_S6_PT6_21rocsparse_index_base_b.num_vgpr, 102
	.set _ZN9rocsparseL18bsrxmvn_4x4_kernelILj128ELj4Efll18rocsparse_bfloat16S1_fEEvT3_20rocsparse_direction_NS_24const_host_device_scalarIT1_EES2_PKS2_PKT2_SB_S8_PKT4_PKT5_S6_PT6_21rocsparse_index_base_b.num_agpr, 0
	.set _ZN9rocsparseL18bsrxmvn_4x4_kernelILj128ELj4Efll18rocsparse_bfloat16S1_fEEvT3_20rocsparse_direction_NS_24const_host_device_scalarIT1_EES2_PKS2_PKT2_SB_S8_PKT4_PKT5_S6_PT6_21rocsparse_index_base_b.numbered_sgpr, 22
	.set _ZN9rocsparseL18bsrxmvn_4x4_kernelILj128ELj4Efll18rocsparse_bfloat16S1_fEEvT3_20rocsparse_direction_NS_24const_host_device_scalarIT1_EES2_PKS2_PKT2_SB_S8_PKT4_PKT5_S6_PT6_21rocsparse_index_base_b.num_named_barrier, 0
	.set _ZN9rocsparseL18bsrxmvn_4x4_kernelILj128ELj4Efll18rocsparse_bfloat16S1_fEEvT3_20rocsparse_direction_NS_24const_host_device_scalarIT1_EES2_PKS2_PKT2_SB_S8_PKT4_PKT5_S6_PT6_21rocsparse_index_base_b.private_seg_size, 0
	.set _ZN9rocsparseL18bsrxmvn_4x4_kernelILj128ELj4Efll18rocsparse_bfloat16S1_fEEvT3_20rocsparse_direction_NS_24const_host_device_scalarIT1_EES2_PKS2_PKT2_SB_S8_PKT4_PKT5_S6_PT6_21rocsparse_index_base_b.uses_vcc, 1
	.set _ZN9rocsparseL18bsrxmvn_4x4_kernelILj128ELj4Efll18rocsparse_bfloat16S1_fEEvT3_20rocsparse_direction_NS_24const_host_device_scalarIT1_EES2_PKS2_PKT2_SB_S8_PKT4_PKT5_S6_PT6_21rocsparse_index_base_b.uses_flat_scratch, 0
	.set _ZN9rocsparseL18bsrxmvn_4x4_kernelILj128ELj4Efll18rocsparse_bfloat16S1_fEEvT3_20rocsparse_direction_NS_24const_host_device_scalarIT1_EES2_PKS2_PKT2_SB_S8_PKT4_PKT5_S6_PT6_21rocsparse_index_base_b.has_dyn_sized_stack, 0
	.set _ZN9rocsparseL18bsrxmvn_4x4_kernelILj128ELj4Efll18rocsparse_bfloat16S1_fEEvT3_20rocsparse_direction_NS_24const_host_device_scalarIT1_EES2_PKS2_PKT2_SB_S8_PKT4_PKT5_S6_PT6_21rocsparse_index_base_b.has_recursion, 0
	.set _ZN9rocsparseL18bsrxmvn_4x4_kernelILj128ELj4Efll18rocsparse_bfloat16S1_fEEvT3_20rocsparse_direction_NS_24const_host_device_scalarIT1_EES2_PKS2_PKT2_SB_S8_PKT4_PKT5_S6_PT6_21rocsparse_index_base_b.has_indirect_call, 0
	.section	.AMDGPU.csdata,"",@progbits
; Kernel info:
; codeLenInByte = 3880
; TotalNumSgprs: 28
; NumVgprs: 102
; NumAgprs: 0
; TotalNumVgprs: 102
; ScratchSize: 0
; MemoryBound: 0
; FloatMode: 240
; IeeeMode: 1
; LDSByteSize: 0 bytes/workgroup (compile time only)
; SGPRBlocks: 3
; VGPRBlocks: 12
; NumSGPRsForWavesPerEU: 28
; NumVGPRsForWavesPerEU: 102
; AccumOffset: 104
; Occupancy: 4
; WaveLimiterHint : 1
; COMPUTE_PGM_RSRC2:SCRATCH_EN: 0
; COMPUTE_PGM_RSRC2:USER_SGPR: 2
; COMPUTE_PGM_RSRC2:TRAP_HANDLER: 0
; COMPUTE_PGM_RSRC2:TGID_X_EN: 1
; COMPUTE_PGM_RSRC2:TGID_Y_EN: 0
; COMPUTE_PGM_RSRC2:TGID_Z_EN: 0
; COMPUTE_PGM_RSRC2:TIDIG_COMP_CNT: 0
; COMPUTE_PGM_RSRC3_GFX90A:ACCUM_OFFSET: 25
; COMPUTE_PGM_RSRC3_GFX90A:TG_SPLIT: 0
	.section	.text._ZN9rocsparseL18bsrxmvn_4x4_kernelILj128ELj8Efll18rocsparse_bfloat16S1_fEEvT3_20rocsparse_direction_NS_24const_host_device_scalarIT1_EES2_PKS2_PKT2_SB_S8_PKT4_PKT5_S6_PT6_21rocsparse_index_base_b,"axG",@progbits,_ZN9rocsparseL18bsrxmvn_4x4_kernelILj128ELj8Efll18rocsparse_bfloat16S1_fEEvT3_20rocsparse_direction_NS_24const_host_device_scalarIT1_EES2_PKS2_PKT2_SB_S8_PKT4_PKT5_S6_PT6_21rocsparse_index_base_b,comdat
	.globl	_ZN9rocsparseL18bsrxmvn_4x4_kernelILj128ELj8Efll18rocsparse_bfloat16S1_fEEvT3_20rocsparse_direction_NS_24const_host_device_scalarIT1_EES2_PKS2_PKT2_SB_S8_PKT4_PKT5_S6_PT6_21rocsparse_index_base_b ; -- Begin function _ZN9rocsparseL18bsrxmvn_4x4_kernelILj128ELj8Efll18rocsparse_bfloat16S1_fEEvT3_20rocsparse_direction_NS_24const_host_device_scalarIT1_EES2_PKS2_PKT2_SB_S8_PKT4_PKT5_S6_PT6_21rocsparse_index_base_b
	.p2align	8
	.type	_ZN9rocsparseL18bsrxmvn_4x4_kernelILj128ELj8Efll18rocsparse_bfloat16S1_fEEvT3_20rocsparse_direction_NS_24const_host_device_scalarIT1_EES2_PKS2_PKT2_SB_S8_PKT4_PKT5_S6_PT6_21rocsparse_index_base_b,@function
_ZN9rocsparseL18bsrxmvn_4x4_kernelILj128ELj8Efll18rocsparse_bfloat16S1_fEEvT3_20rocsparse_direction_NS_24const_host_device_scalarIT1_EES2_PKS2_PKT2_SB_S8_PKT4_PKT5_S6_PT6_21rocsparse_index_base_b: ; @_ZN9rocsparseL18bsrxmvn_4x4_kernelILj128ELj8Efll18rocsparse_bfloat16S1_fEEvT3_20rocsparse_direction_NS_24const_host_device_scalarIT1_EES2_PKS2_PKT2_SB_S8_PKT4_PKT5_S6_PT6_21rocsparse_index_base_b
; %bb.0:
	s_load_dwordx2 s[4:5], s[0:1], 0x60
	s_load_dwordx4 s[12:15], s[0:1], 0x10
	s_load_dwordx2 s[16:17], s[0:1], 0x50
	s_waitcnt lgkmcnt(0)
	s_bitcmp1_b32 s5, 0
	s_cselect_b64 s[8:9], -1, 0
	s_xor_b64 s[6:7], s[8:9], -1
	s_and_b64 vcc, exec, s[8:9]
	s_cbranch_vccnz .LBB116_2
; %bb.1:
	s_load_dword s12, s[12:13], 0x0
.LBB116_2:
	s_andn2_b64 vcc, exec, s[6:7]
	s_cbranch_vccnz .LBB116_4
; %bb.3:
	s_load_dword s16, s[16:17], 0x0
.LBB116_4:
	s_waitcnt lgkmcnt(0)
	v_cmp_neq_f32_e64 s[6:7], s12, 0
	v_cmp_neq_f32_e64 s[8:9], s16, 1.0
	s_or_b64 s[6:7], s[6:7], s[8:9]
	s_andn2_b64 vcc, exec, s[6:7]
	s_cbranch_vccnz .LBB116_10
; %bb.5:
	s_load_dwordx2 s[6:7], s[0:1], 0x20
	v_lshrrev_b32_e32 v1, 3, v0
	v_lshl_or_b32 v2, s2, 4, v1
	v_mov_b32_e32 v3, 0
	s_mov_b64 s[2:3], 0
	s_waitcnt lgkmcnt(0)
	s_cmp_lg_u64 s[6:7], 0
	s_cbranch_scc0 .LBB116_11
; %bb.6:
	v_cmp_gt_i64_e32 vcc, s[14:15], v[2:3]
                                        ; implicit-def: $vgpr20_vgpr21
                                        ; implicit-def: $vgpr22_vgpr23
	s_and_saveexec_b64 s[8:9], vcc
	s_xor_b64 s[8:9], exec, s[8:9]
	s_cbranch_execz .LBB116_8
; %bb.7:
	v_lshl_add_u64 v[4:5], v[2:3], 3, s[6:7]
	global_load_dwordx2 v[4:5], v[4:5], off
	s_mov_b32 s5, 0
	s_mov_b64 s[2:3], exec
	v_mov_b64_e32 v[22:23], s[4:5]
	s_waitcnt vmcnt(0)
	v_subrev_co_u32_e32 v20, vcc, s4, v4
	s_nop 1
	v_subbrev_co_u32_e32 v21, vcc, 0, v5, vcc
.LBB116_8:
	s_or_b64 exec, exec, s[8:9]
.LBB116_9:
	s_and_saveexec_b64 s[4:5], s[2:3]
	s_cbranch_execnz .LBB116_15
.LBB116_10:
	s_endpgm
.LBB116_11:
                                        ; implicit-def: $vgpr20_vgpr21
                                        ; implicit-def: $vgpr22_vgpr23
	s_cbranch_execz .LBB116_9
; %bb.12:
	s_load_dwordx2 s[6:7], s[0:1], 0x0
	s_waitcnt lgkmcnt(0)
	v_cmp_gt_i64_e32 vcc, s[6:7], v[2:3]
	s_and_saveexec_b64 s[6:7], vcc
; %bb.13:
	s_mov_b32 s5, 0
	s_or_b64 s[2:3], s[2:3], exec
; %bb.14:
	s_or_b64 exec, exec, s[6:7]
	v_mov_b64_e32 v[22:23], s[4:5]
	v_mov_b64_e32 v[20:21], v[2:3]
	s_and_saveexec_b64 s[4:5], s[2:3]
	s_cbranch_execz .LBB116_10
.LBB116_15:
	s_load_dwordx8 s[4:11], s[0:1], 0x28
	v_lshlrev_b64 v[2:3], 3, v[20:21]
	v_and_b32_e32 v24, 7, v0
	v_mov_b32_e32 v25, 0
	s_waitcnt lgkmcnt(0)
	v_lshl_add_u64 v[4:5], s[4:5], 0, v[2:3]
	s_cmp_eq_u64 s[6:7], 0
	v_lshl_add_u64 v[2:3], s[6:7], 0, v[2:3]
	global_load_dwordx2 v[12:13], v[4:5], off
	v_lshl_add_u64 v[4:5], v[4:5], 0, 8
	s_cselect_b64 vcc, -1, 0
	v_cndmask_b32_e32 v3, v3, v5, vcc
	v_cndmask_b32_e32 v2, v2, v4, vcc
	global_load_dwordx2 v[2:3], v[2:3], off
	s_load_dword s2, s[0:1], 0x8
	s_load_dwordx2 s[4:5], s[0:1], 0x48
	s_waitcnt lgkmcnt(0)
	s_cmp_eq_u32 s2, 1
	s_waitcnt vmcnt(1)
	v_sub_co_u32_e32 v0, vcc, v12, v22
	s_nop 1
	v_subb_co_u32_e32 v1, vcc, v13, v23, vcc
	v_lshl_add_u64 v[26:27], v[0:1], 0, v[24:25]
	s_waitcnt vmcnt(0)
	v_sub_co_u32_e32 v28, vcc, v2, v22
	v_lshlrev_b64 v[0:1], 5, v[26:27]
	s_nop 0
	v_subb_co_u32_e32 v29, vcc, v3, v23, vcc
	v_lshl_add_u64 v[30:31], s[10:11], 0, v[0:1]
	v_cmp_lt_i64_e64 s[2:3], v[26:27], v[28:29]
	s_cbranch_scc1 .LBB116_27
; %bb.16:
	v_mov_b32_e32 v32, v25
	v_mov_b32_e32 v35, v25
	v_mov_b32_e32 v34, v25
	s_and_saveexec_b64 s[6:7], s[2:3]
	s_cbranch_execz .LBB116_26
; %bb.17:
	v_or_b32_e32 v0, 8, v24
	v_sub_co_u32_e32 v0, vcc, v0, v22
	v_not_b32_e32 v3, v13
	s_nop 0
	v_subb_co_u32_e32 v1, vcc, 0, v23, vcc
	v_lshl_add_u64 v[0:1], v[0:1], 0, v[12:13]
	v_cmp_gt_i64_e32 vcc, v[0:1], v[28:29]
	v_not_b32_e32 v2, v12
	v_mov_b32_e32 v35, 0
	v_cndmask_b32_e32 v1, v29, v1, vcc
	v_cndmask_b32_e32 v0, v28, v0, vcc
	v_sub_co_u32_e32 v4, vcc, v22, v24
	v_mov_b32_e32 v32, v35
	s_nop 0
	v_subbrev_co_u32_e32 v5, vcc, 0, v23, vcc
	v_lshl_add_u64 v[2:3], v[4:5], 0, v[2:3]
	v_lshl_add_u64 v[0:1], v[2:3], 0, v[0:1]
	v_and_b32_e32 v34, 24, v0
	v_cmp_ne_u64_e32 vcc, 24, v[34:35]
	v_mov_b32_e32 v34, v35
	v_mov_b32_e32 v33, v35
	v_mov_b64_e32 v[14:15], v[26:27]
	v_mov_b64_e32 v[16:17], v[30:31]
	s_and_saveexec_b64 s[10:11], vcc
	s_cbranch_execz .LBB116_21
; %bb.18:
	v_lshrrev_b32_e32 v2, 3, v0
	v_add_u32_e32 v2, 1, v2
	v_and_b32_e32 v4, 3, v2
	v_sub_co_u32_e32 v4, vcc, 0, v4
	v_mov_b32_e32 v33, 0
	s_nop 0
	v_subb_co_u32_e64 v5, s[18:19], 0, 0, vcc
	v_lshl_add_u64 v[2:3], v[26:27], 3, s[8:9]
	s_mov_b64 s[14:15], 0
	s_mov_b64 s[18:19], 0x100
	v_mov_b64_e32 v[16:17], v[30:31]
	v_mov_b64_e32 v[14:15], v[26:27]
	v_mov_b32_e32 v32, v33
	v_mov_b32_e32 v35, v33
	;; [unrolled: 1-line block ×3, first 2 shown]
.LBB116_19:                             ; =>This Inner Loop Header: Depth=1
	global_load_dwordx2 v[10:11], v[2:3], off
	global_load_dwordx4 v[6:9], v[16:17], off
	global_load_dwordx4 v[36:39], v[16:17], off offset:16
	v_lshl_add_u64 v[4:5], v[4:5], 0, 1
	v_lshl_add_u64 v[16:17], v[16:17], 0, s[18:19]
	;; [unrolled: 1-line block ×4, first 2 shown]
	s_waitcnt vmcnt(2)
	v_sub_co_u32_e32 v10, vcc, v10, v22
	s_nop 1
	v_subb_co_u32_e32 v11, vcc, v11, v23, vcc
	v_lshl_add_u64 v[10:11], v[10:11], 3, s[4:5]
	global_load_dwordx2 v[10:11], v[10:11], off
	s_waitcnt vmcnt(2)
	v_and_b32_e32 v18, 0xffff0000, v6
	v_lshlrev_b32_e32 v41, 16, v8
	v_lshlrev_b32_e32 v40, 16, v6
	s_waitcnt vmcnt(1)
	v_and_b32_e32 v6, 0xffff0000, v36
	v_lshlrev_b32_e32 v45, 16, v38
	v_lshlrev_b32_e32 v44, 16, v36
	v_and_b32_e32 v19, 0xffff0000, v8
	v_lshlrev_b32_e32 v42, 16, v7
	v_and_b32_e32 v8, 0xffff0000, v7
	v_and_b32_e32 v7, 0xffff0000, v38
	v_lshlrev_b32_e32 v43, 16, v9
	v_lshlrev_b32_e32 v47, 16, v39
	;; [unrolled: 1-line block ×3, first 2 shown]
	v_cmp_eq_u64_e32 vcc, 0, v[4:5]
	v_and_b32_e32 v9, 0xffff0000, v9
	v_and_b32_e32 v39, 0xffff0000, v39
	;; [unrolled: 1-line block ×3, first 2 shown]
	s_or_b64 s[14:15], vcc, s[14:15]
	s_waitcnt vmcnt(0)
	v_lshlrev_b32_e32 v36, 16, v10
	v_and_b32_e32 v10, 0xffff0000, v10
	v_pk_fma_f32 v[34:35], v[40:41], v[36:37], v[34:35] op_sel_hi:[1,0,1]
	v_pk_fma_f32 v[32:33], v[44:45], v[36:37], v[32:33] op_sel_hi:[1,0,1]
	v_lshlrev_b32_e32 v48, 16, v11
	v_pk_fma_f32 v[18:19], v[18:19], v[10:11], v[34:35] op_sel_hi:[1,0,1]
	v_pk_fma_f32 v[6:7], v[6:7], v[10:11], v[32:33] op_sel_hi:[1,0,1]
	v_and_b32_e32 v50, 0xffff0000, v11
	v_pk_fma_f32 v[10:11], v[42:43], v[48:49], v[18:19] op_sel_hi:[1,0,1]
	v_pk_fma_f32 v[6:7], v[46:47], v[48:49], v[6:7] op_sel_hi:[1,0,1]
	;; [unrolled: 1-line block ×4, first 2 shown]
	s_andn2_b64 exec, exec, s[14:15]
	s_cbranch_execnz .LBB116_19
; %bb.20:
	s_or_b64 exec, exec, s[14:15]
.LBB116_21:
	s_or_b64 exec, exec, s[10:11]
	v_cmp_lt_u64_e32 vcc, 23, v[0:1]
	s_and_saveexec_b64 s[10:11], vcc
	s_cbranch_execz .LBB116_25
; %bb.22:
	v_lshl_add_u64 v[0:1], v[14:15], 3, s[8:9]
	s_mov_b64 s[14:15], 0x80
	v_lshl_add_u64 v[18:19], v[0:1], 0, s[14:15]
	s_mov_b64 s[14:15], 0
	s_mov_b64 s[18:19], 0x100
	;; [unrolled: 1-line block ×3, first 2 shown]
.LBB116_23:                             ; =>This Inner Loop Header: Depth=1
	global_load_dwordx2 v[56:57], v[18:19], off offset:-128
	global_load_dwordx4 v[4:7], v[16:17], off
	global_load_dwordx4 v[0:3], v[16:17], off offset:16
	global_load_dwordx2 v[58:59], v[18:19], off offset:-64
	global_load_dwordx2 v[60:61], v[18:19], off
	global_load_dwordx4 v[36:39], v[16:17], off offset:256
	global_load_dwordx4 v[40:43], v[16:17], off offset:512
	global_load_dwordx2 v[62:63], v[18:19], off offset:64
	global_load_dwordx4 v[8:11], v[16:17], off offset:528
	global_load_dwordx4 v[44:47], v[16:17], off offset:272
	;; [unrolled: 1-line block ×4, first 2 shown]
	v_lshl_add_u64 v[14:15], v[14:15], 0, 32
	v_cmp_ge_i64_e32 vcc, v[14:15], v[28:29]
	s_or_b64 s[14:15], vcc, s[14:15]
	v_lshl_add_u64 v[18:19], v[18:19], 0, s[18:19]
	v_lshl_add_u64 v[16:17], v[16:17], 0, s[20:21]
	s_waitcnt vmcnt(11)
	v_sub_co_u32_e32 v56, vcc, v56, v22
	s_nop 1
	v_subb_co_u32_e32 v57, vcc, v57, v23, vcc
	s_waitcnt vmcnt(8)
	v_sub_co_u32_e32 v58, vcc, v58, v22
	v_and_b32_e32 v64, 0xffff0000, v4
	s_nop 0
	v_subb_co_u32_e32 v59, vcc, v59, v23, vcc
	s_waitcnt vmcnt(7)
	v_sub_co_u32_e32 v60, vcc, v60, v22
	v_lshlrev_b32_e32 v66, 16, v4
	s_nop 0
	v_subb_co_u32_e32 v61, vcc, v61, v23, vcc
	s_waitcnt vmcnt(6)
	v_lshlrev_b32_e32 v4, 16, v36
	v_and_b32_e32 v74, 0xffff0000, v36
	s_waitcnt vmcnt(5)
	v_lshlrev_b32_e32 v36, 16, v40
	v_and_b32_e32 v78, 0xffff0000, v40
	s_waitcnt vmcnt(4)
	v_sub_co_u32_e32 v40, vcc, v62, v22
	v_lshlrev_b32_e32 v67, 16, v6
	v_and_b32_e32 v65, 0xffff0000, v6
	v_lshlrev_b32_e32 v72, 16, v5
	v_and_b32_e32 v6, 0xffff0000, v5
	;; [unrolled: 2-line block ×6, first 2 shown]
	v_subb_co_u32_e32 v41, vcc, v63, v23, vcc
	v_lshl_add_u64 v[56:57], v[56:57], 3, s[4:5]
	v_lshl_add_u64 v[58:59], v[58:59], 3, s[4:5]
	;; [unrolled: 1-line block ×4, first 2 shown]
	global_load_dwordx2 v[62:63], v[56:57], off
	global_load_dwordx2 v[82:83], v[58:59], off
	;; [unrolled: 1-line block ×4, first 2 shown]
	v_and_b32_e32 v68, 0xffff0000, v0
	v_lshlrev_b32_e32 v71, 16, v2
	v_lshlrev_b32_e32 v70, 16, v0
	s_waitcnt vmcnt(6)
	v_lshlrev_b32_e32 v0, 16, v44
	v_and_b32_e32 v56, 0xffff0000, v44
	v_lshlrev_b32_e32 v44, 16, v8
	v_and_b32_e32 v60, 0xffff0000, v8
	s_waitcnt vmcnt(5)
	v_lshlrev_b32_e32 v8, 16, v48
	v_and_b32_e32 v90, 0xffff0000, v48
	s_waitcnt vmcnt(4)
	v_lshlrev_b32_e32 v48, 16, v52
	v_and_b32_e32 v94, 0xffff0000, v52
	v_and_b32_e32 v69, 0xffff0000, v2
	v_lshlrev_b32_e32 v73, 16, v7
	v_lshlrev_b32_e32 v41, 16, v3
	v_lshlrev_b32_e32 v40, 16, v1
	v_and_b32_e32 v7, 0xffff0000, v7
	v_and_b32_e32 v3, 0xffff0000, v3
	v_and_b32_e32 v2, 0xffff0000, v1
	v_lshlrev_b32_e32 v1, 16, v46
	v_and_b32_e32 v57, 0xffff0000, v46
	v_lshlrev_b32_e32 v77, 16, v39
	v_lshlrev_b32_e32 v59, 16, v47
	v_lshlrev_b32_e32 v58, 16, v45
	v_and_b32_e32 v39, 0xffff0000, v39
	v_and_b32_e32 v47, 0xffff0000, v47
	v_and_b32_e32 v46, 0xffff0000, v45
	v_lshlrev_b32_e32 v45, 16, v10
	;; [unrolled: 8-line block ×3, first 2 shown]
	v_and_b32_e32 v91, 0xffff0000, v50
	v_lshlrev_b32_e32 v92, 16, v49
	v_and_b32_e32 v50, 0xffff0000, v49
	v_lshlrev_b32_e32 v49, 16, v54
	;; [unrolled: 2-line block ×3, first 2 shown]
	v_lshlrev_b32_e32 v97, 16, v55
	v_lshlrev_b32_e32 v96, 16, v53
	v_and_b32_e32 v51, 0xffff0000, v51
	v_and_b32_e32 v55, 0xffff0000, v55
	;; [unrolled: 1-line block ×3, first 2 shown]
	s_waitcnt vmcnt(3)
	v_lshlrev_b32_e32 v52, 16, v62
	v_and_b32_e32 v62, 0xffff0000, v62
	v_pk_fma_f32 v[34:35], v[66:67], v[52:53], v[34:35] op_sel_hi:[1,0,1]
	v_pk_fma_f32 v[32:33], v[70:71], v[52:53], v[32:33] op_sel_hi:[1,0,1]
	v_lshlrev_b32_e32 v98, 16, v63
	v_pk_fma_f32 v[34:35], v[64:65], v[62:63], v[34:35] op_sel_hi:[1,0,1]
	v_pk_fma_f32 v[32:33], v[68:69], v[62:63], v[32:33] op_sel_hi:[1,0,1]
	v_and_b32_e32 v100, 0xffff0000, v63
	v_pk_fma_f32 v[34:35], v[72:73], v[98:99], v[34:35] op_sel_hi:[1,0,1]
	v_pk_fma_f32 v[32:33], v[40:41], v[98:99], v[32:33] op_sel_hi:[1,0,1]
	s_waitcnt vmcnt(2)
	v_lshlrev_b32_e32 v66, 16, v82
	v_pk_fma_f32 v[6:7], v[6:7], v[100:101], v[34:35] op_sel_hi:[1,0,1]
	v_pk_fma_f32 v[2:3], v[2:3], v[100:101], v[32:33] op_sel_hi:[1,0,1]
	v_and_b32_e32 v52, 0xffff0000, v82
	v_pk_fma_f32 v[4:5], v[4:5], v[66:67], v[6:7] op_sel_hi:[1,0,1]
	v_pk_fma_f32 v[0:1], v[0:1], v[66:67], v[2:3] op_sel_hi:[1,0,1]
	v_lshlrev_b32_e32 v70, 16, v83
	v_pk_fma_f32 v[2:3], v[74:75], v[52:53], v[4:5] op_sel_hi:[1,0,1]
	v_pk_fma_f32 v[0:1], v[56:57], v[52:53], v[0:1] op_sel_hi:[1,0,1]
	v_and_b32_e32 v82, 0xffff0000, v83
	v_pk_fma_f32 v[2:3], v[76:77], v[70:71], v[2:3] op_sel_hi:[1,0,1]
	v_pk_fma_f32 v[0:1], v[58:59], v[70:71], v[0:1] op_sel_hi:[1,0,1]
	s_waitcnt vmcnt(1)
	v_lshlrev_b32_e32 v64, 16, v84
	v_pk_fma_f32 v[2:3], v[38:39], v[82:83], v[2:3] op_sel_hi:[1,0,1]
	v_pk_fma_f32 v[0:1], v[46:47], v[82:83], v[0:1] op_sel_hi:[1,0,1]
	;; [unrolled: 13-line block ×3, first 2 shown]
	v_and_b32_e32 v40, 0xffff0000, v86
	v_pk_fma_f32 v[2:3], v[8:9], v[72:73], v[2:3] op_sel_hi:[1,0,1]
	v_pk_fma_f32 v[0:1], v[48:49], v[72:73], v[0:1] op_sel_hi:[1,0,1]
	v_lshlrev_b32_e32 v86, 16, v87
	v_pk_fma_f32 v[2:3], v[90:91], v[40:41], v[2:3] op_sel_hi:[1,0,1]
	v_pk_fma_f32 v[0:1], v[94:95], v[40:41], v[0:1] op_sel_hi:[1,0,1]
	v_and_b32_e32 v98, 0xffff0000, v87
	v_pk_fma_f32 v[2:3], v[92:93], v[86:87], v[2:3] op_sel_hi:[1,0,1]
	v_pk_fma_f32 v[0:1], v[96:97], v[86:87], v[0:1] op_sel_hi:[1,0,1]
	;; [unrolled: 1-line block ×4, first 2 shown]
	s_andn2_b64 exec, exec, s[14:15]
	s_cbranch_execnz .LBB116_23
; %bb.24:
	s_or_b64 exec, exec, s[14:15]
.LBB116_25:
	s_or_b64 exec, exec, s[10:11]
	v_mov_b32_e32 v25, v33
.LBB116_26:
	s_or_b64 exec, exec, s[6:7]
	v_mov_b32_e32 v33, v25
	s_cbranch_execz .LBB116_28
	s_branch .LBB116_39
.LBB116_27:
                                        ; implicit-def: $vgpr33
                                        ; implicit-def: $vgpr35
.LBB116_28:
	v_mov_b32_e32 v33, 0
	v_mov_b32_e32 v32, 0
	;; [unrolled: 1-line block ×4, first 2 shown]
	s_and_saveexec_b64 s[6:7], s[2:3]
	s_cbranch_execz .LBB116_38
; %bb.29:
	v_or_b32_e32 v0, 8, v24
	v_sub_co_u32_e32 v0, vcc, v0, v22
	v_not_b32_e32 v3, v13
	s_nop 0
	v_subb_co_u32_e32 v1, vcc, 0, v23, vcc
	v_lshl_add_u64 v[0:1], v[0:1], 0, v[12:13]
	v_cmp_gt_i64_e32 vcc, v[0:1], v[28:29]
	v_not_b32_e32 v2, v12
	v_mov_b32_e32 v35, 0
	v_cndmask_b32_e32 v1, v29, v1, vcc
	v_cndmask_b32_e32 v0, v28, v0, vcc
	v_sub_co_u32_e32 v4, vcc, v22, v24
	v_mov_b32_e32 v32, v35
	s_nop 0
	v_subbrev_co_u32_e32 v5, vcc, 0, v23, vcc
	v_lshl_add_u64 v[2:3], v[4:5], 0, v[2:3]
	v_lshl_add_u64 v[0:1], v[2:3], 0, v[0:1]
	v_and_b32_e32 v34, 24, v0
	v_cmp_ne_u64_e32 vcc, 24, v[34:35]
	v_mov_b32_e32 v34, v35
	v_mov_b32_e32 v33, v35
	s_and_saveexec_b64 s[2:3], vcc
	s_cbranch_execz .LBB116_33
; %bb.30:
	v_lshrrev_b32_e32 v2, 3, v0
	v_add_u32_e32 v2, 1, v2
	v_and_b32_e32 v4, 3, v2
	v_sub_co_u32_e32 v4, vcc, 0, v4
	v_mov_b32_e32 v33, 0
	s_nop 0
	v_subb_co_u32_e64 v5, s[14:15], 0, 0, vcc
	v_lshl_add_u64 v[2:3], v[26:27], 3, s[8:9]
	s_mov_b64 s[10:11], 0
	s_mov_b64 s[14:15], 0x100
	v_mov_b32_e32 v32, v33
	v_mov_b32_e32 v35, v33
	;; [unrolled: 1-line block ×3, first 2 shown]
.LBB116_31:                             ; =>This Inner Loop Header: Depth=1
	global_load_dwordx2 v[10:11], v[2:3], off
	global_load_dwordx4 v[6:9], v[30:31], off
	v_lshl_add_u64 v[4:5], v[4:5], 0, 1
	v_lshl_add_u64 v[26:27], v[26:27], 0, 8
	;; [unrolled: 1-line block ×3, first 2 shown]
	s_waitcnt vmcnt(1)
	v_sub_co_u32_e32 v10, vcc, v10, v22
	s_nop 1
	v_subb_co_u32_e32 v11, vcc, v11, v23, vcc
	v_lshl_add_u64 v[14:15], v[10:11], 3, s[4:5]
	global_load_dwordx2 v[16:17], v[14:15], off
	global_load_dwordx4 v[10:13], v[30:31], off offset:16
	s_waitcnt vmcnt(2)
	v_and_b32_e32 v15, 0xffff0000, v6
	v_lshlrev_b32_e32 v14, 16, v6
	v_and_b32_e32 v19, 0xffff0000, v7
	v_lshlrev_b32_e32 v18, 16, v7
	;; [unrolled: 2-line block ×4, first 2 shown]
	v_cmp_eq_u64_e32 vcc, 0, v[4:5]
	v_lshl_add_u64 v[30:31], v[30:31], 0, s[14:15]
	s_or_b64 s[10:11], vcc, s[10:11]
	s_waitcnt vmcnt(1)
	v_lshlrev_b32_e32 v42, 16, v17
	s_waitcnt vmcnt(0)
	v_and_b32_e32 v39, 0xffff0000, v12
	v_lshlrev_b32_e32 v38, 16, v12
	v_lshlrev_b32_e32 v12, 16, v16
	v_and_b32_e32 v9, 0xffff0000, v10
	v_lshlrev_b32_e32 v8, 16, v10
	v_and_b32_e32 v41, 0xffff0000, v11
	;; [unrolled: 2-line block ×4, first 2 shown]
	v_pk_fma_f32 v[14:15], v[14:15], v[12:13], v[34:35] op_sel_hi:[1,0,1]
	v_pk_fma_f32 v[12:13], v[18:19], v[12:13], v[32:33] op_sel_hi:[1,0,1]
	;; [unrolled: 1-line block ×4, first 2 shown]
	v_and_b32_e32 v44, 0xffff0000, v17
	v_pk_fma_f32 v[6:7], v[8:9], v[42:43], v[6:7] op_sel_hi:[1,0,1]
	v_pk_fma_f32 v[8:9], v[40:41], v[42:43], v[12:13] op_sel_hi:[1,0,1]
	;; [unrolled: 1-line block ×4, first 2 shown]
	s_andn2_b64 exec, exec, s[10:11]
	s_cbranch_execnz .LBB116_31
; %bb.32:
	s_or_b64 exec, exec, s[10:11]
.LBB116_33:
	s_or_b64 exec, exec, s[2:3]
	v_cmp_lt_u64_e32 vcc, 23, v[0:1]
	s_and_saveexec_b64 s[2:3], vcc
	s_cbranch_execz .LBB116_37
; %bb.34:
	v_lshl_add_u64 v[0:1], v[26:27], 3, s[8:9]
	s_mov_b64 s[8:9], 0x80
	v_lshl_add_u64 v[36:37], v[0:1], 0, s[8:9]
	s_mov_b64 s[8:9], 0
	s_mov_b64 s[10:11], 0x100
	;; [unrolled: 1-line block ×3, first 2 shown]
.LBB116_35:                             ; =>This Inner Loop Header: Depth=1
	global_load_dwordx4 v[4:7], v[30:31], off
	global_load_dwordx4 v[0:3], v[30:31], off offset:16
	global_load_dwordx4 v[8:11], v[30:31], off offset:256
	;; [unrolled: 1-line block ×4, first 2 shown]
	global_load_dwordx2 v[50:51], v[36:37], off offset:-128
	global_load_dwordx2 v[52:53], v[36:37], off offset:-64
	global_load_dwordx2 v[54:55], v[36:37], off
	global_load_dwordx2 v[56:57], v[36:37], off offset:64
	global_load_dwordx4 v[38:41], v[30:31], off offset:528
	global_load_dwordx4 v[42:45], v[30:31], off offset:768
	;; [unrolled: 1-line block ×3, first 2 shown]
	v_lshl_add_u64 v[26:27], v[26:27], 0, 32
	v_cmp_ge_i64_e32 vcc, v[26:27], v[28:29]
	s_or_b64 s[8:9], vcc, s[8:9]
	v_lshl_add_u64 v[36:37], v[36:37], 0, s[10:11]
	v_lshl_add_u64 v[30:31], v[30:31], 0, s[14:15]
	s_waitcnt vmcnt(11)
	v_and_b32_e32 v59, 0xffff0000, v4
	v_lshlrev_b32_e32 v58, 16, v4
	s_waitcnt vmcnt(9)
	v_and_b32_e32 v67, 0xffff0000, v8
	v_lshlrev_b32_e32 v66, 16, v8
	v_and_b32_e32 v61, 0xffff0000, v5
	s_waitcnt vmcnt(6)
	v_sub_co_u32_e32 v8, vcc, v50, v22
	v_lshlrev_b32_e32 v60, 16, v5
	v_and_b32_e32 v5, 0xffff0000, v6
	v_lshlrev_b32_e32 v4, 16, v6
	v_and_b32_e32 v63, 0xffff0000, v7
	;; [unrolled: 2-line block ×7, first 2 shown]
	v_lshlrev_b32_e32 v2, 16, v9
	v_subb_co_u32_e32 v9, vcc, v51, v23, vcc
	s_waitcnt vmcnt(5)
	v_sub_co_u32_e32 v50, vcc, v52, v22
	v_lshl_add_u64 v[8:9], v[8:9], 3, s[4:5]
	s_nop 0
	v_subb_co_u32_e32 v51, vcc, v53, v23, vcc
	s_waitcnt vmcnt(4)
	v_sub_co_u32_e32 v52, vcc, v54, v22
	v_lshl_add_u64 v[50:51], v[50:51], 3, s[4:5]
	s_nop 0
	;; [unrolled: 5-line block ×3, first 2 shown]
	v_subb_co_u32_e32 v55, vcc, v57, v23, vcc
	v_lshl_add_u64 v[54:55], v[54:55], 3, s[4:5]
	global_load_dwordx2 v[56:57], v[8:9], off
	global_load_dwordx2 v[78:79], v[50:51], off
	;; [unrolled: 1-line block ×4, first 2 shown]
	s_waitcnt vmcnt(4)
	v_and_b32_e32 v89, 0xffff0000, v48
	v_lshlrev_b32_e32 v88, 16, v48
	v_and_b32_e32 v69, 0xffff0000, v10
	v_lshlrev_b32_e32 v68, 16, v10
	;; [unrolled: 2-line block ×22, first 2 shown]
	s_waitcnt vmcnt(3)
	v_lshlrev_b32_e32 v48, 16, v56
	v_and_b32_e32 v56, 0xffff0000, v56
	v_pk_fma_f32 v[34:35], v[58:59], v[48:49], v[34:35] op_sel_hi:[1,0,1]
	v_pk_fma_f32 v[32:33], v[60:61], v[48:49], v[32:33] op_sel_hi:[1,0,1]
	v_lshlrev_b32_e32 v92, 16, v57
	v_pk_fma_f32 v[4:5], v[4:5], v[56:57], v[34:35] op_sel_hi:[1,0,1]
	v_pk_fma_f32 v[32:33], v[62:63], v[56:57], v[32:33] op_sel_hi:[1,0,1]
	v_and_b32_e32 v94, 0xffff0000, v57
	v_pk_fma_f32 v[4:5], v[6:7], v[92:93], v[4:5] op_sel_hi:[1,0,1]
	v_pk_fma_f32 v[32:33], v[76:77], v[92:93], v[32:33] op_sel_hi:[1,0,1]
	s_waitcnt vmcnt(2)
	v_lshlrev_b32_e32 v58, 16, v78
	v_pk_fma_f32 v[4:5], v[64:65], v[94:95], v[4:5] op_sel_hi:[1,0,1]
	v_pk_fma_f32 v[0:1], v[0:1], v[94:95], v[32:33] op_sel_hi:[1,0,1]
	v_and_b32_e32 v48, 0xffff0000, v78
	v_pk_fma_f32 v[4:5], v[66:67], v[58:59], v[4:5] op_sel_hi:[1,0,1]
	v_pk_fma_f32 v[0:1], v[2:3], v[58:59], v[0:1] op_sel_hi:[1,0,1]
	v_lshlrev_b32_e32 v60, 16, v79
	v_pk_fma_f32 v[2:3], v[68:69], v[48:49], v[4:5] op_sel_hi:[1,0,1]
	v_pk_fma_f32 v[0:1], v[8:9], v[48:49], v[0:1] op_sel_hi:[1,0,1]
	v_and_b32_e32 v78, 0xffff0000, v79
	v_pk_fma_f32 v[2:3], v[70:71], v[60:61], v[2:3] op_sel_hi:[1,0,1]
	v_pk_fma_f32 v[0:1], v[10:11], v[60:61], v[0:1] op_sel_hi:[1,0,1]
	s_waitcnt vmcnt(1)
	v_lshlrev_b32_e32 v34, 16, v80
	v_pk_fma_f32 v[2:3], v[72:73], v[78:79], v[2:3] op_sel_hi:[1,0,1]
	v_pk_fma_f32 v[0:1], v[12:13], v[78:79], v[0:1] op_sel_hi:[1,0,1]
	;; [unrolled: 13-line block ×3, first 2 shown]
	v_and_b32_e32 v76, 0xffff0000, v82
	v_pk_fma_f32 v[2:3], v[40:41], v[6:7], v[2:3] op_sel_hi:[1,0,1]
	v_pk_fma_f32 v[0:1], v[84:85], v[6:7], v[0:1] op_sel_hi:[1,0,1]
	v_lshlrev_b32_e32 v82, 16, v83
	v_pk_fma_f32 v[2:3], v[42:43], v[76:77], v[2:3] op_sel_hi:[1,0,1]
	v_pk_fma_f32 v[0:1], v[86:87], v[76:77], v[0:1] op_sel_hi:[1,0,1]
	v_and_b32_e32 v92, 0xffff0000, v83
	v_pk_fma_f32 v[2:3], v[44:45], v[82:83], v[2:3] op_sel_hi:[1,0,1]
	v_pk_fma_f32 v[0:1], v[90:91], v[82:83], v[0:1] op_sel_hi:[1,0,1]
	;; [unrolled: 1-line block ×4, first 2 shown]
	s_andn2_b64 exec, exec, s[8:9]
	s_cbranch_execnz .LBB116_35
; %bb.36:
	s_or_b64 exec, exec, s[8:9]
.LBB116_37:
	s_or_b64 exec, exec, s[2:3]
.LBB116_38:
	s_or_b64 exec, exec, s[6:7]
.LBB116_39:
	v_mov_b32_dpp v0, v34 row_shr:1 row_mask:0xf bank_mask:0xf
	v_mov_b32_dpp v1, v35 row_shr:1 row_mask:0xf bank_mask:0xf
	;; [unrolled: 1-line block ×4, first 2 shown]
	v_pk_add_f32 v[0:1], v[34:35], v[0:1]
	v_pk_add_f32 v[4:5], v[32:33], v[4:5]
	v_cmp_eq_u32_e32 vcc, 7, v24
	v_mov_b32_dpp v2, v0 row_shr:2 row_mask:0xf bank_mask:0xf
	v_mov_b32_dpp v3, v1 row_shr:2 row_mask:0xf bank_mask:0xf
	;; [unrolled: 1-line block ×4, first 2 shown]
	v_pk_add_f32 v[0:1], v[0:1], v[2:3]
	v_pk_add_f32 v[6:7], v[4:5], v[6:7]
	s_nop 0
	v_mov_b32_dpp v2, v0 row_shr:4 row_mask:0xf bank_mask:0xe
	v_mov_b32_dpp v3, v1 row_shr:4 row_mask:0xf bank_mask:0xe
	;; [unrolled: 1-line block ×4, first 2 shown]
	s_and_b64 exec, exec, vcc
	s_cbranch_execz .LBB116_10
; %bb.40:
	s_load_dwordx2 s[0:1], s[0:1], 0x58
	v_cmp_eq_f32_e64 s[2:3], s16, 0
	v_pk_add_f32 v[4:5], v[0:1], v[2:3]
	v_pk_add_f32 v[2:3], v[6:7], v[8:9]
	s_and_b64 vcc, exec, s[2:3]
	s_waitcnt lgkmcnt(0)
	v_lshl_add_u64 v[0:1], v[20:21], 4, s[0:1]
	s_cbranch_vccz .LBB116_42
; %bb.41:
	v_pk_mul_f32 v[6:7], s[12:13], v[4:5] op_sel_hi:[0,1]
	v_pk_mul_f32 v[8:9], s[12:13], v[2:3] op_sel_hi:[0,1]
	global_store_dwordx4 v[0:1], v[6:9], off
	s_cbranch_execnz .LBB116_10
	s_branch .LBB116_43
.LBB116_42:
.LBB116_43:
	global_load_dwordx4 v[6:9], v[0:1], off
	v_pk_mul_f32 v[4:5], s[12:13], v[4:5] op_sel_hi:[0,1]
	v_pk_mul_f32 v[10:11], s[12:13], v[2:3] op_sel_hi:[0,1]
	s_waitcnt vmcnt(0)
	v_pk_fma_f32 v[2:3], s[16:17], v[6:7], v[4:5] op_sel_hi:[0,1,1]
	v_pk_fma_f32 v[4:5], s[16:17], v[8:9], v[10:11] op_sel_hi:[0,1,1]
	global_store_dwordx4 v[0:1], v[2:5], off
	s_endpgm
	.section	.rodata,"a",@progbits
	.p2align	6, 0x0
	.amdhsa_kernel _ZN9rocsparseL18bsrxmvn_4x4_kernelILj128ELj8Efll18rocsparse_bfloat16S1_fEEvT3_20rocsparse_direction_NS_24const_host_device_scalarIT1_EES2_PKS2_PKT2_SB_S8_PKT4_PKT5_S6_PT6_21rocsparse_index_base_b
		.amdhsa_group_segment_fixed_size 0
		.amdhsa_private_segment_fixed_size 0
		.amdhsa_kernarg_size 104
		.amdhsa_user_sgpr_count 2
		.amdhsa_user_sgpr_dispatch_ptr 0
		.amdhsa_user_sgpr_queue_ptr 0
		.amdhsa_user_sgpr_kernarg_segment_ptr 1
		.amdhsa_user_sgpr_dispatch_id 0
		.amdhsa_user_sgpr_kernarg_preload_length 0
		.amdhsa_user_sgpr_kernarg_preload_offset 0
		.amdhsa_user_sgpr_private_segment_size 0
		.amdhsa_uses_dynamic_stack 0
		.amdhsa_enable_private_segment 0
		.amdhsa_system_sgpr_workgroup_id_x 1
		.amdhsa_system_sgpr_workgroup_id_y 0
		.amdhsa_system_sgpr_workgroup_id_z 0
		.amdhsa_system_sgpr_workgroup_info 0
		.amdhsa_system_vgpr_workitem_id 0
		.amdhsa_next_free_vgpr 102
		.amdhsa_next_free_sgpr 22
		.amdhsa_accum_offset 104
		.amdhsa_reserve_vcc 1
		.amdhsa_float_round_mode_32 0
		.amdhsa_float_round_mode_16_64 0
		.amdhsa_float_denorm_mode_32 3
		.amdhsa_float_denorm_mode_16_64 3
		.amdhsa_dx10_clamp 1
		.amdhsa_ieee_mode 1
		.amdhsa_fp16_overflow 0
		.amdhsa_tg_split 0
		.amdhsa_exception_fp_ieee_invalid_op 0
		.amdhsa_exception_fp_denorm_src 0
		.amdhsa_exception_fp_ieee_div_zero 0
		.amdhsa_exception_fp_ieee_overflow 0
		.amdhsa_exception_fp_ieee_underflow 0
		.amdhsa_exception_fp_ieee_inexact 0
		.amdhsa_exception_int_div_zero 0
	.end_amdhsa_kernel
	.section	.text._ZN9rocsparseL18bsrxmvn_4x4_kernelILj128ELj8Efll18rocsparse_bfloat16S1_fEEvT3_20rocsparse_direction_NS_24const_host_device_scalarIT1_EES2_PKS2_PKT2_SB_S8_PKT4_PKT5_S6_PT6_21rocsparse_index_base_b,"axG",@progbits,_ZN9rocsparseL18bsrxmvn_4x4_kernelILj128ELj8Efll18rocsparse_bfloat16S1_fEEvT3_20rocsparse_direction_NS_24const_host_device_scalarIT1_EES2_PKS2_PKT2_SB_S8_PKT4_PKT5_S6_PT6_21rocsparse_index_base_b,comdat
.Lfunc_end116:
	.size	_ZN9rocsparseL18bsrxmvn_4x4_kernelILj128ELj8Efll18rocsparse_bfloat16S1_fEEvT3_20rocsparse_direction_NS_24const_host_device_scalarIT1_EES2_PKS2_PKT2_SB_S8_PKT4_PKT5_S6_PT6_21rocsparse_index_base_b, .Lfunc_end116-_ZN9rocsparseL18bsrxmvn_4x4_kernelILj128ELj8Efll18rocsparse_bfloat16S1_fEEvT3_20rocsparse_direction_NS_24const_host_device_scalarIT1_EES2_PKS2_PKT2_SB_S8_PKT4_PKT5_S6_PT6_21rocsparse_index_base_b
                                        ; -- End function
	.set _ZN9rocsparseL18bsrxmvn_4x4_kernelILj128ELj8Efll18rocsparse_bfloat16S1_fEEvT3_20rocsparse_direction_NS_24const_host_device_scalarIT1_EES2_PKS2_PKT2_SB_S8_PKT4_PKT5_S6_PT6_21rocsparse_index_base_b.num_vgpr, 102
	.set _ZN9rocsparseL18bsrxmvn_4x4_kernelILj128ELj8Efll18rocsparse_bfloat16S1_fEEvT3_20rocsparse_direction_NS_24const_host_device_scalarIT1_EES2_PKS2_PKT2_SB_S8_PKT4_PKT5_S6_PT6_21rocsparse_index_base_b.num_agpr, 0
	.set _ZN9rocsparseL18bsrxmvn_4x4_kernelILj128ELj8Efll18rocsparse_bfloat16S1_fEEvT3_20rocsparse_direction_NS_24const_host_device_scalarIT1_EES2_PKS2_PKT2_SB_S8_PKT4_PKT5_S6_PT6_21rocsparse_index_base_b.numbered_sgpr, 22
	.set _ZN9rocsparseL18bsrxmvn_4x4_kernelILj128ELj8Efll18rocsparse_bfloat16S1_fEEvT3_20rocsparse_direction_NS_24const_host_device_scalarIT1_EES2_PKS2_PKT2_SB_S8_PKT4_PKT5_S6_PT6_21rocsparse_index_base_b.num_named_barrier, 0
	.set _ZN9rocsparseL18bsrxmvn_4x4_kernelILj128ELj8Efll18rocsparse_bfloat16S1_fEEvT3_20rocsparse_direction_NS_24const_host_device_scalarIT1_EES2_PKS2_PKT2_SB_S8_PKT4_PKT5_S6_PT6_21rocsparse_index_base_b.private_seg_size, 0
	.set _ZN9rocsparseL18bsrxmvn_4x4_kernelILj128ELj8Efll18rocsparse_bfloat16S1_fEEvT3_20rocsparse_direction_NS_24const_host_device_scalarIT1_EES2_PKS2_PKT2_SB_S8_PKT4_PKT5_S6_PT6_21rocsparse_index_base_b.uses_vcc, 1
	.set _ZN9rocsparseL18bsrxmvn_4x4_kernelILj128ELj8Efll18rocsparse_bfloat16S1_fEEvT3_20rocsparse_direction_NS_24const_host_device_scalarIT1_EES2_PKS2_PKT2_SB_S8_PKT4_PKT5_S6_PT6_21rocsparse_index_base_b.uses_flat_scratch, 0
	.set _ZN9rocsparseL18bsrxmvn_4x4_kernelILj128ELj8Efll18rocsparse_bfloat16S1_fEEvT3_20rocsparse_direction_NS_24const_host_device_scalarIT1_EES2_PKS2_PKT2_SB_S8_PKT4_PKT5_S6_PT6_21rocsparse_index_base_b.has_dyn_sized_stack, 0
	.set _ZN9rocsparseL18bsrxmvn_4x4_kernelILj128ELj8Efll18rocsparse_bfloat16S1_fEEvT3_20rocsparse_direction_NS_24const_host_device_scalarIT1_EES2_PKS2_PKT2_SB_S8_PKT4_PKT5_S6_PT6_21rocsparse_index_base_b.has_recursion, 0
	.set _ZN9rocsparseL18bsrxmvn_4x4_kernelILj128ELj8Efll18rocsparse_bfloat16S1_fEEvT3_20rocsparse_direction_NS_24const_host_device_scalarIT1_EES2_PKS2_PKT2_SB_S8_PKT4_PKT5_S6_PT6_21rocsparse_index_base_b.has_indirect_call, 0
	.section	.AMDGPU.csdata,"",@progbits
; Kernel info:
; codeLenInByte = 3952
; TotalNumSgprs: 28
; NumVgprs: 102
; NumAgprs: 0
; TotalNumVgprs: 102
; ScratchSize: 0
; MemoryBound: 0
; FloatMode: 240
; IeeeMode: 1
; LDSByteSize: 0 bytes/workgroup (compile time only)
; SGPRBlocks: 3
; VGPRBlocks: 12
; NumSGPRsForWavesPerEU: 28
; NumVGPRsForWavesPerEU: 102
; AccumOffset: 104
; Occupancy: 4
; WaveLimiterHint : 1
; COMPUTE_PGM_RSRC2:SCRATCH_EN: 0
; COMPUTE_PGM_RSRC2:USER_SGPR: 2
; COMPUTE_PGM_RSRC2:TRAP_HANDLER: 0
; COMPUTE_PGM_RSRC2:TGID_X_EN: 1
; COMPUTE_PGM_RSRC2:TGID_Y_EN: 0
; COMPUTE_PGM_RSRC2:TGID_Z_EN: 0
; COMPUTE_PGM_RSRC2:TIDIG_COMP_CNT: 0
; COMPUTE_PGM_RSRC3_GFX90A:ACCUM_OFFSET: 25
; COMPUTE_PGM_RSRC3_GFX90A:TG_SPLIT: 0
	.section	.text._ZN9rocsparseL18bsrxmvn_4x4_kernelILj128ELj16Efll18rocsparse_bfloat16S1_fEEvT3_20rocsparse_direction_NS_24const_host_device_scalarIT1_EES2_PKS2_PKT2_SB_S8_PKT4_PKT5_S6_PT6_21rocsparse_index_base_b,"axG",@progbits,_ZN9rocsparseL18bsrxmvn_4x4_kernelILj128ELj16Efll18rocsparse_bfloat16S1_fEEvT3_20rocsparse_direction_NS_24const_host_device_scalarIT1_EES2_PKS2_PKT2_SB_S8_PKT4_PKT5_S6_PT6_21rocsparse_index_base_b,comdat
	.globl	_ZN9rocsparseL18bsrxmvn_4x4_kernelILj128ELj16Efll18rocsparse_bfloat16S1_fEEvT3_20rocsparse_direction_NS_24const_host_device_scalarIT1_EES2_PKS2_PKT2_SB_S8_PKT4_PKT5_S6_PT6_21rocsparse_index_base_b ; -- Begin function _ZN9rocsparseL18bsrxmvn_4x4_kernelILj128ELj16Efll18rocsparse_bfloat16S1_fEEvT3_20rocsparse_direction_NS_24const_host_device_scalarIT1_EES2_PKS2_PKT2_SB_S8_PKT4_PKT5_S6_PT6_21rocsparse_index_base_b
	.p2align	8
	.type	_ZN9rocsparseL18bsrxmvn_4x4_kernelILj128ELj16Efll18rocsparse_bfloat16S1_fEEvT3_20rocsparse_direction_NS_24const_host_device_scalarIT1_EES2_PKS2_PKT2_SB_S8_PKT4_PKT5_S6_PT6_21rocsparse_index_base_b,@function
_ZN9rocsparseL18bsrxmvn_4x4_kernelILj128ELj16Efll18rocsparse_bfloat16S1_fEEvT3_20rocsparse_direction_NS_24const_host_device_scalarIT1_EES2_PKS2_PKT2_SB_S8_PKT4_PKT5_S6_PT6_21rocsparse_index_base_b: ; @_ZN9rocsparseL18bsrxmvn_4x4_kernelILj128ELj16Efll18rocsparse_bfloat16S1_fEEvT3_20rocsparse_direction_NS_24const_host_device_scalarIT1_EES2_PKS2_PKT2_SB_S8_PKT4_PKT5_S6_PT6_21rocsparse_index_base_b
; %bb.0:
	s_load_dwordx2 s[4:5], s[0:1], 0x60
	s_load_dwordx4 s[12:15], s[0:1], 0x10
	s_load_dwordx2 s[16:17], s[0:1], 0x50
	s_waitcnt lgkmcnt(0)
	s_bitcmp1_b32 s5, 0
	s_cselect_b64 s[8:9], -1, 0
	s_xor_b64 s[6:7], s[8:9], -1
	s_and_b64 vcc, exec, s[8:9]
	s_cbranch_vccnz .LBB117_2
; %bb.1:
	s_load_dword s12, s[12:13], 0x0
.LBB117_2:
	s_andn2_b64 vcc, exec, s[6:7]
	s_cbranch_vccnz .LBB117_4
; %bb.3:
	s_load_dword s16, s[16:17], 0x0
.LBB117_4:
	s_waitcnt lgkmcnt(0)
	v_cmp_neq_f32_e64 s[6:7], s12, 0
	v_cmp_neq_f32_e64 s[8:9], s16, 1.0
	s_or_b64 s[6:7], s[6:7], s[8:9]
	s_andn2_b64 vcc, exec, s[6:7]
	s_cbranch_vccnz .LBB117_10
; %bb.5:
	s_load_dwordx2 s[6:7], s[0:1], 0x20
	v_lshrrev_b32_e32 v1, 4, v0
	v_lshl_or_b32 v2, s2, 3, v1
	v_mov_b32_e32 v3, 0
	s_mov_b64 s[2:3], 0
	s_waitcnt lgkmcnt(0)
	s_cmp_lg_u64 s[6:7], 0
	s_cbranch_scc0 .LBB117_11
; %bb.6:
	v_cmp_gt_i64_e32 vcc, s[14:15], v[2:3]
                                        ; implicit-def: $vgpr20_vgpr21
                                        ; implicit-def: $vgpr22_vgpr23
	s_and_saveexec_b64 s[8:9], vcc
	s_xor_b64 s[8:9], exec, s[8:9]
	s_cbranch_execz .LBB117_8
; %bb.7:
	v_lshl_add_u64 v[4:5], v[2:3], 3, s[6:7]
	global_load_dwordx2 v[4:5], v[4:5], off
	s_mov_b32 s5, 0
	s_mov_b64 s[2:3], exec
	v_mov_b64_e32 v[22:23], s[4:5]
	s_waitcnt vmcnt(0)
	v_subrev_co_u32_e32 v20, vcc, s4, v4
	s_nop 1
	v_subbrev_co_u32_e32 v21, vcc, 0, v5, vcc
.LBB117_8:
	s_or_b64 exec, exec, s[8:9]
.LBB117_9:
	s_and_saveexec_b64 s[4:5], s[2:3]
	s_cbranch_execnz .LBB117_15
.LBB117_10:
	s_endpgm
.LBB117_11:
                                        ; implicit-def: $vgpr20_vgpr21
                                        ; implicit-def: $vgpr22_vgpr23
	s_cbranch_execz .LBB117_9
; %bb.12:
	s_load_dwordx2 s[6:7], s[0:1], 0x0
	s_waitcnt lgkmcnt(0)
	v_cmp_gt_i64_e32 vcc, s[6:7], v[2:3]
	s_and_saveexec_b64 s[6:7], vcc
; %bb.13:
	s_mov_b32 s5, 0
	s_or_b64 s[2:3], s[2:3], exec
; %bb.14:
	s_or_b64 exec, exec, s[6:7]
	v_mov_b64_e32 v[22:23], s[4:5]
	v_mov_b64_e32 v[20:21], v[2:3]
	s_and_saveexec_b64 s[4:5], s[2:3]
	s_cbranch_execz .LBB117_10
.LBB117_15:
	s_load_dwordx8 s[4:11], s[0:1], 0x28
	v_lshlrev_b64 v[2:3], 3, v[20:21]
	v_and_b32_e32 v24, 15, v0
	v_mov_b32_e32 v25, 0
	s_waitcnt lgkmcnt(0)
	v_lshl_add_u64 v[4:5], s[4:5], 0, v[2:3]
	s_cmp_eq_u64 s[6:7], 0
	v_lshl_add_u64 v[2:3], s[6:7], 0, v[2:3]
	global_load_dwordx2 v[8:9], v[4:5], off
	v_lshl_add_u64 v[4:5], v[4:5], 0, 8
	s_cselect_b64 vcc, -1, 0
	v_cndmask_b32_e32 v3, v3, v5, vcc
	v_cndmask_b32_e32 v2, v2, v4, vcc
	global_load_dwordx2 v[2:3], v[2:3], off
	s_load_dword s2, s[0:1], 0x8
	s_load_dwordx2 s[4:5], s[0:1], 0x48
	s_waitcnt lgkmcnt(0)
	s_cmp_eq_u32 s2, 1
	s_waitcnt vmcnt(1)
	v_sub_co_u32_e32 v0, vcc, v8, v22
	s_nop 1
	v_subb_co_u32_e32 v1, vcc, v9, v23, vcc
	v_lshl_add_u64 v[26:27], v[0:1], 0, v[24:25]
	s_waitcnt vmcnt(0)
	v_sub_co_u32_e32 v28, vcc, v2, v22
	v_lshlrev_b64 v[0:1], 5, v[26:27]
	s_nop 0
	v_subb_co_u32_e32 v29, vcc, v3, v23, vcc
	v_lshl_add_u64 v[30:31], s[10:11], 0, v[0:1]
	v_cmp_lt_i64_e64 s[2:3], v[26:27], v[28:29]
	s_cbranch_scc1 .LBB117_27
; %bb.16:
	v_mov_b32_e32 v32, v25
	v_mov_b32_e32 v35, v25
	;; [unrolled: 1-line block ×3, first 2 shown]
	s_and_saveexec_b64 s[6:7], s[2:3]
	s_cbranch_execz .LBB117_26
; %bb.17:
	v_or_b32_e32 v0, 16, v24
	v_sub_co_u32_e32 v0, vcc, v0, v22
	v_not_b32_e32 v3, v9
	s_nop 0
	v_subb_co_u32_e32 v1, vcc, 0, v23, vcc
	v_lshl_add_u64 v[0:1], v[0:1], 0, v[8:9]
	v_cmp_gt_i64_e32 vcc, v[0:1], v[28:29]
	v_not_b32_e32 v2, v8
	v_mov_b32_e32 v32, 0
	v_cndmask_b32_e32 v1, v29, v1, vcc
	v_cndmask_b32_e32 v0, v28, v0, vcc
	v_sub_co_u32_e32 v4, vcc, v22, v24
	v_mov_b32_e32 v33, v32
	s_nop 0
	v_subbrev_co_u32_e32 v5, vcc, 0, v23, vcc
	v_lshl_add_u64 v[2:3], v[4:5], 0, v[2:3]
	v_lshl_add_u64 v[0:1], v[2:3], 0, v[0:1]
	v_and_b32_e32 v2, 48, v0
	v_mov_b32_e32 v3, v32
	v_cmp_ne_u64_e32 vcc, 48, v[2:3]
	v_mov_b64_e32 v[34:35], v[32:33]
	v_mov_b64_e32 v[10:11], v[26:27]
	;; [unrolled: 1-line block ×3, first 2 shown]
	s_and_saveexec_b64 s[10:11], vcc
	s_cbranch_execz .LBB117_21
; %bb.18:
	v_lshrrev_b32_e32 v2, 4, v0
	v_add_u32_e32 v2, 1, v2
	v_and_b32_e32 v4, 3, v2
	v_sub_co_u32_e32 v4, vcc, 0, v4
	v_lshl_add_u64 v[2:3], v[26:27], 3, s[8:9]
	s_nop 0
	v_subb_co_u32_e64 v5, s[18:19], 0, 0, vcc
	s_mov_b64 s[14:15], 0
	s_mov_b64 s[18:19], 0x200
	;; [unrolled: 1-line block ×3, first 2 shown]
	v_mov_b64_e32 v[12:13], v[30:31]
	v_mov_b64_e32 v[10:11], v[26:27]
	v_mov_b32_e32 v33, v32
	v_mov_b32_e32 v34, v32
	v_mov_b32_e32 v35, v32
.LBB117_19:                             ; =>This Inner Loop Header: Depth=1
	global_load_dwordx2 v[6:7], v[2:3], off
	global_load_dwordx4 v[14:17], v[12:13], off
	global_load_dwordx4 v[36:39], v[12:13], off offset:16
	v_lshl_add_u64 v[4:5], v[4:5], 0, 1
	v_lshl_add_u64 v[12:13], v[12:13], 0, s[18:19]
	;; [unrolled: 1-line block ×4, first 2 shown]
	s_waitcnt vmcnt(2)
	v_sub_co_u32_e32 v6, vcc, v6, v22
	s_nop 1
	v_subb_co_u32_e32 v7, vcc, v7, v23, vcc
	v_lshl_add_u64 v[6:7], v[6:7], 3, s[4:5]
	global_load_dwordx2 v[6:7], v[6:7], off
	s_waitcnt vmcnt(2)
	v_lshlrev_b32_e32 v41, 16, v16
	v_lshlrev_b32_e32 v40, 16, v14
	s_waitcnt vmcnt(1)
	v_lshlrev_b32_e32 v45, 16, v38
	v_lshlrev_b32_e32 v44, 16, v36
	v_and_b32_e32 v46, 0xffff0000, v36
	v_and_b32_e32 v43, 0xffff0000, v16
	;; [unrolled: 1-line block ×4, first 2 shown]
	v_lshlrev_b32_e32 v18, 16, v15
	v_lshlrev_b32_e32 v19, 16, v17
	v_and_b32_e32 v16, 0xffff0000, v15
	v_lshlrev_b32_e32 v14, 16, v37
	v_lshlrev_b32_e32 v15, 16, v39
	v_cmp_eq_u64_e32 vcc, 0, v[4:5]
	v_and_b32_e32 v17, 0xffff0000, v17
	v_and_b32_e32 v39, 0xffff0000, v39
	;; [unrolled: 1-line block ×3, first 2 shown]
	s_or_b64 s[14:15], vcc, s[14:15]
	s_waitcnt vmcnt(0)
	v_lshlrev_b32_e32 v36, 16, v6
	v_and_b32_e32 v6, 0xffff0000, v6
	v_pk_fma_f32 v[34:35], v[40:41], v[36:37], v[34:35] op_sel_hi:[1,0,1]
	v_pk_fma_f32 v[32:33], v[44:45], v[36:37], v[32:33] op_sel_hi:[1,0,1]
	v_lshlrev_b32_e32 v48, 16, v7
	v_and_b32_e32 v50, 0xffff0000, v7
	v_pk_fma_f32 v[34:35], v[42:43], v[6:7], v[34:35] op_sel_hi:[1,0,1]
	v_pk_fma_f32 v[6:7], v[46:47], v[6:7], v[32:33] op_sel_hi:[1,0,1]
	;; [unrolled: 1-line block ×6, first 2 shown]
	s_andn2_b64 exec, exec, s[14:15]
	s_cbranch_execnz .LBB117_19
; %bb.20:
	s_or_b64 exec, exec, s[14:15]
.LBB117_21:
	s_or_b64 exec, exec, s[10:11]
	v_cmp_lt_u64_e32 vcc, 47, v[0:1]
	s_and_saveexec_b64 s[10:11], vcc
	s_cbranch_execz .LBB117_25
; %bb.22:
	v_lshl_add_u64 v[0:1], v[10:11], 3, s[8:9]
	s_mov_b64 s[14:15], 0x100
	v_lshl_add_u64 v[14:15], v[0:1], 0, s[14:15]
	s_mov_b64 s[14:15], 0
	s_mov_b64 s[18:19], 0x800
	;; [unrolled: 1-line block ×3, first 2 shown]
.LBB117_23:                             ; =>This Inner Loop Header: Depth=1
	global_load_dwordx2 v[56:57], v[14:15], off offset:-256
	global_load_dwordx4 v[4:7], v[12:13], off
	global_load_dwordx4 v[0:3], v[12:13], off offset:16
	global_load_dwordx2 v[58:59], v[14:15], off offset:-128
	global_load_dwordx2 v[60:61], v[14:15], off
	global_load_dwordx4 v[16:19], v[12:13], off offset:512
	global_load_dwordx4 v[36:39], v[12:13], off offset:1024
	global_load_dwordx2 v[62:63], v[14:15], off offset:128
	global_load_dwordx4 v[40:43], v[12:13], off offset:528
	global_load_dwordx4 v[44:47], v[12:13], off offset:1040
	;; [unrolled: 1-line block ×4, first 2 shown]
	v_lshl_add_u64 v[10:11], v[10:11], 0, 64
	v_cmp_ge_i64_e32 vcc, v[10:11], v[28:29]
	s_or_b64 s[14:15], vcc, s[14:15]
	v_lshl_add_u64 v[12:13], v[12:13], 0, s[18:19]
	v_lshl_add_u64 v[14:15], v[14:15], 0, s[20:21]
	s_waitcnt vmcnt(11)
	v_sub_co_u32_e32 v56, vcc, v56, v22
	s_nop 1
	v_subb_co_u32_e32 v57, vcc, v57, v23, vcc
	s_waitcnt vmcnt(8)
	v_sub_co_u32_e32 v58, vcc, v58, v22
	v_lshl_add_u64 v[56:57], v[56:57], 3, s[4:5]
	s_nop 0
	v_subb_co_u32_e32 v59, vcc, v59, v23, vcc
	s_waitcnt vmcnt(7)
	v_sub_co_u32_e32 v60, vcc, v60, v22
	v_lshl_add_u64 v[58:59], v[58:59], 3, s[4:5]
	;; [unrolled: 5-line block ×3, first 2 shown]
	s_nop 0
	v_subb_co_u32_e32 v63, vcc, v63, v23, vcc
	v_lshl_add_u64 v[62:63], v[62:63], 3, s[4:5]
	global_load_dwordx2 v[84:85], v[56:57], off
	global_load_dwordx2 v[86:87], v[58:59], off
	;; [unrolled: 1-line block ×4, first 2 shown]
	v_lshlrev_b32_e32 v67, 16, v6
	v_lshlrev_b32_e32 v66, 16, v4
	v_and_b32_e32 v68, 0xffff0000, v4
	v_lshlrev_b32_e32 v73, 16, v2
	v_lshlrev_b32_e32 v72, 16, v0
	v_and_b32_e32 v74, 0xffff0000, v0
	v_lshlrev_b32_e32 v4, 16, v16
	v_and_b32_e32 v76, 0xffff0000, v16
	;; [unrolled: 2-line block ×3, first 2 shown]
	s_waitcnt vmcnt(7)
	v_lshlrev_b32_e32 v0, 16, v40
	v_and_b32_e32 v36, 0xffff0000, v40
	s_waitcnt vmcnt(6)
	v_lshlrev_b32_e32 v40, 16, v44
	v_and_b32_e32 v58, 0xffff0000, v44
	s_waitcnt vmcnt(5)
	v_and_b32_e32 v44, 0xffff0000, v48
	v_lshlrev_b32_e32 v62, 16, v48
	s_waitcnt vmcnt(4)
	v_and_b32_e32 v48, 0xffff0000, v52
	v_lshlrev_b32_e32 v94, 16, v52
	v_and_b32_e32 v69, 0xffff0000, v6
	v_and_b32_e32 v75, 0xffff0000, v2
	v_lshlrev_b32_e32 v64, 16, v5
	v_lshlrev_b32_e32 v65, 16, v7
	;; [unrolled: 1-line block ×4, first 2 shown]
	v_and_b32_e32 v7, 0xffff0000, v7
	v_and_b32_e32 v6, 0xffff0000, v5
	;; [unrolled: 1-line block ×4, first 2 shown]
	v_lshlrev_b32_e32 v5, 16, v18
	v_lshlrev_b32_e32 v1, 16, v42
	v_and_b32_e32 v77, 0xffff0000, v18
	v_lshlrev_b32_e32 v78, 16, v17
	v_and_b32_e32 v18, 0xffff0000, v17
	;; [unrolled: 2-line block ×4, first 2 shown]
	v_and_b32_e32 v37, 0xffff0000, v42
	v_lshlrev_b32_e32 v79, 16, v19
	v_lshlrev_b32_e32 v57, 16, v43
	;; [unrolled: 1-line block ×3, first 2 shown]
	v_and_b32_e32 v19, 0xffff0000, v19
	v_and_b32_e32 v43, 0xffff0000, v43
	;; [unrolled: 1-line block ×3, first 2 shown]
	v_lshlrev_b32_e32 v41, 16, v46
	v_and_b32_e32 v59, 0xffff0000, v46
	v_lshlrev_b32_e32 v83, 16, v39
	v_lshlrev_b32_e32 v61, 16, v47
	;; [unrolled: 1-line block ×3, first 2 shown]
	v_and_b32_e32 v39, 0xffff0000, v39
	v_and_b32_e32 v47, 0xffff0000, v47
	;; [unrolled: 1-line block ×3, first 2 shown]
	v_lshlrev_b32_e32 v63, 16, v50
	v_lshlrev_b32_e32 v95, 16, v54
	v_and_b32_e32 v45, 0xffff0000, v50
	v_lshlrev_b32_e32 v92, 16, v49
	v_and_b32_e32 v50, 0xffff0000, v49
	v_and_b32_e32 v49, 0xffff0000, v54
	v_lshlrev_b32_e32 v93, 16, v51
	v_lshlrev_b32_e32 v97, 16, v55
	;; [unrolled: 1-line block ×3, first 2 shown]
	v_and_b32_e32 v51, 0xffff0000, v51
	v_and_b32_e32 v55, 0xffff0000, v55
	;; [unrolled: 1-line block ×3, first 2 shown]
	s_waitcnt vmcnt(3)
	v_lshlrev_b32_e32 v52, 16, v84
	v_and_b32_e32 v84, 0xffff0000, v84
	v_pk_fma_f32 v[34:35], v[66:67], v[52:53], v[34:35] op_sel_hi:[1,0,1]
	v_pk_fma_f32 v[32:33], v[72:73], v[52:53], v[32:33] op_sel_hi:[1,0,1]
	v_lshlrev_b32_e32 v98, 16, v85
	v_pk_fma_f32 v[34:35], v[68:69], v[84:85], v[34:35] op_sel_hi:[1,0,1]
	v_pk_fma_f32 v[32:33], v[74:75], v[84:85], v[32:33] op_sel_hi:[1,0,1]
	v_and_b32_e32 v100, 0xffff0000, v85
	v_pk_fma_f32 v[34:35], v[64:65], v[98:99], v[34:35] op_sel_hi:[1,0,1]
	v_pk_fma_f32 v[32:33], v[70:71], v[98:99], v[32:33] op_sel_hi:[1,0,1]
	s_waitcnt vmcnt(2)
	v_lshlrev_b32_e32 v66, 16, v86
	v_pk_fma_f32 v[6:7], v[6:7], v[100:101], v[34:35] op_sel_hi:[1,0,1]
	v_pk_fma_f32 v[2:3], v[2:3], v[100:101], v[32:33] op_sel_hi:[1,0,1]
	v_and_b32_e32 v52, 0xffff0000, v86
	v_pk_fma_f32 v[4:5], v[4:5], v[66:67], v[6:7] op_sel_hi:[1,0,1]
	v_pk_fma_f32 v[0:1], v[0:1], v[66:67], v[2:3] op_sel_hi:[1,0,1]
	v_lshlrev_b32_e32 v72, 16, v87
	v_pk_fma_f32 v[2:3], v[76:77], v[52:53], v[4:5] op_sel_hi:[1,0,1]
	v_pk_fma_f32 v[0:1], v[36:37], v[52:53], v[0:1] op_sel_hi:[1,0,1]
	v_and_b32_e32 v86, 0xffff0000, v87
	v_pk_fma_f32 v[2:3], v[78:79], v[72:73], v[2:3] op_sel_hi:[1,0,1]
	v_pk_fma_f32 v[0:1], v[56:57], v[72:73], v[0:1] op_sel_hi:[1,0,1]
	s_waitcnt vmcnt(1)
	v_lshlrev_b32_e32 v68, 16, v88
	v_pk_fma_f32 v[2:3], v[18:19], v[86:87], v[2:3] op_sel_hi:[1,0,1]
	v_pk_fma_f32 v[0:1], v[42:43], v[86:87], v[0:1] op_sel_hi:[1,0,1]
	;; [unrolled: 13-line block ×3, first 2 shown]
	v_and_b32_e32 v70, 0xffff0000, v90
	v_pk_fma_f32 v[2:3], v[62:63], v[64:65], v[2:3] op_sel_hi:[1,0,1]
	v_pk_fma_f32 v[0:1], v[94:95], v[64:65], v[0:1] op_sel_hi:[1,0,1]
	v_lshlrev_b32_e32 v90, 16, v91
	v_pk_fma_f32 v[2:3], v[44:45], v[70:71], v[2:3] op_sel_hi:[1,0,1]
	v_pk_fma_f32 v[0:1], v[48:49], v[70:71], v[0:1] op_sel_hi:[1,0,1]
	v_and_b32_e32 v98, 0xffff0000, v91
	v_pk_fma_f32 v[2:3], v[92:93], v[90:91], v[2:3] op_sel_hi:[1,0,1]
	v_pk_fma_f32 v[0:1], v[96:97], v[90:91], v[0:1] op_sel_hi:[1,0,1]
	;; [unrolled: 1-line block ×4, first 2 shown]
	s_andn2_b64 exec, exec, s[14:15]
	s_cbranch_execnz .LBB117_23
; %bb.24:
	s_or_b64 exec, exec, s[14:15]
.LBB117_25:
	s_or_b64 exec, exec, s[10:11]
	v_mov_b32_e32 v25, v33
.LBB117_26:
	s_or_b64 exec, exec, s[6:7]
	v_mov_b32_e32 v33, v25
	s_cbranch_execz .LBB117_28
	s_branch .LBB117_39
.LBB117_27:
                                        ; implicit-def: $vgpr33
                                        ; implicit-def: $vgpr35
.LBB117_28:
	v_mov_b32_e32 v33, 0
	v_mov_b32_e32 v32, 0
	;; [unrolled: 1-line block ×4, first 2 shown]
	s_and_saveexec_b64 s[6:7], s[2:3]
	s_cbranch_execz .LBB117_38
; %bb.29:
	v_or_b32_e32 v0, 16, v24
	v_sub_co_u32_e32 v0, vcc, v0, v22
	v_not_b32_e32 v3, v9
	s_nop 0
	v_subb_co_u32_e32 v1, vcc, 0, v23, vcc
	v_lshl_add_u64 v[0:1], v[0:1], 0, v[8:9]
	v_cmp_gt_i64_e32 vcc, v[0:1], v[28:29]
	v_not_b32_e32 v2, v8
	v_mov_b32_e32 v32, 0
	v_cndmask_b32_e32 v1, v29, v1, vcc
	v_cndmask_b32_e32 v0, v28, v0, vcc
	v_sub_co_u32_e32 v4, vcc, v22, v24
	v_mov_b32_e32 v33, v32
	s_nop 0
	v_subbrev_co_u32_e32 v5, vcc, 0, v23, vcc
	v_lshl_add_u64 v[2:3], v[4:5], 0, v[2:3]
	v_lshl_add_u64 v[0:1], v[2:3], 0, v[0:1]
	v_and_b32_e32 v2, 48, v0
	v_mov_b32_e32 v3, v32
	v_cmp_ne_u64_e32 vcc, 48, v[2:3]
	v_mov_b64_e32 v[34:35], v[32:33]
	s_and_saveexec_b64 s[2:3], vcc
	s_cbranch_execz .LBB117_33
; %bb.30:
	v_lshrrev_b32_e32 v2, 4, v0
	v_add_u32_e32 v2, 1, v2
	v_and_b32_e32 v4, 3, v2
	v_sub_co_u32_e32 v4, vcc, 0, v4
	v_lshl_add_u64 v[2:3], v[26:27], 3, s[8:9]
	s_nop 0
	v_subb_co_u32_e64 v5, s[14:15], 0, 0, vcc
	s_mov_b64 s[10:11], 0
	s_mov_b64 s[14:15], 0x200
	;; [unrolled: 1-line block ×3, first 2 shown]
	v_mov_b32_e32 v33, v32
	v_mov_b32_e32 v34, v32
	;; [unrolled: 1-line block ×3, first 2 shown]
.LBB117_31:                             ; =>This Inner Loop Header: Depth=1
	global_load_dwordx2 v[10:11], v[2:3], off
	global_load_dwordx4 v[6:9], v[30:31], off
	v_lshl_add_u64 v[4:5], v[4:5], 0, 1
	v_lshl_add_u64 v[26:27], v[26:27], 0, 16
	;; [unrolled: 1-line block ×3, first 2 shown]
	s_waitcnt vmcnt(1)
	v_sub_co_u32_e32 v10, vcc, v10, v22
	s_nop 1
	v_subb_co_u32_e32 v11, vcc, v11, v23, vcc
	v_lshl_add_u64 v[14:15], v[10:11], 3, s[4:5]
	global_load_dwordx2 v[16:17], v[14:15], off
	global_load_dwordx4 v[10:13], v[30:31], off offset:16
	s_waitcnt vmcnt(2)
	v_and_b32_e32 v15, 0xffff0000, v6
	v_lshlrev_b32_e32 v14, 16, v6
	v_and_b32_e32 v19, 0xffff0000, v7
	v_lshlrev_b32_e32 v18, 16, v7
	;; [unrolled: 2-line block ×4, first 2 shown]
	v_cmp_eq_u64_e32 vcc, 0, v[4:5]
	v_lshl_add_u64 v[30:31], v[30:31], 0, s[14:15]
	s_or_b64 s[10:11], vcc, s[10:11]
	s_waitcnt vmcnt(1)
	v_lshlrev_b32_e32 v42, 16, v17
	s_waitcnt vmcnt(0)
	v_and_b32_e32 v9, 0xffff0000, v10
	v_lshlrev_b32_e32 v8, 16, v10
	v_and_b32_e32 v39, 0xffff0000, v11
	v_lshlrev_b32_e32 v38, 16, v11
	v_and_b32_e32 v11, 0xffff0000, v12
	v_lshlrev_b32_e32 v10, 16, v12
	v_lshlrev_b32_e32 v12, 16, v16
	v_and_b32_e32 v41, 0xffff0000, v13
	v_lshlrev_b32_e32 v40, 16, v13
	v_and_b32_e32 v16, 0xffff0000, v16
	v_pk_fma_f32 v[14:15], v[14:15], v[12:13], v[34:35] op_sel_hi:[1,0,1]
	v_pk_fma_f32 v[12:13], v[18:19], v[12:13], v[32:33] op_sel_hi:[1,0,1]
	;; [unrolled: 1-line block ×4, first 2 shown]
	v_and_b32_e32 v44, 0xffff0000, v17
	v_pk_fma_f32 v[6:7], v[8:9], v[42:43], v[6:7] op_sel_hi:[1,0,1]
	v_pk_fma_f32 v[8:9], v[38:39], v[42:43], v[12:13] op_sel_hi:[1,0,1]
	;; [unrolled: 1-line block ×4, first 2 shown]
	s_andn2_b64 exec, exec, s[10:11]
	s_cbranch_execnz .LBB117_31
; %bb.32:
	s_or_b64 exec, exec, s[10:11]
.LBB117_33:
	s_or_b64 exec, exec, s[2:3]
	v_cmp_lt_u64_e32 vcc, 47, v[0:1]
	s_and_saveexec_b64 s[2:3], vcc
	s_cbranch_execz .LBB117_37
; %bb.34:
	v_lshl_add_u64 v[0:1], v[26:27], 3, s[8:9]
	s_mov_b64 s[8:9], 0x100
	v_lshl_add_u64 v[36:37], v[0:1], 0, s[8:9]
	s_mov_b64 s[8:9], 0
	s_mov_b64 s[10:11], 0x800
	;; [unrolled: 1-line block ×3, first 2 shown]
.LBB117_35:                             ; =>This Inner Loop Header: Depth=1
	global_load_dwordx4 v[0:3], v[30:31], off
	global_load_dwordx4 v[4:7], v[30:31], off offset:16
	global_load_dwordx4 v[8:11], v[30:31], off offset:512
	;; [unrolled: 1-line block ×4, first 2 shown]
	global_load_dwordx2 v[50:51], v[36:37], off offset:-256
	global_load_dwordx2 v[52:53], v[36:37], off offset:-128
	global_load_dwordx2 v[54:55], v[36:37], off
	global_load_dwordx2 v[56:57], v[36:37], off offset:128
	global_load_dwordx4 v[38:41], v[30:31], off offset:1040
	global_load_dwordx4 v[42:45], v[30:31], off offset:1536
	;; [unrolled: 1-line block ×3, first 2 shown]
	v_lshl_add_u64 v[26:27], v[26:27], 0, 64
	v_cmp_ge_i64_e32 vcc, v[26:27], v[28:29]
	s_or_b64 s[8:9], vcc, s[8:9]
	v_lshl_add_u64 v[30:31], v[30:31], 0, s[10:11]
	v_lshl_add_u64 v[36:37], v[36:37], 0, s[14:15]
	s_waitcnt vmcnt(11)
	v_and_b32_e32 v59, 0xffff0000, v0
	v_lshlrev_b32_e32 v58, 16, v0
	s_waitcnt vmcnt(9)
	v_and_b32_e32 v67, 0xffff0000, v8
	v_lshlrev_b32_e32 v66, 16, v8
	v_and_b32_e32 v61, 0xffff0000, v1
	s_waitcnt vmcnt(6)
	v_sub_co_u32_e32 v8, vcc, v50, v22
	v_lshlrev_b32_e32 v60, 16, v1
	v_and_b32_e32 v1, 0xffff0000, v2
	v_lshlrev_b32_e32 v0, 16, v2
	v_and_b32_e32 v63, 0xffff0000, v3
	;; [unrolled: 2-line block ×7, first 2 shown]
	v_lshlrev_b32_e32 v6, 16, v9
	v_subb_co_u32_e32 v9, vcc, v51, v23, vcc
	s_waitcnt vmcnt(5)
	v_sub_co_u32_e32 v50, vcc, v52, v22
	v_lshl_add_u64 v[8:9], v[8:9], 3, s[4:5]
	s_nop 0
	v_subb_co_u32_e32 v51, vcc, v53, v23, vcc
	s_waitcnt vmcnt(4)
	v_sub_co_u32_e32 v52, vcc, v54, v22
	v_lshl_add_u64 v[50:51], v[50:51], 3, s[4:5]
	s_nop 0
	v_subb_co_u32_e32 v53, vcc, v55, v23, vcc
	s_waitcnt vmcnt(3)
	v_sub_co_u32_e32 v54, vcc, v56, v22
	v_lshl_add_u64 v[52:53], v[52:53], 3, s[4:5]
	s_nop 0
	v_subb_co_u32_e32 v55, vcc, v57, v23, vcc
	v_lshl_add_u64 v[54:55], v[54:55], 3, s[4:5]
	global_load_dwordx2 v[56:57], v[8:9], off
	global_load_dwordx2 v[78:79], v[50:51], off
	;; [unrolled: 1-line block ×4, first 2 shown]
	s_waitcnt vmcnt(4)
	v_and_b32_e32 v89, 0xffff0000, v48
	v_lshlrev_b32_e32 v88, 16, v48
	v_and_b32_e32 v69, 0xffff0000, v10
	v_lshlrev_b32_e32 v68, 16, v10
	;; [unrolled: 2-line block ×22, first 2 shown]
	s_waitcnt vmcnt(3)
	v_lshlrev_b32_e32 v48, 16, v56
	v_and_b32_e32 v56, 0xffff0000, v56
	v_pk_fma_f32 v[34:35], v[58:59], v[48:49], v[34:35] op_sel_hi:[1,0,1]
	v_pk_fma_f32 v[32:33], v[60:61], v[48:49], v[32:33] op_sel_hi:[1,0,1]
	v_lshlrev_b32_e32 v92, 16, v57
	v_pk_fma_f32 v[0:1], v[0:1], v[56:57], v[34:35] op_sel_hi:[1,0,1]
	v_pk_fma_f32 v[32:33], v[62:63], v[56:57], v[32:33] op_sel_hi:[1,0,1]
	v_and_b32_e32 v94, 0xffff0000, v57
	v_pk_fma_f32 v[0:1], v[2:3], v[92:93], v[0:1] op_sel_hi:[1,0,1]
	v_pk_fma_f32 v[32:33], v[64:65], v[92:93], v[32:33] op_sel_hi:[1,0,1]
	s_waitcnt vmcnt(2)
	v_lshlrev_b32_e32 v58, 16, v78
	v_pk_fma_f32 v[0:1], v[4:5], v[94:95], v[0:1] op_sel_hi:[1,0,1]
	v_pk_fma_f32 v[4:5], v[76:77], v[94:95], v[32:33] op_sel_hi:[1,0,1]
	v_and_b32_e32 v48, 0xffff0000, v78
	v_pk_fma_f32 v[0:1], v[66:67], v[58:59], v[0:1] op_sel_hi:[1,0,1]
	v_pk_fma_f32 v[4:5], v[6:7], v[58:59], v[4:5] op_sel_hi:[1,0,1]
	v_lshlrev_b32_e32 v60, 16, v79
	v_pk_fma_f32 v[0:1], v[68:69], v[48:49], v[0:1] op_sel_hi:[1,0,1]
	v_pk_fma_f32 v[4:5], v[8:9], v[48:49], v[4:5] op_sel_hi:[1,0,1]
	v_and_b32_e32 v78, 0xffff0000, v79
	v_pk_fma_f32 v[0:1], v[70:71], v[60:61], v[0:1] op_sel_hi:[1,0,1]
	v_pk_fma_f32 v[4:5], v[10:11], v[60:61], v[4:5] op_sel_hi:[1,0,1]
	s_waitcnt vmcnt(1)
	v_lshlrev_b32_e32 v34, 16, v80
	v_pk_fma_f32 v[0:1], v[72:73], v[78:79], v[0:1] op_sel_hi:[1,0,1]
	v_pk_fma_f32 v[4:5], v[12:13], v[78:79], v[4:5] op_sel_hi:[1,0,1]
	;; [unrolled: 13-line block ×3, first 2 shown]
	v_and_b32_e32 v64, 0xffff0000, v82
	v_pk_fma_f32 v[0:1], v[40:41], v[2:3], v[0:1] op_sel_hi:[1,0,1]
	v_pk_fma_f32 v[2:3], v[84:85], v[2:3], v[4:5] op_sel_hi:[1,0,1]
	v_lshlrev_b32_e32 v82, 16, v83
	v_pk_fma_f32 v[0:1], v[42:43], v[64:65], v[0:1] op_sel_hi:[1,0,1]
	v_pk_fma_f32 v[2:3], v[86:87], v[64:65], v[2:3] op_sel_hi:[1,0,1]
	v_and_b32_e32 v92, 0xffff0000, v83
	v_pk_fma_f32 v[0:1], v[44:45], v[82:83], v[0:1] op_sel_hi:[1,0,1]
	v_pk_fma_f32 v[2:3], v[90:91], v[82:83], v[2:3] op_sel_hi:[1,0,1]
	;; [unrolled: 1-line block ×4, first 2 shown]
	s_andn2_b64 exec, exec, s[8:9]
	s_cbranch_execnz .LBB117_35
; %bb.36:
	s_or_b64 exec, exec, s[8:9]
.LBB117_37:
	s_or_b64 exec, exec, s[2:3]
.LBB117_38:
	s_or_b64 exec, exec, s[6:7]
.LBB117_39:
	v_mov_b32_dpp v0, v34 row_shr:1 row_mask:0xf bank_mask:0xf
	v_mov_b32_dpp v1, v35 row_shr:1 row_mask:0xf bank_mask:0xf
	;; [unrolled: 1-line block ×4, first 2 shown]
	v_pk_add_f32 v[0:1], v[34:35], v[0:1]
	v_pk_add_f32 v[4:5], v[32:33], v[4:5]
	v_cmp_eq_u32_e32 vcc, 15, v24
	v_mov_b32_dpp v2, v0 row_shr:2 row_mask:0xf bank_mask:0xf
	v_mov_b32_dpp v3, v1 row_shr:2 row_mask:0xf bank_mask:0xf
	;; [unrolled: 1-line block ×4, first 2 shown]
	v_pk_add_f32 v[0:1], v[0:1], v[2:3]
	v_pk_add_f32 v[4:5], v[4:5], v[6:7]
	s_nop 0
	v_mov_b32_dpp v2, v0 row_shr:4 row_mask:0xf bank_mask:0xe
	v_mov_b32_dpp v3, v1 row_shr:4 row_mask:0xf bank_mask:0xe
	;; [unrolled: 1-line block ×4, first 2 shown]
	v_pk_add_f32 v[0:1], v[0:1], v[2:3]
	v_pk_add_f32 v[6:7], v[4:5], v[6:7]
	s_nop 0
	v_mov_b32_dpp v2, v0 row_shr:8 row_mask:0xf bank_mask:0xc
	v_mov_b32_dpp v3, v1 row_shr:8 row_mask:0xf bank_mask:0xc
	;; [unrolled: 1-line block ×4, first 2 shown]
	s_and_b64 exec, exec, vcc
	s_cbranch_execz .LBB117_10
; %bb.40:
	s_load_dwordx2 s[0:1], s[0:1], 0x58
	v_cmp_eq_f32_e64 s[2:3], s16, 0
	v_pk_add_f32 v[4:5], v[0:1], v[2:3]
	v_pk_add_f32 v[2:3], v[6:7], v[8:9]
	s_and_b64 vcc, exec, s[2:3]
	s_waitcnt lgkmcnt(0)
	v_lshl_add_u64 v[0:1], v[20:21], 4, s[0:1]
	s_cbranch_vccz .LBB117_42
; %bb.41:
	v_pk_mul_f32 v[6:7], s[12:13], v[4:5] op_sel_hi:[0,1]
	v_pk_mul_f32 v[8:9], s[12:13], v[2:3] op_sel_hi:[0,1]
	global_store_dwordx4 v[0:1], v[6:9], off
	s_cbranch_execnz .LBB117_10
	s_branch .LBB117_43
.LBB117_42:
.LBB117_43:
	global_load_dwordx4 v[6:9], v[0:1], off
	v_pk_mul_f32 v[4:5], s[12:13], v[4:5] op_sel_hi:[0,1]
	v_pk_mul_f32 v[10:11], s[12:13], v[2:3] op_sel_hi:[0,1]
	s_waitcnt vmcnt(0)
	v_pk_fma_f32 v[2:3], s[16:17], v[6:7], v[4:5] op_sel_hi:[0,1,1]
	v_pk_fma_f32 v[4:5], s[16:17], v[8:9], v[10:11] op_sel_hi:[0,1,1]
	global_store_dwordx4 v[0:1], v[2:5], off
	s_endpgm
	.section	.rodata,"a",@progbits
	.p2align	6, 0x0
	.amdhsa_kernel _ZN9rocsparseL18bsrxmvn_4x4_kernelILj128ELj16Efll18rocsparse_bfloat16S1_fEEvT3_20rocsparse_direction_NS_24const_host_device_scalarIT1_EES2_PKS2_PKT2_SB_S8_PKT4_PKT5_S6_PT6_21rocsparse_index_base_b
		.amdhsa_group_segment_fixed_size 0
		.amdhsa_private_segment_fixed_size 0
		.amdhsa_kernarg_size 104
		.amdhsa_user_sgpr_count 2
		.amdhsa_user_sgpr_dispatch_ptr 0
		.amdhsa_user_sgpr_queue_ptr 0
		.amdhsa_user_sgpr_kernarg_segment_ptr 1
		.amdhsa_user_sgpr_dispatch_id 0
		.amdhsa_user_sgpr_kernarg_preload_length 0
		.amdhsa_user_sgpr_kernarg_preload_offset 0
		.amdhsa_user_sgpr_private_segment_size 0
		.amdhsa_uses_dynamic_stack 0
		.amdhsa_enable_private_segment 0
		.amdhsa_system_sgpr_workgroup_id_x 1
		.amdhsa_system_sgpr_workgroup_id_y 0
		.amdhsa_system_sgpr_workgroup_id_z 0
		.amdhsa_system_sgpr_workgroup_info 0
		.amdhsa_system_vgpr_workitem_id 0
		.amdhsa_next_free_vgpr 102
		.amdhsa_next_free_sgpr 22
		.amdhsa_accum_offset 104
		.amdhsa_reserve_vcc 1
		.amdhsa_float_round_mode_32 0
		.amdhsa_float_round_mode_16_64 0
		.amdhsa_float_denorm_mode_32 3
		.amdhsa_float_denorm_mode_16_64 3
		.amdhsa_dx10_clamp 1
		.amdhsa_ieee_mode 1
		.amdhsa_fp16_overflow 0
		.amdhsa_tg_split 0
		.amdhsa_exception_fp_ieee_invalid_op 0
		.amdhsa_exception_fp_denorm_src 0
		.amdhsa_exception_fp_ieee_div_zero 0
		.amdhsa_exception_fp_ieee_overflow 0
		.amdhsa_exception_fp_ieee_underflow 0
		.amdhsa_exception_fp_ieee_inexact 0
		.amdhsa_exception_int_div_zero 0
	.end_amdhsa_kernel
	.section	.text._ZN9rocsparseL18bsrxmvn_4x4_kernelILj128ELj16Efll18rocsparse_bfloat16S1_fEEvT3_20rocsparse_direction_NS_24const_host_device_scalarIT1_EES2_PKS2_PKT2_SB_S8_PKT4_PKT5_S6_PT6_21rocsparse_index_base_b,"axG",@progbits,_ZN9rocsparseL18bsrxmvn_4x4_kernelILj128ELj16Efll18rocsparse_bfloat16S1_fEEvT3_20rocsparse_direction_NS_24const_host_device_scalarIT1_EES2_PKS2_PKT2_SB_S8_PKT4_PKT5_S6_PT6_21rocsparse_index_base_b,comdat
.Lfunc_end117:
	.size	_ZN9rocsparseL18bsrxmvn_4x4_kernelILj128ELj16Efll18rocsparse_bfloat16S1_fEEvT3_20rocsparse_direction_NS_24const_host_device_scalarIT1_EES2_PKS2_PKT2_SB_S8_PKT4_PKT5_S6_PT6_21rocsparse_index_base_b, .Lfunc_end117-_ZN9rocsparseL18bsrxmvn_4x4_kernelILj128ELj16Efll18rocsparse_bfloat16S1_fEEvT3_20rocsparse_direction_NS_24const_host_device_scalarIT1_EES2_PKS2_PKT2_SB_S8_PKT4_PKT5_S6_PT6_21rocsparse_index_base_b
                                        ; -- End function
	.set _ZN9rocsparseL18bsrxmvn_4x4_kernelILj128ELj16Efll18rocsparse_bfloat16S1_fEEvT3_20rocsparse_direction_NS_24const_host_device_scalarIT1_EES2_PKS2_PKT2_SB_S8_PKT4_PKT5_S6_PT6_21rocsparse_index_base_b.num_vgpr, 102
	.set _ZN9rocsparseL18bsrxmvn_4x4_kernelILj128ELj16Efll18rocsparse_bfloat16S1_fEEvT3_20rocsparse_direction_NS_24const_host_device_scalarIT1_EES2_PKS2_PKT2_SB_S8_PKT4_PKT5_S6_PT6_21rocsparse_index_base_b.num_agpr, 0
	.set _ZN9rocsparseL18bsrxmvn_4x4_kernelILj128ELj16Efll18rocsparse_bfloat16S1_fEEvT3_20rocsparse_direction_NS_24const_host_device_scalarIT1_EES2_PKS2_PKT2_SB_S8_PKT4_PKT5_S6_PT6_21rocsparse_index_base_b.numbered_sgpr, 22
	.set _ZN9rocsparseL18bsrxmvn_4x4_kernelILj128ELj16Efll18rocsparse_bfloat16S1_fEEvT3_20rocsparse_direction_NS_24const_host_device_scalarIT1_EES2_PKS2_PKT2_SB_S8_PKT4_PKT5_S6_PT6_21rocsparse_index_base_b.num_named_barrier, 0
	.set _ZN9rocsparseL18bsrxmvn_4x4_kernelILj128ELj16Efll18rocsparse_bfloat16S1_fEEvT3_20rocsparse_direction_NS_24const_host_device_scalarIT1_EES2_PKS2_PKT2_SB_S8_PKT4_PKT5_S6_PT6_21rocsparse_index_base_b.private_seg_size, 0
	.set _ZN9rocsparseL18bsrxmvn_4x4_kernelILj128ELj16Efll18rocsparse_bfloat16S1_fEEvT3_20rocsparse_direction_NS_24const_host_device_scalarIT1_EES2_PKS2_PKT2_SB_S8_PKT4_PKT5_S6_PT6_21rocsparse_index_base_b.uses_vcc, 1
	.set _ZN9rocsparseL18bsrxmvn_4x4_kernelILj128ELj16Efll18rocsparse_bfloat16S1_fEEvT3_20rocsparse_direction_NS_24const_host_device_scalarIT1_EES2_PKS2_PKT2_SB_S8_PKT4_PKT5_S6_PT6_21rocsparse_index_base_b.uses_flat_scratch, 0
	.set _ZN9rocsparseL18bsrxmvn_4x4_kernelILj128ELj16Efll18rocsparse_bfloat16S1_fEEvT3_20rocsparse_direction_NS_24const_host_device_scalarIT1_EES2_PKS2_PKT2_SB_S8_PKT4_PKT5_S6_PT6_21rocsparse_index_base_b.has_dyn_sized_stack, 0
	.set _ZN9rocsparseL18bsrxmvn_4x4_kernelILj128ELj16Efll18rocsparse_bfloat16S1_fEEvT3_20rocsparse_direction_NS_24const_host_device_scalarIT1_EES2_PKS2_PKT2_SB_S8_PKT4_PKT5_S6_PT6_21rocsparse_index_base_b.has_recursion, 0
	.set _ZN9rocsparseL18bsrxmvn_4x4_kernelILj128ELj16Efll18rocsparse_bfloat16S1_fEEvT3_20rocsparse_direction_NS_24const_host_device_scalarIT1_EES2_PKS2_PKT2_SB_S8_PKT4_PKT5_S6_PT6_21rocsparse_index_base_b.has_indirect_call, 0
	.section	.AMDGPU.csdata,"",@progbits
; Kernel info:
; codeLenInByte = 4012
; TotalNumSgprs: 28
; NumVgprs: 102
; NumAgprs: 0
; TotalNumVgprs: 102
; ScratchSize: 0
; MemoryBound: 0
; FloatMode: 240
; IeeeMode: 1
; LDSByteSize: 0 bytes/workgroup (compile time only)
; SGPRBlocks: 3
; VGPRBlocks: 12
; NumSGPRsForWavesPerEU: 28
; NumVGPRsForWavesPerEU: 102
; AccumOffset: 104
; Occupancy: 4
; WaveLimiterHint : 1
; COMPUTE_PGM_RSRC2:SCRATCH_EN: 0
; COMPUTE_PGM_RSRC2:USER_SGPR: 2
; COMPUTE_PGM_RSRC2:TRAP_HANDLER: 0
; COMPUTE_PGM_RSRC2:TGID_X_EN: 1
; COMPUTE_PGM_RSRC2:TGID_Y_EN: 0
; COMPUTE_PGM_RSRC2:TGID_Z_EN: 0
; COMPUTE_PGM_RSRC2:TIDIG_COMP_CNT: 0
; COMPUTE_PGM_RSRC3_GFX90A:ACCUM_OFFSET: 25
; COMPUTE_PGM_RSRC3_GFX90A:TG_SPLIT: 0
	.section	.text._ZN9rocsparseL18bsrxmvn_4x4_kernelILj128ELj32Efll18rocsparse_bfloat16S1_fEEvT3_20rocsparse_direction_NS_24const_host_device_scalarIT1_EES2_PKS2_PKT2_SB_S8_PKT4_PKT5_S6_PT6_21rocsparse_index_base_b,"axG",@progbits,_ZN9rocsparseL18bsrxmvn_4x4_kernelILj128ELj32Efll18rocsparse_bfloat16S1_fEEvT3_20rocsparse_direction_NS_24const_host_device_scalarIT1_EES2_PKS2_PKT2_SB_S8_PKT4_PKT5_S6_PT6_21rocsparse_index_base_b,comdat
	.globl	_ZN9rocsparseL18bsrxmvn_4x4_kernelILj128ELj32Efll18rocsparse_bfloat16S1_fEEvT3_20rocsparse_direction_NS_24const_host_device_scalarIT1_EES2_PKS2_PKT2_SB_S8_PKT4_PKT5_S6_PT6_21rocsparse_index_base_b ; -- Begin function _ZN9rocsparseL18bsrxmvn_4x4_kernelILj128ELj32Efll18rocsparse_bfloat16S1_fEEvT3_20rocsparse_direction_NS_24const_host_device_scalarIT1_EES2_PKS2_PKT2_SB_S8_PKT4_PKT5_S6_PT6_21rocsparse_index_base_b
	.p2align	8
	.type	_ZN9rocsparseL18bsrxmvn_4x4_kernelILj128ELj32Efll18rocsparse_bfloat16S1_fEEvT3_20rocsparse_direction_NS_24const_host_device_scalarIT1_EES2_PKS2_PKT2_SB_S8_PKT4_PKT5_S6_PT6_21rocsparse_index_base_b,@function
_ZN9rocsparseL18bsrxmvn_4x4_kernelILj128ELj32Efll18rocsparse_bfloat16S1_fEEvT3_20rocsparse_direction_NS_24const_host_device_scalarIT1_EES2_PKS2_PKT2_SB_S8_PKT4_PKT5_S6_PT6_21rocsparse_index_base_b: ; @_ZN9rocsparseL18bsrxmvn_4x4_kernelILj128ELj32Efll18rocsparse_bfloat16S1_fEEvT3_20rocsparse_direction_NS_24const_host_device_scalarIT1_EES2_PKS2_PKT2_SB_S8_PKT4_PKT5_S6_PT6_21rocsparse_index_base_b
; %bb.0:
	s_load_dwordx2 s[4:5], s[0:1], 0x60
	s_load_dwordx4 s[12:15], s[0:1], 0x10
	s_load_dwordx2 s[16:17], s[0:1], 0x50
	s_waitcnt lgkmcnt(0)
	s_bitcmp1_b32 s5, 0
	s_cselect_b64 s[8:9], -1, 0
	s_xor_b64 s[6:7], s[8:9], -1
	s_and_b64 vcc, exec, s[8:9]
	s_cbranch_vccnz .LBB118_2
; %bb.1:
	s_load_dword s12, s[12:13], 0x0
.LBB118_2:
	s_andn2_b64 vcc, exec, s[6:7]
	s_cbranch_vccnz .LBB118_4
; %bb.3:
	s_load_dword s16, s[16:17], 0x0
.LBB118_4:
	s_waitcnt lgkmcnt(0)
	v_cmp_neq_f32_e64 s[6:7], s12, 0
	v_cmp_neq_f32_e64 s[8:9], s16, 1.0
	s_or_b64 s[6:7], s[6:7], s[8:9]
	s_andn2_b64 vcc, exec, s[6:7]
	s_cbranch_vccnz .LBB118_10
; %bb.5:
	s_load_dwordx2 s[6:7], s[0:1], 0x20
	v_lshrrev_b32_e32 v1, 5, v0
	v_lshl_or_b32 v2, s2, 2, v1
	v_mov_b32_e32 v3, 0
	s_mov_b64 s[2:3], 0
	s_waitcnt lgkmcnt(0)
	s_cmp_lg_u64 s[6:7], 0
	s_cbranch_scc0 .LBB118_11
; %bb.6:
	v_cmp_gt_i64_e32 vcc, s[14:15], v[2:3]
                                        ; implicit-def: $vgpr20_vgpr21
                                        ; implicit-def: $vgpr24_vgpr25
	s_and_saveexec_b64 s[8:9], vcc
	s_xor_b64 s[8:9], exec, s[8:9]
	s_cbranch_execz .LBB118_8
; %bb.7:
	v_lshl_add_u64 v[4:5], v[2:3], 3, s[6:7]
	global_load_dwordx2 v[4:5], v[4:5], off
	s_mov_b32 s5, 0
	s_mov_b64 s[2:3], exec
	v_mov_b64_e32 v[24:25], s[4:5]
	s_waitcnt vmcnt(0)
	v_subrev_co_u32_e32 v20, vcc, s4, v4
	s_nop 1
	v_subbrev_co_u32_e32 v21, vcc, 0, v5, vcc
.LBB118_8:
	s_or_b64 exec, exec, s[8:9]
.LBB118_9:
	s_and_saveexec_b64 s[4:5], s[2:3]
	s_cbranch_execnz .LBB118_15
.LBB118_10:
	s_endpgm
.LBB118_11:
                                        ; implicit-def: $vgpr20_vgpr21
                                        ; implicit-def: $vgpr24_vgpr25
	s_cbranch_execz .LBB118_9
; %bb.12:
	s_load_dwordx2 s[6:7], s[0:1], 0x0
	s_waitcnt lgkmcnt(0)
	v_cmp_gt_i64_e32 vcc, s[6:7], v[2:3]
	s_and_saveexec_b64 s[6:7], vcc
; %bb.13:
	s_mov_b32 s5, 0
	s_or_b64 s[2:3], s[2:3], exec
; %bb.14:
	s_or_b64 exec, exec, s[6:7]
	v_mov_b64_e32 v[24:25], s[4:5]
	v_mov_b64_e32 v[20:21], v[2:3]
	s_and_saveexec_b64 s[4:5], s[2:3]
	s_cbranch_execz .LBB118_10
.LBB118_15:
	s_load_dwordx8 s[4:11], s[0:1], 0x28
	v_lshlrev_b64 v[2:3], 3, v[20:21]
	v_and_b32_e32 v22, 31, v0
	v_mov_b32_e32 v23, 0
	s_waitcnt lgkmcnt(0)
	v_lshl_add_u64 v[4:5], s[4:5], 0, v[2:3]
	s_cmp_eq_u64 s[6:7], 0
	v_lshl_add_u64 v[6:7], s[6:7], 0, v[2:3]
	global_load_dwordx2 v[2:3], v[4:5], off
	v_lshl_add_u64 v[4:5], v[4:5], 0, 8
	s_cselect_b64 vcc, -1, 0
	v_cndmask_b32_e32 v5, v7, v5, vcc
	v_cndmask_b32_e32 v4, v6, v4, vcc
	global_load_dwordx2 v[4:5], v[4:5], off
	s_load_dword s2, s[0:1], 0x8
	s_load_dwordx2 s[4:5], s[0:1], 0x48
	s_waitcnt lgkmcnt(0)
	s_cmp_eq_u32 s2, 1
	s_waitcnt vmcnt(1)
	v_sub_co_u32_e32 v0, vcc, v2, v24
	s_nop 1
	v_subb_co_u32_e32 v1, vcc, v3, v25, vcc
	v_lshl_add_u64 v[26:27], v[0:1], 0, v[22:23]
	s_waitcnt vmcnt(0)
	v_sub_co_u32_e32 v28, vcc, v4, v24
	v_lshlrev_b64 v[0:1], 5, v[26:27]
	s_nop 0
	v_subb_co_u32_e32 v29, vcc, v5, v25, vcc
	v_lshl_add_u64 v[30:31], s[10:11], 0, v[0:1]
	v_cmp_lt_i64_e64 s[2:3], v[26:27], v[28:29]
	s_cbranch_scc1 .LBB118_27
; %bb.16:
	v_mov_b32_e32 v32, v23
	v_mov_b32_e32 v35, v23
	v_mov_b32_e32 v34, v23
	s_and_saveexec_b64 s[6:7], s[2:3]
	s_cbranch_execz .LBB118_26
; %bb.17:
	v_or_b32_e32 v0, 32, v22
	v_sub_co_u32_e32 v0, vcc, v0, v24
	v_not_b32_e32 v5, v3
	s_nop 0
	v_subb_co_u32_e32 v1, vcc, 0, v25, vcc
	v_lshl_add_u64 v[0:1], v[0:1], 0, v[2:3]
	v_cmp_gt_i64_e32 vcc, v[0:1], v[28:29]
	v_not_b32_e32 v4, v2
	v_mov_b32_e32 v32, 0
	v_cndmask_b32_e32 v1, v29, v1, vcc
	v_cndmask_b32_e32 v0, v28, v0, vcc
	v_sub_co_u32_e32 v6, vcc, v24, v22
	s_mov_b64 s[10:11], 0x60
	s_nop 0
	v_subbrev_co_u32_e32 v7, vcc, 0, v25, vcc
	v_lshl_add_u64 v[4:5], v[6:7], 0, v[4:5]
	v_lshl_add_u64 v[6:7], v[4:5], 0, v[0:1]
	v_and_b32_e32 v0, 0x60, v6
	v_mov_b32_e32 v1, v32
	v_mov_b32_e32 v33, v32
	v_cmp_ne_u64_e32 vcc, s[10:11], v[0:1]
	v_mov_b64_e32 v[34:35], v[32:33]
	v_mov_b64_e32 v[0:1], v[26:27]
	;; [unrolled: 1-line block ×3, first 2 shown]
	s_and_saveexec_b64 s[10:11], vcc
	s_cbranch_execz .LBB118_21
; %bb.18:
	v_lshrrev_b32_e32 v0, 5, v6
	v_add_u32_e32 v0, 1, v0
	v_and_b32_e32 v0, 3, v0
	v_sub_co_u32_e32 v8, vcc, 0, v0
	s_mov_b64 s[14:15], 0
	s_nop 0
	v_subb_co_u32_e64 v9, s[18:19], 0, 0, vcc
	v_lshl_add_u64 v[10:11], v[26:27], 3, s[8:9]
	s_mov_b64 s[18:19], 0x400
	s_mov_b64 s[20:21], 0x100
	v_mov_b64_e32 v[4:5], v[30:31]
	v_mov_b64_e32 v[0:1], v[26:27]
	v_mov_b32_e32 v33, v32
	v_mov_b32_e32 v34, v32
	;; [unrolled: 1-line block ×3, first 2 shown]
.LBB118_19:                             ; =>This Inner Loop Header: Depth=1
	global_load_dwordx2 v[36:37], v[10:11], off
	global_load_dwordx4 v[12:15], v[4:5], off
	global_load_dwordx4 v[16:19], v[4:5], off offset:16
	v_lshl_add_u64 v[8:9], v[8:9], 0, 1
	v_lshl_add_u64 v[4:5], v[4:5], 0, s[18:19]
	;; [unrolled: 1-line block ×4, first 2 shown]
	s_waitcnt vmcnt(2)
	v_sub_co_u32_e32 v36, vcc, v36, v24
	s_nop 1
	v_subb_co_u32_e32 v37, vcc, v37, v25, vcc
	v_lshl_add_u64 v[36:37], v[36:37], 3, s[4:5]
	global_load_dwordx2 v[36:37], v[36:37], off
	s_waitcnt vmcnt(2)
	v_lshlrev_b32_e32 v41, 16, v14
	v_lshlrev_b32_e32 v40, 16, v12
	v_and_b32_e32 v43, 0xffff0000, v14
	v_lshlrev_b32_e32 v45, 16, v15
	v_and_b32_e32 v39, 0xffff0000, v15
	s_waitcnt vmcnt(1)
	v_lshlrev_b32_e32 v15, 16, v18
	v_lshlrev_b32_e32 v14, 16, v16
	v_and_b32_e32 v46, 0xffff0000, v16
	v_and_b32_e32 v42, 0xffff0000, v12
	v_and_b32_e32 v47, 0xffff0000, v18
	v_lshlrev_b32_e32 v44, 16, v13
	v_and_b32_e32 v12, 0xffff0000, v17
	v_lshlrev_b32_e32 v49, 16, v19
	v_lshlrev_b32_e32 v48, 16, v17
	v_cmp_eq_u64_e32 vcc, 0, v[8:9]
	v_and_b32_e32 v38, 0xffff0000, v13
	v_and_b32_e32 v13, 0xffff0000, v19
	s_or_b64 s[14:15], vcc, s[14:15]
	s_waitcnt vmcnt(0)
	v_lshlrev_b32_e32 v16, 16, v36
	v_and_b32_e32 v18, 0xffff0000, v36
	v_pk_fma_f32 v[34:35], v[40:41], v[16:17], v[34:35] op_sel_hi:[1,0,1]
	v_pk_fma_f32 v[14:15], v[14:15], v[16:17], v[32:33] op_sel_hi:[1,0,1]
	v_lshlrev_b32_e32 v36, 16, v37
	v_pk_fma_f32 v[16:17], v[42:43], v[18:19], v[34:35] op_sel_hi:[1,0,1]
	v_pk_fma_f32 v[14:15], v[46:47], v[18:19], v[14:15] op_sel_hi:[1,0,1]
	v_and_b32_e32 v50, 0xffff0000, v37
	v_pk_fma_f32 v[16:17], v[44:45], v[36:37], v[16:17] op_sel_hi:[1,0,1]
	v_pk_fma_f32 v[14:15], v[48:49], v[36:37], v[14:15] op_sel_hi:[1,0,1]
	;; [unrolled: 1-line block ×4, first 2 shown]
	s_andn2_b64 exec, exec, s[14:15]
	s_cbranch_execnz .LBB118_19
; %bb.20:
	s_or_b64 exec, exec, s[14:15]
.LBB118_21:
	s_or_b64 exec, exec, s[10:11]
	s_mov_b64 s[10:11], 0x5f
	v_cmp_lt_u64_e32 vcc, s[10:11], v[6:7]
	s_and_saveexec_b64 s[10:11], vcc
	s_cbranch_execz .LBB118_25
; %bb.22:
	v_lshl_add_u64 v[6:7], v[0:1], 3, s[8:9]
	s_mov_b64 s[14:15], 0x200
	v_lshl_add_u64 v[6:7], v[6:7], 0, s[14:15]
	s_mov_b64 s[14:15], 0
	s_mov_b64 s[18:19], 0x1000
	;; [unrolled: 1-line block ×4, first 2 shown]
.LBB118_23:                             ; =>This Inner Loop Header: Depth=1
	global_load_dwordx2 v[56:57], v[6:7], off offset:-512
	global_load_dwordx4 v[8:11], v[4:5], off
	global_load_dwordx4 v[12:15], v[4:5], off offset:16
	global_load_dwordx2 v[58:59], v[6:7], off offset:-256
	global_load_dwordx2 v[60:61], v[6:7], off
	global_load_dwordx2 v[62:63], v[6:7], off offset:256
	global_load_dwordx4 v[16:19], v[4:5], off offset:3072
	global_load_dwordx4 v[36:39], v[4:5], off offset:1024
	;; [unrolled: 1-line block ×6, first 2 shown]
	v_lshl_add_u64 v[0:1], v[0:1], 0, s[20:21]
	v_cmp_ge_i64_e32 vcc, v[0:1], v[28:29]
	s_or_b64 s[14:15], vcc, s[14:15]
	v_lshl_add_u64 v[4:5], v[4:5], 0, s[18:19]
	v_lshl_add_u64 v[6:7], v[6:7], 0, s[22:23]
	s_waitcnt vmcnt(11)
	v_sub_co_u32_e32 v56, vcc, v56, v24
	s_nop 1
	v_subb_co_u32_e32 v57, vcc, v57, v25, vcc
	s_waitcnt vmcnt(10)
	v_lshlrev_b32_e32 v67, 16, v10
	v_and_b32_e32 v69, 0xffff0000, v10
	s_waitcnt vmcnt(9)
	v_lshlrev_b32_e32 v10, 16, v12
	v_and_b32_e32 v72, 0xffff0000, v12
	s_waitcnt vmcnt(8)
	v_sub_co_u32_e32 v12, vcc, v58, v24
	v_lshlrev_b32_e32 v66, 16, v8
	v_and_b32_e32 v68, 0xffff0000, v8
	v_and_b32_e32 v8, 0xffff0000, v13
	v_lshlrev_b32_e32 v74, 16, v13
	v_subb_co_u32_e32 v13, vcc, v59, v25, vcc
	v_lshlrev_b32_e32 v71, 16, v11
	v_and_b32_e32 v65, 0xffff0000, v11
	v_lshlrev_b32_e32 v11, 16, v14
	v_and_b32_e32 v73, 0xffff0000, v14
	s_waitcnt vmcnt(7)
	v_sub_co_u32_e32 v14, vcc, v60, v24
	v_and_b32_e32 v64, 0xffff0000, v9
	v_lshlrev_b32_e32 v70, 16, v9
	v_lshlrev_b32_e32 v75, 16, v15
	v_and_b32_e32 v9, 0xffff0000, v15
	v_subb_co_u32_e32 v15, vcc, v61, v25, vcc
	s_waitcnt vmcnt(6)
	v_sub_co_u32_e32 v58, vcc, v62, v24
	v_lshl_add_u64 v[56:57], v[56:57], 3, s[4:5]
	s_nop 0
	v_subb_co_u32_e32 v59, vcc, v63, v25, vcc
	v_lshl_add_u64 v[12:13], v[12:13], 3, s[4:5]
	v_lshl_add_u64 v[14:15], v[14:15], 3, s[4:5]
	;; [unrolled: 1-line block ×3, first 2 shown]
	global_load_dwordx2 v[82:83], v[56:57], off
	global_load_dwordx2 v[84:85], v[12:13], off
	;; [unrolled: 1-line block ×4, first 2 shown]
	s_waitcnt vmcnt(6)
	v_lshlrev_b32_e32 v56, 16, v44
	v_and_b32_e32 v58, 0xffff0000, v44
	s_waitcnt vmcnt(4)
	v_lshlrev_b32_e32 v44, 16, v52
	v_and_b32_e32 v92, 0xffff0000, v52
	v_lshlrev_b32_e32 v52, 16, v48
	v_and_b32_e32 v96, 0xffff0000, v48
	v_lshlrev_b32_e32 v63, 16, v38
	v_lshlrev_b32_e32 v62, 16, v36
	;; [unrolled: 1-line block ×3, first 2 shown]
	v_and_b32_e32 v77, 0xffff0000, v38
	v_and_b32_e32 v76, 0xffff0000, v36
	;; [unrolled: 1-line block ×3, first 2 shown]
	v_lshlrev_b32_e32 v79, 16, v39
	v_lshlrev_b32_e32 v78, 16, v37
	;; [unrolled: 1-line block ×4, first 2 shown]
	v_and_b32_e32 v39, 0xffff0000, v39
	v_and_b32_e32 v38, 0xffff0000, v37
	;; [unrolled: 1-line block ×4, first 2 shown]
	v_lshlrev_b32_e32 v37, 16, v42
	v_lshlrev_b32_e32 v36, 16, v40
	;; [unrolled: 1-line block ×3, first 2 shown]
	v_and_b32_e32 v81, 0xffff0000, v42
	v_and_b32_e32 v80, 0xffff0000, v40
	;; [unrolled: 1-line block ×3, first 2 shown]
	v_lshlrev_b32_e32 v13, 16, v43
	v_lshlrev_b32_e32 v12, 16, v41
	;; [unrolled: 1-line block ×4, first 2 shown]
	v_and_b32_e32 v15, 0xffff0000, v43
	v_and_b32_e32 v14, 0xffff0000, v41
	;; [unrolled: 1-line block ×4, first 2 shown]
	v_lshlrev_b32_e32 v41, 16, v18
	v_lshlrev_b32_e32 v40, 16, v16
	;; [unrolled: 1-line block ×3, first 2 shown]
	v_and_b32_e32 v43, 0xffff0000, v18
	v_and_b32_e32 v42, 0xffff0000, v16
	;; [unrolled: 1-line block ×3, first 2 shown]
	v_lshlrev_b32_e32 v60, 16, v17
	v_lshlrev_b32_e32 v61, 16, v19
	v_and_b32_e32 v18, 0xffff0000, v17
	v_lshlrev_b32_e32 v16, 16, v49
	v_lshlrev_b32_e32 v17, 16, v51
	v_and_b32_e32 v19, 0xffff0000, v19
	v_and_b32_e32 v51, 0xffff0000, v51
	;; [unrolled: 1-line block ×3, first 2 shown]
	s_waitcnt vmcnt(3)
	v_lshlrev_b32_e32 v48, 16, v82
	v_and_b32_e32 v82, 0xffff0000, v82
	v_pk_fma_f32 v[34:35], v[66:67], v[48:49], v[34:35] op_sel_hi:[1,0,1]
	v_pk_fma_f32 v[10:11], v[10:11], v[48:49], v[32:33] op_sel_hi:[1,0,1]
	v_lshlrev_b32_e32 v98, 16, v83
	v_pk_fma_f32 v[34:35], v[68:69], v[82:83], v[34:35] op_sel_hi:[1,0,1]
	v_pk_fma_f32 v[10:11], v[72:73], v[82:83], v[10:11] op_sel_hi:[1,0,1]
	v_and_b32_e32 v100, 0xffff0000, v83
	v_pk_fma_f32 v[34:35], v[70:71], v[98:99], v[34:35] op_sel_hi:[1,0,1]
	v_pk_fma_f32 v[10:11], v[74:75], v[98:99], v[10:11] op_sel_hi:[1,0,1]
	s_waitcnt vmcnt(2)
	v_lshlrev_b32_e32 v66, 16, v84
	v_pk_fma_f32 v[34:35], v[64:65], v[100:101], v[34:35] op_sel_hi:[1,0,1]
	v_pk_fma_f32 v[8:9], v[8:9], v[100:101], v[10:11] op_sel_hi:[1,0,1]
	v_and_b32_e32 v32, 0xffff0000, v84
	v_pk_fma_f32 v[10:11], v[62:63], v[66:67], v[34:35] op_sel_hi:[1,0,1]
	v_pk_fma_f32 v[8:9], v[56:57], v[66:67], v[8:9] op_sel_hi:[1,0,1]
	v_lshlrev_b32_e32 v48, 16, v85
	v_pk_fma_f32 v[10:11], v[76:77], v[32:33], v[10:11] op_sel_hi:[1,0,1]
	v_pk_fma_f32 v[8:9], v[58:59], v[32:33], v[8:9] op_sel_hi:[1,0,1]
	v_and_b32_e32 v84, 0xffff0000, v85
	v_pk_fma_f32 v[10:11], v[78:79], v[48:49], v[10:11] op_sel_hi:[1,0,1]
	v_pk_fma_f32 v[8:9], v[90:91], v[48:49], v[8:9] op_sel_hi:[1,0,1]
	s_waitcnt vmcnt(1)
	v_lshlrev_b32_e32 v68, 16, v86
	v_pk_fma_f32 v[10:11], v[38:39], v[84:85], v[10:11] op_sel_hi:[1,0,1]
	v_pk_fma_f32 v[8:9], v[46:47], v[84:85], v[8:9] op_sel_hi:[1,0,1]
	;; [unrolled: 13-line block ×3, first 2 shown]
	v_and_b32_e32 v74, 0xffff0000, v88
	v_pk_fma_f32 v[10:11], v[40:41], v[70:71], v[10:11] op_sel_hi:[1,0,1]
	v_pk_fma_f32 v[8:9], v[52:53], v[70:71], v[8:9] op_sel_hi:[1,0,1]
	v_lshlrev_b32_e32 v88, 16, v89
	v_pk_fma_f32 v[10:11], v[42:43], v[74:75], v[10:11] op_sel_hi:[1,0,1]
	v_pk_fma_f32 v[8:9], v[96:97], v[74:75], v[8:9] op_sel_hi:[1,0,1]
	v_and_b32_e32 v98, 0xffff0000, v89
	v_pk_fma_f32 v[10:11], v[60:61], v[88:89], v[10:11] op_sel_hi:[1,0,1]
	v_pk_fma_f32 v[8:9], v[16:17], v[88:89], v[8:9] op_sel_hi:[1,0,1]
	;; [unrolled: 1-line block ×4, first 2 shown]
	s_andn2_b64 exec, exec, s[14:15]
	s_cbranch_execnz .LBB118_23
; %bb.24:
	s_or_b64 exec, exec, s[14:15]
.LBB118_25:
	s_or_b64 exec, exec, s[10:11]
	v_mov_b32_e32 v23, v33
.LBB118_26:
	s_or_b64 exec, exec, s[6:7]
	v_mov_b32_e32 v33, v23
	s_cbranch_execz .LBB118_28
	s_branch .LBB118_39
.LBB118_27:
                                        ; implicit-def: $vgpr33
                                        ; implicit-def: $vgpr35
.LBB118_28:
	v_mov_b32_e32 v33, 0
	v_mov_b32_e32 v32, 0
	;; [unrolled: 1-line block ×4, first 2 shown]
	s_and_saveexec_b64 s[6:7], s[2:3]
	s_cbranch_execz .LBB118_38
; %bb.29:
	v_or_b32_e32 v0, 32, v22
	v_sub_co_u32_e32 v0, vcc, v0, v24
	v_mov_b32_e32 v32, 0
	s_nop 0
	v_subb_co_u32_e32 v1, vcc, 0, v25, vcc
	v_lshl_add_u64 v[0:1], v[0:1], 0, v[2:3]
	v_cmp_gt_i64_e32 vcc, v[0:1], v[28:29]
	v_not_b32_e32 v3, v3
	v_not_b32_e32 v2, v2
	v_cndmask_b32_e32 v1, v29, v1, vcc
	v_cndmask_b32_e32 v0, v28, v0, vcc
	v_sub_co_u32_e32 v4, vcc, v24, v22
	s_mov_b64 s[2:3], 0x60
	s_nop 0
	v_subbrev_co_u32_e32 v5, vcc, 0, v25, vcc
	v_lshl_add_u64 v[2:3], v[4:5], 0, v[2:3]
	v_lshl_add_u64 v[0:1], v[2:3], 0, v[0:1]
	v_and_b32_e32 v2, 0x60, v0
	v_mov_b32_e32 v3, v32
	v_mov_b32_e32 v33, v32
	v_cmp_ne_u64_e32 vcc, s[2:3], v[2:3]
	v_mov_b64_e32 v[34:35], v[32:33]
	s_and_saveexec_b64 s[2:3], vcc
	s_cbranch_execz .LBB118_33
; %bb.30:
	v_lshrrev_b32_e32 v2, 5, v0
	v_add_u32_e32 v2, 1, v2
	v_and_b32_e32 v4, 3, v2
	v_sub_co_u32_e32 v4, vcc, 0, v4
	v_lshl_add_u64 v[2:3], v[26:27], 3, s[8:9]
	s_nop 0
	v_subb_co_u32_e64 v5, s[14:15], 0, 0, vcc
	s_mov_b64 s[10:11], 0
	s_mov_b64 s[14:15], 0x400
	;; [unrolled: 1-line block ×3, first 2 shown]
	v_mov_b32_e32 v33, v32
	v_mov_b32_e32 v34, v32
	;; [unrolled: 1-line block ×3, first 2 shown]
.LBB118_31:                             ; =>This Inner Loop Header: Depth=1
	global_load_dwordx2 v[10:11], v[2:3], off
	global_load_dwordx4 v[6:9], v[30:31], off
	v_lshl_add_u64 v[4:5], v[4:5], 0, 1
	v_lshl_add_u64 v[26:27], v[26:27], 0, 32
	;; [unrolled: 1-line block ×3, first 2 shown]
	s_waitcnt vmcnt(1)
	v_sub_co_u32_e32 v10, vcc, v10, v24
	s_nop 1
	v_subb_co_u32_e32 v11, vcc, v11, v25, vcc
	v_lshl_add_u64 v[14:15], v[10:11], 3, s[4:5]
	global_load_dwordx2 v[16:17], v[14:15], off
	global_load_dwordx4 v[10:13], v[30:31], off offset:16
	s_waitcnt vmcnt(2)
	v_and_b32_e32 v15, 0xffff0000, v6
	v_lshlrev_b32_e32 v14, 16, v6
	v_and_b32_e32 v19, 0xffff0000, v8
	v_lshlrev_b32_e32 v18, 16, v8
	;; [unrolled: 2-line block ×4, first 2 shown]
	v_cmp_eq_u64_e32 vcc, 0, v[4:5]
	v_lshl_add_u64 v[30:31], v[30:31], 0, s[14:15]
	s_or_b64 s[10:11], vcc, s[10:11]
	s_waitcnt vmcnt(1)
	v_lshlrev_b32_e32 v42, 16, v17
	s_waitcnt vmcnt(0)
	v_and_b32_e32 v9, 0xffff0000, v10
	v_lshlrev_b32_e32 v8, 16, v10
	v_and_b32_e32 v39, 0xffff0000, v11
	v_lshlrev_b32_e32 v38, 16, v11
	;; [unrolled: 2-line block ×3, first 2 shown]
	v_lshlrev_b32_e32 v12, 16, v16
	v_and_b32_e32 v41, 0xffff0000, v13
	v_lshlrev_b32_e32 v40, 16, v13
	v_and_b32_e32 v16, 0xffff0000, v16
	v_pk_fma_f32 v[14:15], v[14:15], v[12:13], v[34:35] op_sel_hi:[1,0,1]
	v_pk_fma_f32 v[12:13], v[36:37], v[12:13], v[32:33] op_sel_hi:[1,0,1]
	;; [unrolled: 1-line block ×4, first 2 shown]
	v_and_b32_e32 v44, 0xffff0000, v17
	v_pk_fma_f32 v[8:9], v[8:9], v[42:43], v[14:15] op_sel_hi:[1,0,1]
	v_pk_fma_f32 v[6:7], v[38:39], v[42:43], v[6:7] op_sel_hi:[1,0,1]
	;; [unrolled: 1-line block ×4, first 2 shown]
	s_andn2_b64 exec, exec, s[10:11]
	s_cbranch_execnz .LBB118_31
; %bb.32:
	s_or_b64 exec, exec, s[10:11]
.LBB118_33:
	s_or_b64 exec, exec, s[2:3]
	s_mov_b64 s[2:3], 0x5f
	v_cmp_lt_u64_e32 vcc, s[2:3], v[0:1]
	s_and_saveexec_b64 s[2:3], vcc
	s_cbranch_execz .LBB118_37
; %bb.34:
	v_lshl_add_u64 v[0:1], v[26:27], 3, s[8:9]
	s_mov_b64 s[8:9], 0x200
	v_lshl_add_u64 v[36:37], v[0:1], 0, s[8:9]
	s_mov_b64 s[8:9], 0
	s_mov_b64 s[10:11], 0x1000
	;; [unrolled: 1-line block ×4, first 2 shown]
.LBB118_35:                             ; =>This Inner Loop Header: Depth=1
	global_load_dwordx4 v[0:3], v[30:31], off
	global_load_dwordx4 v[8:11], v[30:31], off offset:16
	global_load_dwordx4 v[4:7], v[30:31], off offset:1024
	;; [unrolled: 1-line block ×4, first 2 shown]
	global_load_dwordx2 v[50:51], v[36:37], off offset:-512
	global_load_dwordx2 v[52:53], v[36:37], off offset:-256
	global_load_dwordx2 v[54:55], v[36:37], off
	global_load_dwordx2 v[56:57], v[36:37], off offset:256
	global_load_dwordx4 v[38:41], v[30:31], off offset:2064
	global_load_dwordx4 v[42:45], v[30:31], off offset:3072
	;; [unrolled: 1-line block ×3, first 2 shown]
	v_lshl_add_u64 v[26:27], v[26:27], 0, s[14:15]
	v_cmp_ge_i64_e32 vcc, v[26:27], v[28:29]
	s_or_b64 s[8:9], vcc, s[8:9]
	v_lshl_add_u64 v[30:31], v[30:31], 0, s[10:11]
	v_lshl_add_u64 v[36:37], v[36:37], 0, s[18:19]
	s_waitcnt vmcnt(11)
	v_and_b32_e32 v59, 0xffff0000, v0
	v_lshlrev_b32_e32 v58, 16, v0
	v_and_b32_e32 v61, 0xffff0000, v2
	v_lshlrev_b32_e32 v60, 16, v2
	;; [unrolled: 2-line block ×4, first 2 shown]
	s_waitcnt vmcnt(10)
	v_and_b32_e32 v3, 0xffff0000, v8
	v_lshlrev_b32_e32 v2, 16, v8
	v_and_b32_e32 v65, 0xffff0000, v9
	v_lshlrev_b32_e32 v64, 16, v9
	;; [unrolled: 2-line block ×4, first 2 shown]
	s_waitcnt vmcnt(9)
	v_and_b32_e32 v11, 0xffff0000, v4
	v_lshlrev_b32_e32 v10, 16, v4
	s_waitcnt vmcnt(6)
	v_sub_co_u32_e32 v4, vcc, v50, v24
	v_and_b32_e32 v77, 0xffff0000, v5
	v_lshlrev_b32_e32 v76, 16, v5
	v_subb_co_u32_e32 v5, vcc, v51, v25, vcc
	s_waitcnt vmcnt(5)
	v_sub_co_u32_e32 v50, vcc, v52, v24
	v_lshl_add_u64 v[4:5], v[4:5], 3, s[4:5]
	s_nop 0
	v_subb_co_u32_e32 v51, vcc, v53, v25, vcc
	s_waitcnt vmcnt(4)
	v_sub_co_u32_e32 v52, vcc, v54, v24
	v_lshl_add_u64 v[50:51], v[50:51], 3, s[4:5]
	s_nop 0
	;; [unrolled: 5-line block ×3, first 2 shown]
	v_subb_co_u32_e32 v55, vcc, v57, v25, vcc
	v_lshl_add_u64 v[54:55], v[54:55], 3, s[4:5]
	global_load_dwordx2 v[56:57], v[4:5], off
	global_load_dwordx2 v[78:79], v[50:51], off
	;; [unrolled: 1-line block ×4, first 2 shown]
	v_and_b32_e32 v69, 0xffff0000, v6
	v_lshlrev_b32_e32 v68, 16, v6
	v_and_b32_e32 v71, 0xffff0000, v12
	v_lshlrev_b32_e32 v70, 16, v12
	;; [unrolled: 2-line block ×10, first 2 shown]
	s_waitcnt vmcnt(6)
	v_and_b32_e32 v19, 0xffff0000, v38
	v_lshlrev_b32_e32 v18, 16, v38
	v_and_b32_e32 v53, 0xffff0000, v40
	v_lshlrev_b32_e32 v52, 16, v40
	v_and_b32_e32 v55, 0xffff0000, v39
	v_lshlrev_b32_e32 v54, 16, v39
	v_and_b32_e32 v39, 0xffff0000, v41
	v_lshlrev_b32_e32 v38, 16, v41
	s_waitcnt vmcnt(5)
	v_and_b32_e32 v41, 0xffff0000, v42
	v_lshlrev_b32_e32 v40, 16, v42
	v_and_b32_e32 v85, 0xffff0000, v43
	v_lshlrev_b32_e32 v84, 16, v43
	v_and_b32_e32 v43, 0xffff0000, v44
	v_lshlrev_b32_e32 v42, 16, v44
	v_and_b32_e32 v87, 0xffff0000, v45
	v_lshlrev_b32_e32 v86, 16, v45
	;; [unrolled: 9-line block ×3, first 2 shown]
	s_waitcnt vmcnt(3)
	v_lshlrev_b32_e32 v48, 16, v56
	v_and_b32_e32 v56, 0xffff0000, v56
	v_pk_fma_f32 v[34:35], v[58:59], v[48:49], v[34:35] op_sel_hi:[1,0,1]
	v_pk_fma_f32 v[32:33], v[62:63], v[48:49], v[32:33] op_sel_hi:[1,0,1]
	v_lshlrev_b32_e32 v92, 16, v57
	v_pk_fma_f32 v[34:35], v[60:61], v[56:57], v[34:35] op_sel_hi:[1,0,1]
	v_pk_fma_f32 v[0:1], v[0:1], v[56:57], v[32:33] op_sel_hi:[1,0,1]
	v_and_b32_e32 v94, 0xffff0000, v57
	v_pk_fma_f32 v[2:3], v[2:3], v[92:93], v[34:35] op_sel_hi:[1,0,1]
	v_pk_fma_f32 v[0:1], v[64:65], v[92:93], v[0:1] op_sel_hi:[1,0,1]
	s_waitcnt vmcnt(2)
	v_lshlrev_b32_e32 v58, 16, v78
	v_pk_fma_f32 v[2:3], v[8:9], v[94:95], v[2:3] op_sel_hi:[1,0,1]
	v_pk_fma_f32 v[0:1], v[66:67], v[94:95], v[0:1] op_sel_hi:[1,0,1]
	v_and_b32_e32 v48, 0xffff0000, v78
	v_pk_fma_f32 v[2:3], v[10:11], v[58:59], v[2:3] op_sel_hi:[1,0,1]
	v_pk_fma_f32 v[0:1], v[76:77], v[58:59], v[0:1] op_sel_hi:[1,0,1]
	v_lshlrev_b32_e32 v62, 16, v79
	v_pk_fma_f32 v[2:3], v[68:69], v[48:49], v[2:3] op_sel_hi:[1,0,1]
	v_pk_fma_f32 v[0:1], v[4:5], v[48:49], v[0:1] op_sel_hi:[1,0,1]
	v_and_b32_e32 v78, 0xffff0000, v79
	v_pk_fma_f32 v[2:3], v[70:71], v[62:63], v[2:3] op_sel_hi:[1,0,1]
	v_pk_fma_f32 v[0:1], v[6:7], v[62:63], v[0:1] op_sel_hi:[1,0,1]
	s_waitcnt vmcnt(1)
	v_lshlrev_b32_e32 v60, 16, v80
	v_pk_fma_f32 v[2:3], v[72:73], v[78:79], v[2:3] op_sel_hi:[1,0,1]
	v_pk_fma_f32 v[0:1], v[12:13], v[78:79], v[0:1] op_sel_hi:[1,0,1]
	;; [unrolled: 13-line block ×3, first 2 shown]
	v_and_b32_e32 v64, 0xffff0000, v82
	v_pk_fma_f32 v[2:3], v[40:41], v[34:35], v[2:3] op_sel_hi:[1,0,1]
	v_pk_fma_f32 v[0:1], v[84:85], v[34:35], v[0:1] op_sel_hi:[1,0,1]
	v_lshlrev_b32_e32 v82, 16, v83
	v_pk_fma_f32 v[2:3], v[42:43], v[64:65], v[2:3] op_sel_hi:[1,0,1]
	v_pk_fma_f32 v[0:1], v[86:87], v[64:65], v[0:1] op_sel_hi:[1,0,1]
	v_and_b32_e32 v92, 0xffff0000, v83
	v_pk_fma_f32 v[2:3], v[44:45], v[82:83], v[2:3] op_sel_hi:[1,0,1]
	v_pk_fma_f32 v[0:1], v[88:89], v[82:83], v[0:1] op_sel_hi:[1,0,1]
	;; [unrolled: 1-line block ×4, first 2 shown]
	s_andn2_b64 exec, exec, s[8:9]
	s_cbranch_execnz .LBB118_35
; %bb.36:
	s_or_b64 exec, exec, s[8:9]
.LBB118_37:
	s_or_b64 exec, exec, s[2:3]
.LBB118_38:
	s_or_b64 exec, exec, s[6:7]
.LBB118_39:
	v_mov_b32_dpp v0, v34 row_shr:1 row_mask:0xf bank_mask:0xf
	v_mov_b32_dpp v1, v35 row_shr:1 row_mask:0xf bank_mask:0xf
	;; [unrolled: 1-line block ×4, first 2 shown]
	v_pk_add_f32 v[0:1], v[34:35], v[0:1]
	v_pk_add_f32 v[4:5], v[32:33], v[4:5]
	v_cmp_eq_u32_e32 vcc, 31, v22
	v_mov_b32_dpp v2, v0 row_shr:2 row_mask:0xf bank_mask:0xf
	v_mov_b32_dpp v3, v1 row_shr:2 row_mask:0xf bank_mask:0xf
	v_mov_b32_dpp v6, v4 row_shr:2 row_mask:0xf bank_mask:0xf
	v_mov_b32_dpp v7, v5 row_shr:2 row_mask:0xf bank_mask:0xf
	v_pk_add_f32 v[0:1], v[0:1], v[2:3]
	v_pk_add_f32 v[4:5], v[4:5], v[6:7]
	s_nop 0
	v_mov_b32_dpp v2, v0 row_shr:4 row_mask:0xf bank_mask:0xe
	v_mov_b32_dpp v3, v1 row_shr:4 row_mask:0xf bank_mask:0xe
	v_mov_b32_dpp v6, v4 row_shr:4 row_mask:0xf bank_mask:0xe
	v_mov_b32_dpp v7, v5 row_shr:4 row_mask:0xf bank_mask:0xe
	v_pk_add_f32 v[0:1], v[0:1], v[2:3]
	v_pk_add_f32 v[4:5], v[4:5], v[6:7]
	s_nop 0
	v_mov_b32_dpp v2, v0 row_shr:8 row_mask:0xf bank_mask:0xc
	v_mov_b32_dpp v3, v1 row_shr:8 row_mask:0xf bank_mask:0xc
	v_mov_b32_dpp v6, v4 row_shr:8 row_mask:0xf bank_mask:0xc
	v_mov_b32_dpp v7, v5 row_shr:8 row_mask:0xf bank_mask:0xc
	v_pk_add_f32 v[0:1], v[0:1], v[2:3]
	v_pk_add_f32 v[6:7], v[4:5], v[6:7]
	s_nop 0
	v_mov_b32_dpp v2, v0 row_bcast:15 row_mask:0xa bank_mask:0xf
	v_mov_b32_dpp v3, v1 row_bcast:15 row_mask:0xa bank_mask:0xf
	;; [unrolled: 1-line block ×4, first 2 shown]
	s_and_b64 exec, exec, vcc
	s_cbranch_execz .LBB118_10
; %bb.40:
	s_load_dwordx2 s[0:1], s[0:1], 0x58
	v_cmp_eq_f32_e64 s[2:3], s16, 0
	v_pk_add_f32 v[4:5], v[0:1], v[2:3]
	v_pk_add_f32 v[2:3], v[6:7], v[8:9]
	s_and_b64 vcc, exec, s[2:3]
	s_waitcnt lgkmcnt(0)
	v_lshl_add_u64 v[0:1], v[20:21], 4, s[0:1]
	s_cbranch_vccz .LBB118_42
; %bb.41:
	v_pk_mul_f32 v[6:7], s[12:13], v[4:5] op_sel_hi:[0,1]
	v_pk_mul_f32 v[8:9], s[12:13], v[2:3] op_sel_hi:[0,1]
	global_store_dwordx4 v[0:1], v[6:9], off
	s_cbranch_execnz .LBB118_10
	s_branch .LBB118_43
.LBB118_42:
.LBB118_43:
	global_load_dwordx4 v[6:9], v[0:1], off
	v_pk_mul_f32 v[4:5], s[12:13], v[4:5] op_sel_hi:[0,1]
	v_pk_mul_f32 v[10:11], s[12:13], v[2:3] op_sel_hi:[0,1]
	s_waitcnt vmcnt(0)
	v_pk_fma_f32 v[2:3], s[16:17], v[6:7], v[4:5] op_sel_hi:[0,1,1]
	v_pk_fma_f32 v[4:5], s[16:17], v[8:9], v[10:11] op_sel_hi:[0,1,1]
	global_store_dwordx4 v[0:1], v[2:5], off
	s_endpgm
	.section	.rodata,"a",@progbits
	.p2align	6, 0x0
	.amdhsa_kernel _ZN9rocsparseL18bsrxmvn_4x4_kernelILj128ELj32Efll18rocsparse_bfloat16S1_fEEvT3_20rocsparse_direction_NS_24const_host_device_scalarIT1_EES2_PKS2_PKT2_SB_S8_PKT4_PKT5_S6_PT6_21rocsparse_index_base_b
		.amdhsa_group_segment_fixed_size 0
		.amdhsa_private_segment_fixed_size 0
		.amdhsa_kernarg_size 104
		.amdhsa_user_sgpr_count 2
		.amdhsa_user_sgpr_dispatch_ptr 0
		.amdhsa_user_sgpr_queue_ptr 0
		.amdhsa_user_sgpr_kernarg_segment_ptr 1
		.amdhsa_user_sgpr_dispatch_id 0
		.amdhsa_user_sgpr_kernarg_preload_length 0
		.amdhsa_user_sgpr_kernarg_preload_offset 0
		.amdhsa_user_sgpr_private_segment_size 0
		.amdhsa_uses_dynamic_stack 0
		.amdhsa_enable_private_segment 0
		.amdhsa_system_sgpr_workgroup_id_x 1
		.amdhsa_system_sgpr_workgroup_id_y 0
		.amdhsa_system_sgpr_workgroup_id_z 0
		.amdhsa_system_sgpr_workgroup_info 0
		.amdhsa_system_vgpr_workitem_id 0
		.amdhsa_next_free_vgpr 102
		.amdhsa_next_free_sgpr 24
		.amdhsa_accum_offset 104
		.amdhsa_reserve_vcc 1
		.amdhsa_float_round_mode_32 0
		.amdhsa_float_round_mode_16_64 0
		.amdhsa_float_denorm_mode_32 3
		.amdhsa_float_denorm_mode_16_64 3
		.amdhsa_dx10_clamp 1
		.amdhsa_ieee_mode 1
		.amdhsa_fp16_overflow 0
		.amdhsa_tg_split 0
		.amdhsa_exception_fp_ieee_invalid_op 0
		.amdhsa_exception_fp_denorm_src 0
		.amdhsa_exception_fp_ieee_div_zero 0
		.amdhsa_exception_fp_ieee_overflow 0
		.amdhsa_exception_fp_ieee_underflow 0
		.amdhsa_exception_fp_ieee_inexact 0
		.amdhsa_exception_int_div_zero 0
	.end_amdhsa_kernel
	.section	.text._ZN9rocsparseL18bsrxmvn_4x4_kernelILj128ELj32Efll18rocsparse_bfloat16S1_fEEvT3_20rocsparse_direction_NS_24const_host_device_scalarIT1_EES2_PKS2_PKT2_SB_S8_PKT4_PKT5_S6_PT6_21rocsparse_index_base_b,"axG",@progbits,_ZN9rocsparseL18bsrxmvn_4x4_kernelILj128ELj32Efll18rocsparse_bfloat16S1_fEEvT3_20rocsparse_direction_NS_24const_host_device_scalarIT1_EES2_PKS2_PKT2_SB_S8_PKT4_PKT5_S6_PT6_21rocsparse_index_base_b,comdat
.Lfunc_end118:
	.size	_ZN9rocsparseL18bsrxmvn_4x4_kernelILj128ELj32Efll18rocsparse_bfloat16S1_fEEvT3_20rocsparse_direction_NS_24const_host_device_scalarIT1_EES2_PKS2_PKT2_SB_S8_PKT4_PKT5_S6_PT6_21rocsparse_index_base_b, .Lfunc_end118-_ZN9rocsparseL18bsrxmvn_4x4_kernelILj128ELj32Efll18rocsparse_bfloat16S1_fEEvT3_20rocsparse_direction_NS_24const_host_device_scalarIT1_EES2_PKS2_PKT2_SB_S8_PKT4_PKT5_S6_PT6_21rocsparse_index_base_b
                                        ; -- End function
	.set _ZN9rocsparseL18bsrxmvn_4x4_kernelILj128ELj32Efll18rocsparse_bfloat16S1_fEEvT3_20rocsparse_direction_NS_24const_host_device_scalarIT1_EES2_PKS2_PKT2_SB_S8_PKT4_PKT5_S6_PT6_21rocsparse_index_base_b.num_vgpr, 102
	.set _ZN9rocsparseL18bsrxmvn_4x4_kernelILj128ELj32Efll18rocsparse_bfloat16S1_fEEvT3_20rocsparse_direction_NS_24const_host_device_scalarIT1_EES2_PKS2_PKT2_SB_S8_PKT4_PKT5_S6_PT6_21rocsparse_index_base_b.num_agpr, 0
	.set _ZN9rocsparseL18bsrxmvn_4x4_kernelILj128ELj32Efll18rocsparse_bfloat16S1_fEEvT3_20rocsparse_direction_NS_24const_host_device_scalarIT1_EES2_PKS2_PKT2_SB_S8_PKT4_PKT5_S6_PT6_21rocsparse_index_base_b.numbered_sgpr, 24
	.set _ZN9rocsparseL18bsrxmvn_4x4_kernelILj128ELj32Efll18rocsparse_bfloat16S1_fEEvT3_20rocsparse_direction_NS_24const_host_device_scalarIT1_EES2_PKS2_PKT2_SB_S8_PKT4_PKT5_S6_PT6_21rocsparse_index_base_b.num_named_barrier, 0
	.set _ZN9rocsparseL18bsrxmvn_4x4_kernelILj128ELj32Efll18rocsparse_bfloat16S1_fEEvT3_20rocsparse_direction_NS_24const_host_device_scalarIT1_EES2_PKS2_PKT2_SB_S8_PKT4_PKT5_S6_PT6_21rocsparse_index_base_b.private_seg_size, 0
	.set _ZN9rocsparseL18bsrxmvn_4x4_kernelILj128ELj32Efll18rocsparse_bfloat16S1_fEEvT3_20rocsparse_direction_NS_24const_host_device_scalarIT1_EES2_PKS2_PKT2_SB_S8_PKT4_PKT5_S6_PT6_21rocsparse_index_base_b.uses_vcc, 1
	.set _ZN9rocsparseL18bsrxmvn_4x4_kernelILj128ELj32Efll18rocsparse_bfloat16S1_fEEvT3_20rocsparse_direction_NS_24const_host_device_scalarIT1_EES2_PKS2_PKT2_SB_S8_PKT4_PKT5_S6_PT6_21rocsparse_index_base_b.uses_flat_scratch, 0
	.set _ZN9rocsparseL18bsrxmvn_4x4_kernelILj128ELj32Efll18rocsparse_bfloat16S1_fEEvT3_20rocsparse_direction_NS_24const_host_device_scalarIT1_EES2_PKS2_PKT2_SB_S8_PKT4_PKT5_S6_PT6_21rocsparse_index_base_b.has_dyn_sized_stack, 0
	.set _ZN9rocsparseL18bsrxmvn_4x4_kernelILj128ELj32Efll18rocsparse_bfloat16S1_fEEvT3_20rocsparse_direction_NS_24const_host_device_scalarIT1_EES2_PKS2_PKT2_SB_S8_PKT4_PKT5_S6_PT6_21rocsparse_index_base_b.has_recursion, 0
	.set _ZN9rocsparseL18bsrxmvn_4x4_kernelILj128ELj32Efll18rocsparse_bfloat16S1_fEEvT3_20rocsparse_direction_NS_24const_host_device_scalarIT1_EES2_PKS2_PKT2_SB_S8_PKT4_PKT5_S6_PT6_21rocsparse_index_base_b.has_indirect_call, 0
	.section	.AMDGPU.csdata,"",@progbits
; Kernel info:
; codeLenInByte = 4124
; TotalNumSgprs: 30
; NumVgprs: 102
; NumAgprs: 0
; TotalNumVgprs: 102
; ScratchSize: 0
; MemoryBound: 0
; FloatMode: 240
; IeeeMode: 1
; LDSByteSize: 0 bytes/workgroup (compile time only)
; SGPRBlocks: 3
; VGPRBlocks: 12
; NumSGPRsForWavesPerEU: 30
; NumVGPRsForWavesPerEU: 102
; AccumOffset: 104
; Occupancy: 4
; WaveLimiterHint : 1
; COMPUTE_PGM_RSRC2:SCRATCH_EN: 0
; COMPUTE_PGM_RSRC2:USER_SGPR: 2
; COMPUTE_PGM_RSRC2:TRAP_HANDLER: 0
; COMPUTE_PGM_RSRC2:TGID_X_EN: 1
; COMPUTE_PGM_RSRC2:TGID_Y_EN: 0
; COMPUTE_PGM_RSRC2:TGID_Z_EN: 0
; COMPUTE_PGM_RSRC2:TIDIG_COMP_CNT: 0
; COMPUTE_PGM_RSRC3_GFX90A:ACCUM_OFFSET: 25
; COMPUTE_PGM_RSRC3_GFX90A:TG_SPLIT: 0
	.section	.text._ZN9rocsparseL18bsrxmvn_4x4_kernelILj128ELj64Efll18rocsparse_bfloat16S1_fEEvT3_20rocsparse_direction_NS_24const_host_device_scalarIT1_EES2_PKS2_PKT2_SB_S8_PKT4_PKT5_S6_PT6_21rocsparse_index_base_b,"axG",@progbits,_ZN9rocsparseL18bsrxmvn_4x4_kernelILj128ELj64Efll18rocsparse_bfloat16S1_fEEvT3_20rocsparse_direction_NS_24const_host_device_scalarIT1_EES2_PKS2_PKT2_SB_S8_PKT4_PKT5_S6_PT6_21rocsparse_index_base_b,comdat
	.globl	_ZN9rocsparseL18bsrxmvn_4x4_kernelILj128ELj64Efll18rocsparse_bfloat16S1_fEEvT3_20rocsparse_direction_NS_24const_host_device_scalarIT1_EES2_PKS2_PKT2_SB_S8_PKT4_PKT5_S6_PT6_21rocsparse_index_base_b ; -- Begin function _ZN9rocsparseL18bsrxmvn_4x4_kernelILj128ELj64Efll18rocsparse_bfloat16S1_fEEvT3_20rocsparse_direction_NS_24const_host_device_scalarIT1_EES2_PKS2_PKT2_SB_S8_PKT4_PKT5_S6_PT6_21rocsparse_index_base_b
	.p2align	8
	.type	_ZN9rocsparseL18bsrxmvn_4x4_kernelILj128ELj64Efll18rocsparse_bfloat16S1_fEEvT3_20rocsparse_direction_NS_24const_host_device_scalarIT1_EES2_PKS2_PKT2_SB_S8_PKT4_PKT5_S6_PT6_21rocsparse_index_base_b,@function
_ZN9rocsparseL18bsrxmvn_4x4_kernelILj128ELj64Efll18rocsparse_bfloat16S1_fEEvT3_20rocsparse_direction_NS_24const_host_device_scalarIT1_EES2_PKS2_PKT2_SB_S8_PKT4_PKT5_S6_PT6_21rocsparse_index_base_b: ; @_ZN9rocsparseL18bsrxmvn_4x4_kernelILj128ELj64Efll18rocsparse_bfloat16S1_fEEvT3_20rocsparse_direction_NS_24const_host_device_scalarIT1_EES2_PKS2_PKT2_SB_S8_PKT4_PKT5_S6_PT6_21rocsparse_index_base_b
; %bb.0:
	s_load_dwordx2 s[4:5], s[0:1], 0x60
	s_load_dwordx4 s[12:15], s[0:1], 0x10
	s_load_dwordx2 s[16:17], s[0:1], 0x50
	s_waitcnt lgkmcnt(0)
	s_bitcmp1_b32 s5, 0
	s_cselect_b64 s[8:9], -1, 0
	s_xor_b64 s[6:7], s[8:9], -1
	s_and_b64 vcc, exec, s[8:9]
	s_cbranch_vccnz .LBB119_2
; %bb.1:
	s_load_dword s12, s[12:13], 0x0
.LBB119_2:
	s_andn2_b64 vcc, exec, s[6:7]
	s_cbranch_vccnz .LBB119_4
; %bb.3:
	s_load_dword s16, s[16:17], 0x0
.LBB119_4:
	s_waitcnt lgkmcnt(0)
	v_cmp_neq_f32_e64 s[6:7], s12, 0
	v_cmp_neq_f32_e64 s[8:9], s16, 1.0
	s_or_b64 s[6:7], s[6:7], s[8:9]
	s_andn2_b64 vcc, exec, s[6:7]
	s_cbranch_vccnz .LBB119_10
; %bb.5:
	s_load_dwordx2 s[6:7], s[0:1], 0x20
	v_lshrrev_b32_e32 v1, 6, v0
	v_lshl_or_b32 v2, s2, 1, v1
	v_mov_b32_e32 v3, 0
	s_mov_b64 s[2:3], 0
	s_waitcnt lgkmcnt(0)
	s_cmp_lg_u64 s[6:7], 0
	s_cbranch_scc0 .LBB119_11
; %bb.6:
	v_cmp_gt_i64_e32 vcc, s[14:15], v[2:3]
                                        ; implicit-def: $vgpr16_vgpr17
                                        ; implicit-def: $vgpr20_vgpr21
	s_and_saveexec_b64 s[8:9], vcc
	s_xor_b64 s[8:9], exec, s[8:9]
	s_cbranch_execz .LBB119_8
; %bb.7:
	v_lshl_add_u64 v[4:5], v[2:3], 3, s[6:7]
	global_load_dwordx2 v[4:5], v[4:5], off
	s_mov_b32 s5, 0
	s_mov_b64 s[2:3], exec
	v_mov_b64_e32 v[20:21], s[4:5]
	s_waitcnt vmcnt(0)
	v_subrev_co_u32_e32 v16, vcc, s4, v4
	s_nop 1
	v_subbrev_co_u32_e32 v17, vcc, 0, v5, vcc
.LBB119_8:
	s_or_b64 exec, exec, s[8:9]
.LBB119_9:
	s_and_saveexec_b64 s[4:5], s[2:3]
	s_cbranch_execnz .LBB119_15
.LBB119_10:
	s_endpgm
.LBB119_11:
                                        ; implicit-def: $vgpr16_vgpr17
                                        ; implicit-def: $vgpr20_vgpr21
	s_cbranch_execz .LBB119_9
; %bb.12:
	s_load_dwordx2 s[6:7], s[0:1], 0x0
	s_waitcnt lgkmcnt(0)
	v_cmp_gt_i64_e32 vcc, s[6:7], v[2:3]
	s_and_saveexec_b64 s[6:7], vcc
; %bb.13:
	s_mov_b32 s5, 0
	s_or_b64 s[2:3], s[2:3], exec
; %bb.14:
	s_or_b64 exec, exec, s[6:7]
	v_mov_b64_e32 v[20:21], s[4:5]
	v_mov_b64_e32 v[16:17], v[2:3]
	s_and_saveexec_b64 s[4:5], s[2:3]
	s_cbranch_execz .LBB119_10
.LBB119_15:
	s_load_dwordx8 s[4:11], s[0:1], 0x28
	v_lshlrev_b64 v[2:3], 3, v[16:17]
	v_and_b32_e32 v18, 63, v0
	v_mov_b32_e32 v19, 0
	s_waitcnt lgkmcnt(0)
	v_lshl_add_u64 v[6:7], s[4:5], 0, v[2:3]
	s_cmp_eq_u64 s[6:7], 0
	v_lshl_add_u64 v[2:3], s[6:7], 0, v[2:3]
	global_load_dwordx2 v[4:5], v[6:7], off
	v_lshl_add_u64 v[6:7], v[6:7], 0, 8
	s_cselect_b64 vcc, -1, 0
	v_cndmask_b32_e32 v3, v3, v7, vcc
	v_cndmask_b32_e32 v2, v2, v6, vcc
	global_load_dwordx2 v[2:3], v[2:3], off
	s_load_dword s2, s[0:1], 0x8
	s_load_dwordx2 s[4:5], s[0:1], 0x48
	s_waitcnt lgkmcnt(0)
	s_cmp_eq_u32 s2, 1
	s_waitcnt vmcnt(1)
	v_sub_co_u32_e32 v0, vcc, v4, v20
	s_nop 1
	v_subb_co_u32_e32 v1, vcc, v5, v21, vcc
	v_lshl_add_u64 v[22:23], v[0:1], 0, v[18:19]
	s_waitcnt vmcnt(0)
	v_sub_co_u32_e32 v24, vcc, v2, v20
	v_lshlrev_b64 v[0:1], 5, v[22:23]
	s_nop 0
	v_subb_co_u32_e32 v25, vcc, v3, v21, vcc
	v_lshl_add_u64 v[26:27], s[10:11], 0, v[0:1]
	v_cmp_lt_i64_e64 s[2:3], v[22:23], v[24:25]
	s_cbranch_scc1 .LBB119_27
; %bb.16:
	v_mov_b32_e32 v28, v19
	v_mov_b32_e32 v31, v19
	;; [unrolled: 1-line block ×3, first 2 shown]
	s_and_saveexec_b64 s[6:7], s[2:3]
	s_cbranch_execz .LBB119_26
; %bb.17:
	v_or_b32_e32 v0, 64, v18
	v_sub_co_u32_e32 v0, vcc, v0, v20
	v_not_b32_e32 v3, v5
	s_nop 0
	v_subb_co_u32_e32 v1, vcc, 0, v21, vcc
	v_lshl_add_u64 v[0:1], v[0:1], 0, v[4:5]
	v_cmp_gt_i64_e32 vcc, v[0:1], v[24:25]
	v_not_b32_e32 v2, v4
	v_mov_b32_e32 v28, 0
	v_cndmask_b32_e32 v1, v25, v1, vcc
	v_cndmask_b32_e32 v0, v24, v0, vcc
	v_sub_co_u32_e32 v6, vcc, v20, v18
	s_mov_b64 s[10:11], 0xc0
	s_nop 0
	v_subbrev_co_u32_e32 v7, vcc, 0, v21, vcc
	v_lshl_add_u64 v[2:3], v[6:7], 0, v[2:3]
	v_lshl_add_u64 v[0:1], v[2:3], 0, v[0:1]
	v_and_b32_e32 v2, 0xc0, v0
	v_mov_b32_e32 v3, v28
	v_mov_b32_e32 v29, v28
	v_cmp_ne_u64_e32 vcc, s[10:11], v[2:3]
	v_mov_b64_e32 v[30:31], v[28:29]
	v_mov_b64_e32 v[6:7], v[22:23]
	;; [unrolled: 1-line block ×3, first 2 shown]
	s_and_saveexec_b64 s[10:11], vcc
	s_cbranch_execz .LBB119_21
; %bb.18:
	v_lshrrev_b32_e32 v2, 6, v0
	v_add_u32_e32 v2, 1, v2
	v_and_b32_e32 v2, 3, v2
	v_sub_co_u32_e32 v8, vcc, 0, v2
	s_mov_b64 s[14:15], 0
	s_nop 0
	v_subb_co_u32_e64 v9, s[18:19], 0, 0, vcc
	v_lshl_add_u64 v[10:11], v[22:23], 3, s[8:9]
	s_mov_b64 s[18:19], 0x800
	s_mov_b64 s[20:21], 0x200
	v_mov_b64_e32 v[2:3], v[26:27]
	v_mov_b64_e32 v[6:7], v[22:23]
	v_mov_b32_e32 v29, v28
	v_mov_b32_e32 v30, v28
	v_mov_b32_e32 v31, v28
.LBB119_19:                             ; =>This Inner Loop Header: Depth=1
	global_load_dwordx2 v[36:37], v[10:11], off
	global_load_dwordx4 v[12:15], v[2:3], off
	global_load_dwordx4 v[32:35], v[2:3], off offset:16
	v_lshl_add_u64 v[8:9], v[8:9], 0, 1
	v_lshl_add_u64 v[2:3], v[2:3], 0, s[18:19]
	;; [unrolled: 1-line block ×4, first 2 shown]
	s_waitcnt vmcnt(2)
	v_sub_co_u32_e32 v36, vcc, v36, v20
	s_nop 1
	v_subb_co_u32_e32 v37, vcc, v37, v21, vcc
	v_lshl_add_u64 v[36:37], v[36:37], 3, s[4:5]
	global_load_dwordx2 v[36:37], v[36:37], off
	s_waitcnt vmcnt(2)
	v_lshlrev_b32_e32 v39, 16, v14
	v_lshlrev_b32_e32 v38, 16, v12
	v_and_b32_e32 v41, 0xffff0000, v14
	v_and_b32_e32 v40, 0xffff0000, v12
	v_lshlrev_b32_e32 v42, 16, v13
	v_and_b32_e32 v14, 0xffff0000, v13
	s_waitcnt vmcnt(1)
	v_lshlrev_b32_e32 v13, 16, v34
	v_lshlrev_b32_e32 v12, 16, v32
	v_and_b32_e32 v44, 0xffff0000, v32
	v_and_b32_e32 v45, 0xffff0000, v34
	v_lshlrev_b32_e32 v43, 16, v15
	v_lshlrev_b32_e32 v47, 16, v35
	;; [unrolled: 1-line block ×3, first 2 shown]
	v_cmp_eq_u64_e32 vcc, 0, v[8:9]
	v_and_b32_e32 v15, 0xffff0000, v15
	v_and_b32_e32 v35, 0xffff0000, v35
	;; [unrolled: 1-line block ×3, first 2 shown]
	s_or_b64 s[14:15], vcc, s[14:15]
	s_waitcnt vmcnt(0)
	v_lshlrev_b32_e32 v32, 16, v36
	v_and_b32_e32 v36, 0xffff0000, v36
	v_pk_fma_f32 v[30:31], v[38:39], v[32:33], v[30:31] op_sel_hi:[1,0,1]
	v_pk_fma_f32 v[12:13], v[12:13], v[32:33], v[28:29] op_sel_hi:[1,0,1]
	v_lshlrev_b32_e32 v48, 16, v37
	v_pk_fma_f32 v[28:29], v[40:41], v[36:37], v[30:31] op_sel_hi:[1,0,1]
	v_pk_fma_f32 v[12:13], v[44:45], v[36:37], v[12:13] op_sel_hi:[1,0,1]
	v_and_b32_e32 v50, 0xffff0000, v37
	v_pk_fma_f32 v[28:29], v[42:43], v[48:49], v[28:29] op_sel_hi:[1,0,1]
	v_pk_fma_f32 v[12:13], v[46:47], v[48:49], v[12:13] op_sel_hi:[1,0,1]
	;; [unrolled: 1-line block ×4, first 2 shown]
	s_andn2_b64 exec, exec, s[14:15]
	s_cbranch_execnz .LBB119_19
; %bb.20:
	s_or_b64 exec, exec, s[14:15]
.LBB119_21:
	s_or_b64 exec, exec, s[10:11]
	s_mov_b64 s[10:11], 0xbf
	v_cmp_lt_u64_e32 vcc, s[10:11], v[0:1]
	s_and_saveexec_b64 s[10:11], vcc
	s_cbranch_execz .LBB119_25
; %bb.22:
	s_mov_b64 s[14:15], 0x1000
	v_lshl_add_u64 v[8:9], v[2:3], 0, s[14:15]
	v_lshl_add_u64 v[0:1], v[6:7], 3, s[8:9]
	s_mov_b64 s[14:15], 0x400
	v_lshl_add_u64 v[10:11], v[0:1], 0, s[14:15]
	s_mov_b64 s[14:15], 0
	s_mov_b64 s[18:19], 0x100
	;; [unrolled: 1-line block ×4, first 2 shown]
.LBB119_23:                             ; =>This Inner Loop Header: Depth=1
	global_load_dwordx2 v[56:57], v[10:11], off offset:-1024
	global_load_dwordx4 v[12:15], v[8:9], off offset:-4096
	global_load_dwordx4 v[32:35], v[8:9], off offset:-4080
	global_load_dwordx2 v[58:59], v[10:11], off offset:-512
	global_load_dwordx4 v[36:39], v[8:9], off offset:-2048
	global_load_dwordx4 v[0:3], v[8:9], off offset:-2032
	global_load_dwordx2 v[60:61], v[10:11], off
	global_load_dwordx2 v[62:63], v[10:11], off offset:512
	global_load_dwordx4 v[40:43], v[8:9], off offset:2048
	global_load_dwordx4 v[44:47], v[8:9], off
	global_load_dwordx4 v[48:51], v[8:9], off offset:2064
	global_load_dwordx4 v[52:55], v[8:9], off offset:16
	v_lshl_add_u64 v[6:7], v[6:7], 0, s[18:19]
	v_cmp_ge_i64_e32 vcc, v[6:7], v[24:25]
	s_or_b64 s[14:15], vcc, s[14:15]
	v_lshl_add_u64 v[8:9], v[8:9], 0, s[20:21]
	v_lshl_add_u64 v[10:11], v[10:11], 0, s[22:23]
	s_waitcnt vmcnt(11)
	v_sub_co_u32_e32 v56, vcc, v56, v20
	s_nop 1
	v_subb_co_u32_e32 v57, vcc, v57, v21, vcc
	s_waitcnt vmcnt(10)
	v_lshlrev_b32_e32 v64, 16, v12
	v_and_b32_e32 v66, 0xffff0000, v12
	s_waitcnt vmcnt(9)
	v_lshlrev_b32_e32 v12, 16, v32
	v_and_b32_e32 v70, 0xffff0000, v32
	s_waitcnt vmcnt(8)
	v_sub_co_u32_e32 v32, vcc, v58, v20
	v_lshlrev_b32_e32 v65, 16, v14
	v_and_b32_e32 v67, 0xffff0000, v14
	v_lshlrev_b32_e32 v68, 16, v13
	v_and_b32_e32 v14, 0xffff0000, v13
	;; [unrolled: 2-line block ×4, first 2 shown]
	v_subb_co_u32_e32 v33, vcc, v59, v21, vcc
	s_waitcnt vmcnt(5)
	v_sub_co_u32_e32 v60, vcc, v60, v20
	v_lshl_add_u64 v[56:57], v[56:57], 3, s[4:5]
	s_nop 0
	v_subb_co_u32_e32 v61, vcc, v61, v21, vcc
	s_waitcnt vmcnt(4)
	v_sub_co_u32_e32 v62, vcc, v62, v20
	v_lshl_add_u64 v[32:33], v[32:33], 3, s[4:5]
	s_nop 0
	v_subb_co_u32_e32 v63, vcc, v63, v21, vcc
	v_lshl_add_u64 v[60:61], v[60:61], 3, s[4:5]
	v_lshl_add_u64 v[62:63], v[62:63], 3, s[4:5]
	global_load_dwordx2 v[82:83], v[56:57], off
	global_load_dwordx2 v[84:85], v[32:33], off
	;; [unrolled: 1-line block ×4, first 2 shown]
	v_lshlrev_b32_e32 v59, 16, v38
	v_lshlrev_b32_e32 v74, 16, v0
	v_and_b32_e32 v79, 0xffff0000, v38
	v_lshlrev_b32_e32 v80, 16, v37
	v_and_b32_e32 v38, 0xffff0000, v37
	s_waitcnt vmcnt(6)
	v_lshlrev_b32_e32 v37, 16, v46
	v_and_b32_e32 v33, 0xffff0000, v46
	v_lshlrev_b32_e32 v56, 16, v45
	v_and_b32_e32 v46, 0xffff0000, v45
	;; [unrolled: 2-line block ×3, first 2 shown]
	v_and_b32_e32 v42, 0xffff0000, v0
	s_waitcnt vmcnt(4)
	v_lshlrev_b32_e32 v0, 16, v52
	v_and_b32_e32 v92, 0xffff0000, v52
	v_lshlrev_b32_e32 v52, 16, v48
	v_and_b32_e32 v96, 0xffff0000, v48
	v_lshlrev_b32_e32 v75, 16, v2
	v_lshlrev_b32_e32 v63, 16, v43
	v_and_b32_e32 v77, 0xffff0000, v43
	v_and_b32_e32 v43, 0xffff0000, v2
	v_lshlrev_b32_e32 v90, 16, v1
	v_and_b32_e32 v2, 0xffff0000, v1
	v_lshlrev_b32_e32 v1, 16, v54
	;; [unrolled: 2-line block ×5, first 2 shown]
	v_lshlrev_b32_e32 v73, 16, v35
	v_and_b32_e32 v15, 0xffff0000, v15
	v_and_b32_e32 v35, 0xffff0000, v35
	v_lshlrev_b32_e32 v58, 16, v36
	v_and_b32_e32 v78, 0xffff0000, v36
	v_lshlrev_b32_e32 v81, 16, v39
	v_lshlrev_b32_e32 v91, 16, v3
	v_and_b32_e32 v39, 0xffff0000, v39
	v_and_b32_e32 v3, 0xffff0000, v3
	v_lshlrev_b32_e32 v36, 16, v44
	v_and_b32_e32 v32, 0xffff0000, v44
	v_lshlrev_b32_e32 v57, 16, v47
	;; [unrolled: 6-line block ×3, first 2 shown]
	v_lshlrev_b32_e32 v99, 16, v51
	v_lshlrev_b32_e32 v98, 16, v49
	v_and_b32_e32 v76, 0xffff0000, v41
	v_and_b32_e32 v40, 0xffff0000, v49
	v_and_b32_e32 v41, 0xffff0000, v51
	s_waitcnt vmcnt(3)
	v_lshlrev_b32_e32 v48, 16, v82
	v_and_b32_e32 v50, 0xffff0000, v82
	v_pk_fma_f32 v[30:31], v[64:65], v[48:49], v[30:31] op_sel_hi:[1,0,1]
	v_pk_fma_f32 v[12:13], v[12:13], v[48:49], v[28:29] op_sel_hi:[1,0,1]
	v_lshlrev_b32_e32 v82, 16, v83
	v_pk_fma_f32 v[30:31], v[66:67], v[50:51], v[30:31] op_sel_hi:[1,0,1]
	v_pk_fma_f32 v[12:13], v[70:71], v[50:51], v[12:13] op_sel_hi:[1,0,1]
	v_and_b32_e32 v100, 0xffff0000, v83
	v_pk_fma_f32 v[30:31], v[68:69], v[82:83], v[30:31] op_sel_hi:[1,0,1]
	v_pk_fma_f32 v[12:13], v[72:73], v[82:83], v[12:13] op_sel_hi:[1,0,1]
	s_waitcnt vmcnt(2)
	v_lshlrev_b32_e32 v64, 16, v84
	v_pk_fma_f32 v[14:15], v[14:15], v[100:101], v[30:31] op_sel_hi:[1,0,1]
	v_pk_fma_f32 v[12:13], v[34:35], v[100:101], v[12:13] op_sel_hi:[1,0,1]
	v_and_b32_e32 v28, 0xffff0000, v84
	v_pk_fma_f32 v[14:15], v[58:59], v[64:65], v[14:15] op_sel_hi:[1,0,1]
	v_pk_fma_f32 v[12:13], v[74:75], v[64:65], v[12:13] op_sel_hi:[1,0,1]
	v_lshlrev_b32_e32 v48, 16, v85
	v_pk_fma_f32 v[14:15], v[78:79], v[28:29], v[14:15] op_sel_hi:[1,0,1]
	v_pk_fma_f32 v[12:13], v[42:43], v[28:29], v[12:13] op_sel_hi:[1,0,1]
	v_and_b32_e32 v84, 0xffff0000, v85
	v_pk_fma_f32 v[14:15], v[80:81], v[48:49], v[14:15] op_sel_hi:[1,0,1]
	v_pk_fma_f32 v[12:13], v[90:91], v[48:49], v[12:13] op_sel_hi:[1,0,1]
	s_waitcnt vmcnt(1)
	v_lshlrev_b32_e32 v66, 16, v86
	v_pk_fma_f32 v[14:15], v[38:39], v[84:85], v[14:15] op_sel_hi:[1,0,1]
	v_pk_fma_f32 v[2:3], v[2:3], v[84:85], v[12:13] op_sel_hi:[1,0,1]
	;; [unrolled: 13-line block ×3, first 2 shown]
	v_and_b32_e32 v72, 0xffff0000, v88
	v_pk_fma_f32 v[2:3], v[44:45], v[68:69], v[2:3] op_sel_hi:[1,0,1]
	v_pk_fma_f32 v[0:1], v[52:53], v[68:69], v[0:1] op_sel_hi:[1,0,1]
	v_lshlrev_b32_e32 v82, 16, v89
	v_pk_fma_f32 v[2:3], v[60:61], v[72:73], v[2:3] op_sel_hi:[1,0,1]
	v_pk_fma_f32 v[0:1], v[96:97], v[72:73], v[0:1] op_sel_hi:[1,0,1]
	v_and_b32_e32 v88, 0xffff0000, v89
	v_pk_fma_f32 v[2:3], v[62:63], v[82:83], v[2:3] op_sel_hi:[1,0,1]
	v_pk_fma_f32 v[0:1], v[98:99], v[82:83], v[0:1] op_sel_hi:[1,0,1]
	;; [unrolled: 1-line block ×4, first 2 shown]
	s_andn2_b64 exec, exec, s[14:15]
	s_cbranch_execnz .LBB119_23
; %bb.24:
	s_or_b64 exec, exec, s[14:15]
.LBB119_25:
	s_or_b64 exec, exec, s[10:11]
	v_mov_b32_e32 v19, v29
.LBB119_26:
	s_or_b64 exec, exec, s[6:7]
	v_mov_b32_e32 v29, v19
	s_cbranch_execz .LBB119_28
	s_branch .LBB119_39
.LBB119_27:
                                        ; implicit-def: $vgpr29
                                        ; implicit-def: $vgpr31
.LBB119_28:
	v_mov_b32_e32 v29, 0
	v_mov_b32_e32 v28, 0
	;; [unrolled: 1-line block ×4, first 2 shown]
	s_and_saveexec_b64 s[6:7], s[2:3]
	s_cbranch_execz .LBB119_38
; %bb.29:
	v_or_b32_e32 v0, 64, v18
	v_sub_co_u32_e32 v0, vcc, v0, v20
	v_not_b32_e32 v2, v4
	s_nop 0
	v_subb_co_u32_e32 v1, vcc, 0, v21, vcc
	v_lshl_add_u64 v[0:1], v[0:1], 0, v[4:5]
	v_cmp_gt_i64_e32 vcc, v[0:1], v[24:25]
	v_not_b32_e32 v3, v5
	v_mov_b32_e32 v28, 0
	v_cndmask_b32_e32 v1, v25, v1, vcc
	v_cndmask_b32_e32 v0, v24, v0, vcc
	v_sub_co_u32_e32 v4, vcc, v20, v18
	s_mov_b64 s[2:3], 0xc0
	s_nop 0
	v_subbrev_co_u32_e32 v5, vcc, 0, v21, vcc
	v_lshl_add_u64 v[2:3], v[4:5], 0, v[2:3]
	v_lshl_add_u64 v[0:1], v[2:3], 0, v[0:1]
	v_and_b32_e32 v2, 0xc0, v0
	v_mov_b32_e32 v3, v28
	v_mov_b32_e32 v29, v28
	v_cmp_ne_u64_e32 vcc, s[2:3], v[2:3]
	v_mov_b64_e32 v[30:31], v[28:29]
	s_and_saveexec_b64 s[2:3], vcc
	s_cbranch_execz .LBB119_33
; %bb.30:
	v_lshrrev_b32_e32 v2, 6, v0
	v_add_u32_e32 v2, 1, v2
	v_and_b32_e32 v4, 3, v2
	v_sub_co_u32_e32 v4, vcc, 0, v4
	v_lshl_add_u64 v[2:3], v[22:23], 3, s[8:9]
	s_nop 0
	v_subb_co_u32_e64 v5, s[14:15], 0, 0, vcc
	s_mov_b64 s[10:11], 0
	s_mov_b64 s[14:15], 0x800
	s_mov_b64 s[18:19], 0x200
	v_mov_b32_e32 v29, v28
	v_mov_b32_e32 v30, v28
	;; [unrolled: 1-line block ×3, first 2 shown]
.LBB119_31:                             ; =>This Inner Loop Header: Depth=1
	global_load_dwordx2 v[10:11], v[2:3], off
	global_load_dwordx4 v[6:9], v[26:27], off
	v_lshl_add_u64 v[4:5], v[4:5], 0, 1
	v_lshl_add_u64 v[22:23], v[22:23], 0, 64
	;; [unrolled: 1-line block ×3, first 2 shown]
	s_waitcnt vmcnt(1)
	v_sub_co_u32_e32 v10, vcc, v10, v20
	s_nop 1
	v_subb_co_u32_e32 v11, vcc, v11, v21, vcc
	v_lshl_add_u64 v[14:15], v[10:11], 3, s[4:5]
	global_load_dwordx2 v[32:33], v[14:15], off
	global_load_dwordx4 v[10:13], v[26:27], off offset:16
	s_waitcnt vmcnt(2)
	v_and_b32_e32 v15, 0xffff0000, v6
	v_lshlrev_b32_e32 v14, 16, v6
	v_and_b32_e32 v35, 0xffff0000, v8
	v_lshlrev_b32_e32 v34, 16, v8
	v_and_b32_e32 v39, 0xffff0000, v7
	v_lshlrev_b32_e32 v38, 16, v7
	v_and_b32_e32 v7, 0xffff0000, v9
	v_lshlrev_b32_e32 v6, 16, v9
	v_cmp_eq_u64_e32 vcc, 0, v[4:5]
	v_lshl_add_u64 v[26:27], v[26:27], 0, s[14:15]
	s_or_b64 s[10:11], vcc, s[10:11]
	s_waitcnt vmcnt(1)
	v_lshlrev_b32_e32 v42, 16, v33
	s_waitcnt vmcnt(0)
	v_and_b32_e32 v37, 0xffff0000, v10
	v_lshlrev_b32_e32 v36, 16, v10
	v_and_b32_e32 v9, 0xffff0000, v11
	v_lshlrev_b32_e32 v8, 16, v11
	;; [unrolled: 2-line block ×3, first 2 shown]
	v_lshlrev_b32_e32 v12, 16, v32
	v_and_b32_e32 v41, 0xffff0000, v13
	v_lshlrev_b32_e32 v40, 16, v13
	v_and_b32_e32 v32, 0xffff0000, v32
	v_pk_fma_f32 v[14:15], v[14:15], v[12:13], v[30:31] op_sel_hi:[1,0,1]
	v_pk_fma_f32 v[12:13], v[38:39], v[12:13], v[28:29] op_sel_hi:[1,0,1]
	;; [unrolled: 1-line block ×4, first 2 shown]
	v_and_b32_e32 v44, 0xffff0000, v33
	v_pk_fma_f32 v[12:13], v[36:37], v[42:43], v[14:15] op_sel_hi:[1,0,1]
	v_pk_fma_f32 v[6:7], v[8:9], v[42:43], v[6:7] op_sel_hi:[1,0,1]
	v_pk_fma_f32 v[30:31], v[10:11], v[44:45], v[12:13] op_sel_hi:[1,0,1]
	v_pk_fma_f32 v[28:29], v[40:41], v[44:45], v[6:7] op_sel_hi:[1,0,1]
	s_andn2_b64 exec, exec, s[10:11]
	s_cbranch_execnz .LBB119_31
; %bb.32:
	s_or_b64 exec, exec, s[10:11]
.LBB119_33:
	s_or_b64 exec, exec, s[2:3]
	s_mov_b64 s[2:3], 0xbf
	v_cmp_lt_u64_e32 vcc, s[2:3], v[0:1]
	s_and_saveexec_b64 s[2:3], vcc
	s_cbranch_execz .LBB119_37
; %bb.34:
	v_lshl_add_u64 v[0:1], v[22:23], 3, s[8:9]
	s_mov_b64 s[8:9], 0x400
	v_lshl_add_u64 v[32:33], v[0:1], 0, s[8:9]
	s_mov_b64 s[8:9], 0
	s_mov_b64 s[10:11], 0x1000
	s_movk_i32 s13, 0x1000
	s_mov_b64 s[14:15], 0x100
	s_mov_b64 s[18:19], 0x800
	;; [unrolled: 1-line block ×3, first 2 shown]
.LBB119_35:                             ; =>This Inner Loop Header: Depth=1
	global_load_dwordx4 v[0:3], v[26:27], off
	global_load_dwordx4 v[4:7], v[26:27], off offset:16
	global_load_dwordx4 v[8:11], v[26:27], off offset:2048
	;; [unrolled: 1-line block ×3, first 2 shown]
	global_load_dwordx2 v[50:51], v[32:33], off offset:-1024
	global_load_dwordx2 v[52:53], v[32:33], off offset:-512
	global_load_dwordx2 v[54:55], v[32:33], off
	global_load_dwordx2 v[56:57], v[32:33], off offset:512
	v_add_co_u32_e32 v60, vcc, s13, v26
	v_lshl_add_u64 v[22:23], v[22:23], 0, s[14:15]
	s_nop 0
	v_addc_co_u32_e32 v61, vcc, 0, v27, vcc
	v_lshl_add_u64 v[58:59], v[26:27], 0, s[10:11]
	v_cmp_ge_i64_e32 vcc, v[22:23], v[24:25]
	global_load_dwordx4 v[34:37], v[60:61], off
	global_load_dwordx4 v[38:41], v[58:59], off offset:2064
	global_load_dwordx4 v[42:45], v[58:59], off offset:16
	;; [unrolled: 1-line block ×3, first 2 shown]
	s_or_b64 s[8:9], vcc, s[8:9]
	v_lshl_add_u64 v[32:33], v[32:33], 0, s[18:19]
	v_lshl_add_u64 v[26:27], v[26:27], 0, s[20:21]
	s_waitcnt vmcnt(11)
	v_and_b32_e32 v59, 0xffff0000, v0
	v_lshlrev_b32_e32 v58, 16, v0
	v_and_b32_e32 v61, 0xffff0000, v2
	v_lshlrev_b32_e32 v60, 16, v2
	s_waitcnt vmcnt(10)
	v_and_b32_e32 v63, 0xffff0000, v4
	v_lshlrev_b32_e32 v62, 16, v4
	v_and_b32_e32 v65, 0xffff0000, v1
	v_lshlrev_b32_e32 v64, 16, v1
	;; [unrolled: 2-line block ×6, first 2 shown]
	s_waitcnt vmcnt(9)
	v_and_b32_e32 v7, 0xffff0000, v8
	v_lshlrev_b32_e32 v6, 16, v8
	v_and_b32_e32 v69, 0xffff0000, v9
	v_lshlrev_b32_e32 v68, 16, v9
	v_and_b32_e32 v9, 0xffff0000, v10
	v_lshlrev_b32_e32 v8, 16, v10
	s_waitcnt vmcnt(7)
	v_sub_co_u32_e32 v10, vcc, v50, v20
	v_and_b32_e32 v75, 0xffff0000, v11
	v_lshlrev_b32_e32 v74, 16, v11
	v_subb_co_u32_e32 v11, vcc, v51, v21, vcc
	s_waitcnt vmcnt(6)
	v_sub_co_u32_e32 v50, vcc, v52, v20
	v_lshl_add_u64 v[10:11], v[10:11], 3, s[4:5]
	s_nop 0
	v_subb_co_u32_e32 v51, vcc, v53, v21, vcc
	s_waitcnt vmcnt(5)
	v_sub_co_u32_e32 v52, vcc, v54, v20
	v_lshl_add_u64 v[50:51], v[50:51], 3, s[4:5]
	s_nop 0
	;; [unrolled: 5-line block ×3, first 2 shown]
	v_subb_co_u32_e32 v55, vcc, v57, v21, vcc
	v_lshl_add_u64 v[54:55], v[54:55], 3, s[4:5]
	global_load_dwordx2 v[56:57], v[10:11], off
	global_load_dwordx2 v[76:77], v[50:51], off
	;; [unrolled: 1-line block ×4, first 2 shown]
	v_and_b32_e32 v71, 0xffff0000, v12
	v_lshlrev_b32_e32 v70, 16, v12
	v_and_b32_e32 v73, 0xffff0000, v14
	v_lshlrev_b32_e32 v72, 16, v14
	v_and_b32_e32 v11, 0xffff0000, v13
	v_lshlrev_b32_e32 v10, 16, v13
	v_and_b32_e32 v13, 0xffff0000, v15
	v_lshlrev_b32_e32 v12, 16, v15
	s_waitcnt vmcnt(7)
	v_and_b32_e32 v15, 0xffff0000, v34
	v_lshlrev_b32_e32 v14, 16, v34
	v_and_b32_e32 v51, 0xffff0000, v36
	v_lshlrev_b32_e32 v50, 16, v36
	v_and_b32_e32 v53, 0xffff0000, v35
	v_lshlrev_b32_e32 v52, 16, v35
	v_and_b32_e32 v35, 0xffff0000, v37
	v_lshlrev_b32_e32 v34, 16, v37
	s_waitcnt vmcnt(5)
	;; [unrolled: 9-line block ×3, first 2 shown]
	v_and_b32_e32 v45, 0xffff0000, v46
	v_lshlrev_b32_e32 v44, 16, v46
	v_and_b32_e32 v85, 0xffff0000, v48
	v_lshlrev_b32_e32 v84, 16, v48
	;; [unrolled: 2-line block ×8, first 2 shown]
	s_waitcnt vmcnt(3)
	v_lshlrev_b32_e32 v40, 16, v56
	v_and_b32_e32 v56, 0xffff0000, v56
	v_pk_fma_f32 v[30:31], v[58:59], v[40:41], v[30:31] op_sel_hi:[1,0,1]
	v_pk_fma_f32 v[28:29], v[64:65], v[40:41], v[28:29] op_sel_hi:[1,0,1]
	v_lshlrev_b32_e32 v92, 16, v57
	v_pk_fma_f32 v[30:31], v[60:61], v[56:57], v[30:31] op_sel_hi:[1,0,1]
	v_pk_fma_f32 v[0:1], v[0:1], v[56:57], v[28:29] op_sel_hi:[1,0,1]
	v_and_b32_e32 v94, 0xffff0000, v57
	v_pk_fma_f32 v[30:31], v[62:63], v[92:93], v[30:31] op_sel_hi:[1,0,1]
	v_pk_fma_f32 v[0:1], v[2:3], v[92:93], v[0:1] op_sel_hi:[1,0,1]
	s_waitcnt vmcnt(2)
	v_lshlrev_b32_e32 v58, 16, v76
	v_pk_fma_f32 v[4:5], v[4:5], v[94:95], v[30:31] op_sel_hi:[1,0,1]
	v_pk_fma_f32 v[0:1], v[66:67], v[94:95], v[0:1] op_sel_hi:[1,0,1]
	v_and_b32_e32 v40, 0xffff0000, v76
	v_pk_fma_f32 v[4:5], v[6:7], v[58:59], v[4:5] op_sel_hi:[1,0,1]
	v_pk_fma_f32 v[0:1], v[68:69], v[58:59], v[0:1] op_sel_hi:[1,0,1]
	v_lshlrev_b32_e32 v64, 16, v77
	v_pk_fma_f32 v[4:5], v[8:9], v[40:41], v[4:5] op_sel_hi:[1,0,1]
	v_pk_fma_f32 v[0:1], v[74:75], v[40:41], v[0:1] op_sel_hi:[1,0,1]
	v_and_b32_e32 v76, 0xffff0000, v77
	v_pk_fma_f32 v[4:5], v[70:71], v[64:65], v[4:5] op_sel_hi:[1,0,1]
	v_pk_fma_f32 v[0:1], v[10:11], v[64:65], v[0:1] op_sel_hi:[1,0,1]
	s_waitcnt vmcnt(1)
	v_lshlrev_b32_e32 v60, 16, v78
	v_pk_fma_f32 v[4:5], v[72:73], v[76:77], v[4:5] op_sel_hi:[1,0,1]
	v_pk_fma_f32 v[0:1], v[12:13], v[76:77], v[0:1] op_sel_hi:[1,0,1]
	;; [unrolled: 13-line block ×3, first 2 shown]
	v_and_b32_e32 v2, 0xffff0000, v80
	v_pk_fma_f32 v[4:5], v[44:45], v[62:63], v[4:5] op_sel_hi:[1,0,1]
	v_pk_fma_f32 v[0:1], v[86:87], v[62:63], v[0:1] op_sel_hi:[1,0,1]
	v_lshlrev_b32_e32 v80, 16, v81
	v_pk_fma_f32 v[4:5], v[84:85], v[2:3], v[4:5] op_sel_hi:[1,0,1]
	v_pk_fma_f32 v[0:1], v[46:47], v[2:3], v[0:1] op_sel_hi:[1,0,1]
	v_and_b32_e32 v92, 0xffff0000, v81
	v_pk_fma_f32 v[2:3], v[48:49], v[80:81], v[4:5] op_sel_hi:[1,0,1]
	v_pk_fma_f32 v[0:1], v[88:89], v[80:81], v[0:1] op_sel_hi:[1,0,1]
	v_pk_fma_f32 v[30:31], v[38:39], v[92:93], v[2:3] op_sel_hi:[1,0,1]
	v_pk_fma_f32 v[28:29], v[90:91], v[92:93], v[0:1] op_sel_hi:[1,0,1]
	s_andn2_b64 exec, exec, s[8:9]
	s_cbranch_execnz .LBB119_35
; %bb.36:
	s_or_b64 exec, exec, s[8:9]
.LBB119_37:
	s_or_b64 exec, exec, s[2:3]
.LBB119_38:
	s_or_b64 exec, exec, s[6:7]
.LBB119_39:
	v_mov_b32_dpp v0, v30 row_shr:1 row_mask:0xf bank_mask:0xf
	v_mov_b32_dpp v1, v31 row_shr:1 row_mask:0xf bank_mask:0xf
	;; [unrolled: 1-line block ×4, first 2 shown]
	v_pk_add_f32 v[0:1], v[30:31], v[0:1]
	v_pk_add_f32 v[4:5], v[28:29], v[4:5]
	v_cmp_eq_u32_e32 vcc, 63, v18
	v_mov_b32_dpp v2, v0 row_shr:2 row_mask:0xf bank_mask:0xf
	v_mov_b32_dpp v3, v1 row_shr:2 row_mask:0xf bank_mask:0xf
	v_mov_b32_dpp v6, v4 row_shr:2 row_mask:0xf bank_mask:0xf
	v_mov_b32_dpp v7, v5 row_shr:2 row_mask:0xf bank_mask:0xf
	v_pk_add_f32 v[0:1], v[0:1], v[2:3]
	v_pk_add_f32 v[4:5], v[4:5], v[6:7]
	s_nop 0
	v_mov_b32_dpp v2, v0 row_shr:4 row_mask:0xf bank_mask:0xe
	v_mov_b32_dpp v3, v1 row_shr:4 row_mask:0xf bank_mask:0xe
	v_mov_b32_dpp v6, v4 row_shr:4 row_mask:0xf bank_mask:0xe
	v_mov_b32_dpp v7, v5 row_shr:4 row_mask:0xf bank_mask:0xe
	v_pk_add_f32 v[0:1], v[0:1], v[2:3]
	v_pk_add_f32 v[4:5], v[4:5], v[6:7]
	s_nop 0
	v_mov_b32_dpp v2, v0 row_shr:8 row_mask:0xf bank_mask:0xc
	v_mov_b32_dpp v3, v1 row_shr:8 row_mask:0xf bank_mask:0xc
	v_mov_b32_dpp v6, v4 row_shr:8 row_mask:0xf bank_mask:0xc
	v_mov_b32_dpp v7, v5 row_shr:8 row_mask:0xf bank_mask:0xc
	v_pk_add_f32 v[0:1], v[0:1], v[2:3]
	v_pk_add_f32 v[4:5], v[4:5], v[6:7]
	s_nop 0
	v_mov_b32_dpp v2, v0 row_bcast:15 row_mask:0xa bank_mask:0xf
	v_mov_b32_dpp v3, v1 row_bcast:15 row_mask:0xa bank_mask:0xf
	;; [unrolled: 1-line block ×4, first 2 shown]
	v_pk_add_f32 v[0:1], v[0:1], v[2:3]
	v_pk_add_f32 v[6:7], v[4:5], v[6:7]
	s_nop 0
	v_mov_b32_dpp v2, v0 row_bcast:31 row_mask:0xc bank_mask:0xf
	v_mov_b32_dpp v3, v1 row_bcast:31 row_mask:0xc bank_mask:0xf
	;; [unrolled: 1-line block ×4, first 2 shown]
	s_and_b64 exec, exec, vcc
	s_cbranch_execz .LBB119_10
; %bb.40:
	s_load_dwordx2 s[0:1], s[0:1], 0x58
	v_cmp_eq_f32_e64 s[2:3], s16, 0
	v_pk_add_f32 v[4:5], v[0:1], v[2:3]
	v_pk_add_f32 v[2:3], v[6:7], v[8:9]
	s_and_b64 vcc, exec, s[2:3]
	s_waitcnt lgkmcnt(0)
	v_lshl_add_u64 v[0:1], v[16:17], 4, s[0:1]
	s_cbranch_vccz .LBB119_42
; %bb.41:
	v_pk_mul_f32 v[6:7], s[12:13], v[4:5] op_sel_hi:[0,1]
	v_pk_mul_f32 v[8:9], s[12:13], v[2:3] op_sel_hi:[0,1]
	global_store_dwordx4 v[0:1], v[6:9], off
	s_cbranch_execnz .LBB119_10
	s_branch .LBB119_43
.LBB119_42:
.LBB119_43:
	global_load_dwordx4 v[6:9], v[0:1], off
	v_pk_mul_f32 v[4:5], s[12:13], v[4:5] op_sel_hi:[0,1]
	v_pk_mul_f32 v[10:11], s[12:13], v[2:3] op_sel_hi:[0,1]
	s_waitcnt vmcnt(0)
	v_pk_fma_f32 v[2:3], s[16:17], v[6:7], v[4:5] op_sel_hi:[0,1,1]
	v_pk_fma_f32 v[4:5], s[16:17], v[8:9], v[10:11] op_sel_hi:[0,1,1]
	global_store_dwordx4 v[0:1], v[2:5], off
	s_endpgm
	.section	.rodata,"a",@progbits
	.p2align	6, 0x0
	.amdhsa_kernel _ZN9rocsparseL18bsrxmvn_4x4_kernelILj128ELj64Efll18rocsparse_bfloat16S1_fEEvT3_20rocsparse_direction_NS_24const_host_device_scalarIT1_EES2_PKS2_PKT2_SB_S8_PKT4_PKT5_S6_PT6_21rocsparse_index_base_b
		.amdhsa_group_segment_fixed_size 0
		.amdhsa_private_segment_fixed_size 0
		.amdhsa_kernarg_size 104
		.amdhsa_user_sgpr_count 2
		.amdhsa_user_sgpr_dispatch_ptr 0
		.amdhsa_user_sgpr_queue_ptr 0
		.amdhsa_user_sgpr_kernarg_segment_ptr 1
		.amdhsa_user_sgpr_dispatch_id 0
		.amdhsa_user_sgpr_kernarg_preload_length 0
		.amdhsa_user_sgpr_kernarg_preload_offset 0
		.amdhsa_user_sgpr_private_segment_size 0
		.amdhsa_uses_dynamic_stack 0
		.amdhsa_enable_private_segment 0
		.amdhsa_system_sgpr_workgroup_id_x 1
		.amdhsa_system_sgpr_workgroup_id_y 0
		.amdhsa_system_sgpr_workgroup_id_z 0
		.amdhsa_system_sgpr_workgroup_info 0
		.amdhsa_system_vgpr_workitem_id 0
		.amdhsa_next_free_vgpr 102
		.amdhsa_next_free_sgpr 24
		.amdhsa_accum_offset 104
		.amdhsa_reserve_vcc 1
		.amdhsa_float_round_mode_32 0
		.amdhsa_float_round_mode_16_64 0
		.amdhsa_float_denorm_mode_32 3
		.amdhsa_float_denorm_mode_16_64 3
		.amdhsa_dx10_clamp 1
		.amdhsa_ieee_mode 1
		.amdhsa_fp16_overflow 0
		.amdhsa_tg_split 0
		.amdhsa_exception_fp_ieee_invalid_op 0
		.amdhsa_exception_fp_denorm_src 0
		.amdhsa_exception_fp_ieee_div_zero 0
		.amdhsa_exception_fp_ieee_overflow 0
		.amdhsa_exception_fp_ieee_underflow 0
		.amdhsa_exception_fp_ieee_inexact 0
		.amdhsa_exception_int_div_zero 0
	.end_amdhsa_kernel
	.section	.text._ZN9rocsparseL18bsrxmvn_4x4_kernelILj128ELj64Efll18rocsparse_bfloat16S1_fEEvT3_20rocsparse_direction_NS_24const_host_device_scalarIT1_EES2_PKS2_PKT2_SB_S8_PKT4_PKT5_S6_PT6_21rocsparse_index_base_b,"axG",@progbits,_ZN9rocsparseL18bsrxmvn_4x4_kernelILj128ELj64Efll18rocsparse_bfloat16S1_fEEvT3_20rocsparse_direction_NS_24const_host_device_scalarIT1_EES2_PKS2_PKT2_SB_S8_PKT4_PKT5_S6_PT6_21rocsparse_index_base_b,comdat
.Lfunc_end119:
	.size	_ZN9rocsparseL18bsrxmvn_4x4_kernelILj128ELj64Efll18rocsparse_bfloat16S1_fEEvT3_20rocsparse_direction_NS_24const_host_device_scalarIT1_EES2_PKS2_PKT2_SB_S8_PKT4_PKT5_S6_PT6_21rocsparse_index_base_b, .Lfunc_end119-_ZN9rocsparseL18bsrxmvn_4x4_kernelILj128ELj64Efll18rocsparse_bfloat16S1_fEEvT3_20rocsparse_direction_NS_24const_host_device_scalarIT1_EES2_PKS2_PKT2_SB_S8_PKT4_PKT5_S6_PT6_21rocsparse_index_base_b
                                        ; -- End function
	.set _ZN9rocsparseL18bsrxmvn_4x4_kernelILj128ELj64Efll18rocsparse_bfloat16S1_fEEvT3_20rocsparse_direction_NS_24const_host_device_scalarIT1_EES2_PKS2_PKT2_SB_S8_PKT4_PKT5_S6_PT6_21rocsparse_index_base_b.num_vgpr, 102
	.set _ZN9rocsparseL18bsrxmvn_4x4_kernelILj128ELj64Efll18rocsparse_bfloat16S1_fEEvT3_20rocsparse_direction_NS_24const_host_device_scalarIT1_EES2_PKS2_PKT2_SB_S8_PKT4_PKT5_S6_PT6_21rocsparse_index_base_b.num_agpr, 0
	.set _ZN9rocsparseL18bsrxmvn_4x4_kernelILj128ELj64Efll18rocsparse_bfloat16S1_fEEvT3_20rocsparse_direction_NS_24const_host_device_scalarIT1_EES2_PKS2_PKT2_SB_S8_PKT4_PKT5_S6_PT6_21rocsparse_index_base_b.numbered_sgpr, 24
	.set _ZN9rocsparseL18bsrxmvn_4x4_kernelILj128ELj64Efll18rocsparse_bfloat16S1_fEEvT3_20rocsparse_direction_NS_24const_host_device_scalarIT1_EES2_PKS2_PKT2_SB_S8_PKT4_PKT5_S6_PT6_21rocsparse_index_base_b.num_named_barrier, 0
	.set _ZN9rocsparseL18bsrxmvn_4x4_kernelILj128ELj64Efll18rocsparse_bfloat16S1_fEEvT3_20rocsparse_direction_NS_24const_host_device_scalarIT1_EES2_PKS2_PKT2_SB_S8_PKT4_PKT5_S6_PT6_21rocsparse_index_base_b.private_seg_size, 0
	.set _ZN9rocsparseL18bsrxmvn_4x4_kernelILj128ELj64Efll18rocsparse_bfloat16S1_fEEvT3_20rocsparse_direction_NS_24const_host_device_scalarIT1_EES2_PKS2_PKT2_SB_S8_PKT4_PKT5_S6_PT6_21rocsparse_index_base_b.uses_vcc, 1
	.set _ZN9rocsparseL18bsrxmvn_4x4_kernelILj128ELj64Efll18rocsparse_bfloat16S1_fEEvT3_20rocsparse_direction_NS_24const_host_device_scalarIT1_EES2_PKS2_PKT2_SB_S8_PKT4_PKT5_S6_PT6_21rocsparse_index_base_b.uses_flat_scratch, 0
	.set _ZN9rocsparseL18bsrxmvn_4x4_kernelILj128ELj64Efll18rocsparse_bfloat16S1_fEEvT3_20rocsparse_direction_NS_24const_host_device_scalarIT1_EES2_PKS2_PKT2_SB_S8_PKT4_PKT5_S6_PT6_21rocsparse_index_base_b.has_dyn_sized_stack, 0
	.set _ZN9rocsparseL18bsrxmvn_4x4_kernelILj128ELj64Efll18rocsparse_bfloat16S1_fEEvT3_20rocsparse_direction_NS_24const_host_device_scalarIT1_EES2_PKS2_PKT2_SB_S8_PKT4_PKT5_S6_PT6_21rocsparse_index_base_b.has_recursion, 0
	.set _ZN9rocsparseL18bsrxmvn_4x4_kernelILj128ELj64Efll18rocsparse_bfloat16S1_fEEvT3_20rocsparse_direction_NS_24const_host_device_scalarIT1_EES2_PKS2_PKT2_SB_S8_PKT4_PKT5_S6_PT6_21rocsparse_index_base_b.has_indirect_call, 0
	.section	.AMDGPU.csdata,"",@progbits
; Kernel info:
; codeLenInByte = 4228
; TotalNumSgprs: 30
; NumVgprs: 102
; NumAgprs: 0
; TotalNumVgprs: 102
; ScratchSize: 0
; MemoryBound: 0
; FloatMode: 240
; IeeeMode: 1
; LDSByteSize: 0 bytes/workgroup (compile time only)
; SGPRBlocks: 3
; VGPRBlocks: 12
; NumSGPRsForWavesPerEU: 30
; NumVGPRsForWavesPerEU: 102
; AccumOffset: 104
; Occupancy: 4
; WaveLimiterHint : 1
; COMPUTE_PGM_RSRC2:SCRATCH_EN: 0
; COMPUTE_PGM_RSRC2:USER_SGPR: 2
; COMPUTE_PGM_RSRC2:TRAP_HANDLER: 0
; COMPUTE_PGM_RSRC2:TGID_X_EN: 1
; COMPUTE_PGM_RSRC2:TGID_Y_EN: 0
; COMPUTE_PGM_RSRC2:TGID_Z_EN: 0
; COMPUTE_PGM_RSRC2:TIDIG_COMP_CNT: 0
; COMPUTE_PGM_RSRC3_GFX90A:ACCUM_OFFSET: 25
; COMPUTE_PGM_RSRC3_GFX90A:TG_SPLIT: 0
	.section	.text._ZN9rocsparseL18bsrxmvn_4x4_kernelILj128ELj4E21rocsparse_complex_numIfEiifS2_S2_EEvT3_20rocsparse_direction_NS_24const_host_device_scalarIT1_EES3_PKS3_PKT2_SC_S9_PKT4_PKT5_S7_PT6_21rocsparse_index_base_b,"axG",@progbits,_ZN9rocsparseL18bsrxmvn_4x4_kernelILj128ELj4E21rocsparse_complex_numIfEiifS2_S2_EEvT3_20rocsparse_direction_NS_24const_host_device_scalarIT1_EES3_PKS3_PKT2_SC_S9_PKT4_PKT5_S7_PT6_21rocsparse_index_base_b,comdat
	.globl	_ZN9rocsparseL18bsrxmvn_4x4_kernelILj128ELj4E21rocsparse_complex_numIfEiifS2_S2_EEvT3_20rocsparse_direction_NS_24const_host_device_scalarIT1_EES3_PKS3_PKT2_SC_S9_PKT4_PKT5_S7_PT6_21rocsparse_index_base_b ; -- Begin function _ZN9rocsparseL18bsrxmvn_4x4_kernelILj128ELj4E21rocsparse_complex_numIfEiifS2_S2_EEvT3_20rocsparse_direction_NS_24const_host_device_scalarIT1_EES3_PKS3_PKT2_SC_S9_PKT4_PKT5_S7_PT6_21rocsparse_index_base_b
	.p2align	8
	.type	_ZN9rocsparseL18bsrxmvn_4x4_kernelILj128ELj4E21rocsparse_complex_numIfEiifS2_S2_EEvT3_20rocsparse_direction_NS_24const_host_device_scalarIT1_EES3_PKS3_PKT2_SC_S9_PKT4_PKT5_S7_PT6_21rocsparse_index_base_b,@function
_ZN9rocsparseL18bsrxmvn_4x4_kernelILj128ELj4E21rocsparse_complex_numIfEiifS2_S2_EEvT3_20rocsparse_direction_NS_24const_host_device_scalarIT1_EES3_PKS3_PKT2_SC_S9_PKT4_PKT5_S7_PT6_21rocsparse_index_base_b: ; @_ZN9rocsparseL18bsrxmvn_4x4_kernelILj128ELj4E21rocsparse_complex_numIfEiifS2_S2_EEvT3_20rocsparse_direction_NS_24const_host_device_scalarIT1_EES3_PKS3_PKT2_SC_S9_PKT4_PKT5_S7_PT6_21rocsparse_index_base_b
; %bb.0:
	s_load_dwordx2 s[4:5], s[0:1], 0x8
	s_load_dwordx2 s[16:17], s[0:1], 0x58
	s_add_u32 s3, s0, 8
	s_addc_u32 s8, s1, 0
	s_load_dwordx2 s[6:7], s[0:1], 0x48
	s_add_u32 s9, s0, 0x48
	s_addc_u32 s10, s1, 0
	s_waitcnt lgkmcnt(0)
	s_bitcmp1_b32 s17, 0
	s_cselect_b32 s3, s3, s4
	s_cselect_b32 s5, s8, s5
	v_mov_b32_e32 v2, s3
	s_cselect_b32 s3, s10, s7
	s_cselect_b32 s4, s9, s6
	v_mov_b32_e32 v3, s5
	v_mov_b32_e32 v4, s4
	;; [unrolled: 1-line block ×3, first 2 shown]
	flat_load_dwordx2 v[12:13], v[2:3]
	flat_load_dwordx2 v[14:15], v[4:5]
	s_waitcnt vmcnt(0) lgkmcnt(0)
	v_cmp_neq_f32_e32 vcc, 0, v12
	v_cmp_neq_f32_e64 s[4:5], 0, v13
	v_cmp_neq_f32_e64 s[8:9], 1.0, v14
	v_cmp_neq_f32_e64 s[6:7], 0, v15
	s_or_b64 s[4:5], vcc, s[4:5]
	s_or_b64 s[8:9], s[8:9], s[6:7]
	s_or_b64 s[4:5], s[4:5], s[8:9]
	s_and_saveexec_b64 s[8:9], s[4:5]
	s_cbranch_execz .LBB120_6
; %bb.1:
	s_load_dwordx2 s[8:9], s[0:1], 0x18
	s_load_dwordx2 s[4:5], s[0:1], 0x0
	v_lshrrev_b32_e32 v1, 2, v0
	v_lshl_or_b32 v16, s2, 5, v1
	s_mov_b64 s[2:3], 0
	s_waitcnt lgkmcnt(0)
	s_cmp_lg_u64 s[8:9], 0
	s_cbranch_scc0 .LBB120_7
; %bb.2:
	s_load_dword s10, s[0:1], 0x10
                                        ; implicit-def: $vgpr1
	s_waitcnt lgkmcnt(0)
	v_cmp_gt_i32_e32 vcc, s10, v16
	s_and_saveexec_b64 s[10:11], vcc
	s_xor_b64 s[10:11], exec, s[10:11]
	s_cbranch_execz .LBB120_4
; %bb.3:
	v_ashrrev_i32_e32 v17, 31, v16
	v_lshl_add_u64 v[2:3], v[16:17], 2, s[8:9]
	global_load_dword v1, v[2:3], off
	s_mov_b64 s[2:3], exec
	s_waitcnt vmcnt(0)
	v_subrev_u32_e32 v1, s16, v1
.LBB120_4:
	s_or_b64 exec, exec, s[10:11]
	s_branch .LBB120_8
.LBB120_5:
	v_cmp_gt_i32_e32 vcc, s4, v16
	s_andn2_b64 s[2:3], s[2:3], exec
	s_and_b64 s[8:9], vcc, exec
	s_or_b64 s[2:3], s[2:3], s[8:9]
	s_and_b64 exec, exec, s[2:3]
	s_cbranch_execnz .LBB120_9
.LBB120_6:
	s_endpgm
.LBB120_7:
                                        ; implicit-def: $vgpr1
	s_cbranch_execnz .LBB120_5
.LBB120_8:
	v_mov_b32_e32 v16, v1
	s_and_b64 exec, exec, s[2:3]
	s_cbranch_execz .LBB120_6
.LBB120_9:
	s_load_dwordx8 s[8:15], s[0:1], 0x20
	v_ashrrev_i32_e32 v17, 31, v16
	v_lshlrev_b64 v[2:3], 2, v[16:17]
	s_load_dwordx2 s[2:3], s[0:1], 0x40
	v_and_b32_e32 v17, 3, v0
	s_waitcnt lgkmcnt(0)
	v_lshl_add_u64 v[4:5], s[8:9], 0, v[2:3]
	s_cmp_eq_u64 s[10:11], 0
	global_load_dword v10, v[4:5], off
	v_lshl_add_u64 v[4:5], v[4:5], 0, 4
	v_lshl_add_u64 v[2:3], s[10:11], 0, v[2:3]
	s_cselect_b64 vcc, -1, 0
	v_cndmask_b32_e32 v3, v3, v5, vcc
	v_cndmask_b32_e32 v2, v2, v4, vcc
	global_load_dword v1, v[2:3], off
	s_cmp_eq_u32 s5, 1
	s_waitcnt vmcnt(1)
	v_subrev_u32_e32 v0, s16, v10
	v_add_u32_e32 v18, v0, v17
	v_ashrrev_i32_e32 v19, 31, v18
	s_waitcnt vmcnt(0)
	v_subrev_u32_e32 v34, s16, v1
	v_lshlrev_b64 v[0:1], 6, v[18:19]
	v_lshl_add_u64 v[20:21], s[14:15], 0, v[0:1]
	v_cmp_lt_i32_e64 s[4:5], v18, v34
	s_cbranch_scc1 .LBB120_21
; %bb.10:
	v_mov_b32_e32 v29, 0
	v_mov_b32_e32 v28, 0
	;; [unrolled: 1-line block ×8, first 2 shown]
	s_and_saveexec_b64 s[8:9], s[4:5]
	s_cbranch_execz .LBB120_20
; %bb.11:
	v_add_u32_e32 v0, v10, v17
	v_subrev_u32_e32 v0, s16, v0
	v_add_u32_e32 v0, 4, v0
	v_max_i32_e32 v0, v0, v34
	v_not_b32_e32 v1, v10
	v_add3_u32 v0, s16, v0, v1
	v_sub_u32_e32 v8, v0, v17
	v_mov_b32_e32 v5, 0
	v_and_b32_e32 v0, 12, v8
	v_mov_b32_e32 v4, v5
	v_cmp_ne_u32_e32 vcc, 12, v0
	v_mov_b64_e32 v[28:29], v[4:5]
	v_mov_b64_e32 v[26:27], v[4:5]
	;; [unrolled: 1-line block ×5, first 2 shown]
	v_mov_b32_e32 v0, v18
	s_and_saveexec_b64 s[10:11], vcc
	s_cbranch_execz .LBB120_15
; %bb.12:
	v_lshrrev_b32_e32 v0, 2, v8
	v_add_u32_e32 v0, 1, v0
	v_and_b32_e32 v0, 3, v0
	v_sub_u32_e32 v9, 0, v0
	s_mov_b64 s[14:15], 0
	s_mov_b64 s[18:19], 0x100
	v_bfrev_b32_e32 v6, 1
	v_mov_b32_e32 v0, v18
	v_mov_b64_e32 v[2:3], v[20:21]
	v_mov_b32_e32 v22, v5
	v_mov_b32_e32 v23, v5
	;; [unrolled: 1-line block ×8, first 2 shown]
.LBB120_13:                             ; =>This Inner Loop Header: Depth=1
	v_ashrrev_i32_e32 v1, 31, v0
	v_lshl_add_u64 v[30:31], v[0:1], 2, s[12:13]
	global_load_dword v1, v[30:31], off
	global_load_dwordx4 v[44:47], v[2:3], off offset:16
	global_load_dwordx4 v[48:51], v[2:3], off
	v_add_co_u32_e32 v9, vcc, 1, v9
	v_add_u32_e32 v0, 4, v0
	s_or_b64 s[14:15], vcc, s[14:15]
	s_waitcnt vmcnt(2)
	v_subrev_u32_e32 v1, s16, v1
	v_lshlrev_b32_e32 v30, 2, v1
	v_ashrrev_i32_e32 v31, 31, v30
	v_lshl_add_u64 v[40:41], v[30:31], 3, s[2:3]
	global_load_dwordx4 v[30:33], v[40:41], off
	global_load_dwordx4 v[36:39], v[40:41], off offset:16
	global_load_dwordx4 v[52:55], v[2:3], off offset:32
	global_load_dwordx4 v[56:59], v[2:3], off offset:48
	s_waitcnt vmcnt(4)
	v_mov_b32_e32 v4, v48
	v_mov_b32_e32 v7, v48
	v_lshl_add_u64 v[2:3], v[2:3], 0, s[18:19]
	s_waitcnt vmcnt(3)
	v_pk_fma_f32 v[28:29], v[30:31], v[4:5], v[28:29] op_sel_hi:[0,1,1]
	v_mov_b32_e32 v4, v49
	v_pk_fma_f32 v[28:29], v[30:31], v[6:7], v[28:29] op_sel:[1,0,0]
	v_mov_b32_e32 v40, v33
	v_mov_b32_e32 v7, v49
	v_pk_fma_f32 v[28:29], v[32:33], v[4:5], v[28:29] op_sel_hi:[0,1,1]
	v_mov_b32_e32 v4, v50
	v_pk_fma_f32 v[28:29], v[40:41], v[6:7], v[28:29] op_sel_hi:[0,1,1]
	v_mov_b32_e32 v7, v50
	s_waitcnt vmcnt(2)
	v_pk_fma_f32 v[28:29], v[36:37], v[4:5], v[28:29] op_sel_hi:[0,1,1]
	v_mov_b32_e32 v4, v51
	v_pk_fma_f32 v[28:29], v[36:37], v[6:7], v[28:29] op_sel:[1,0,0]
	v_mov_b32_e32 v42, v39
	v_mov_b32_e32 v7, v51
	v_pk_fma_f32 v[28:29], v[38:39], v[4:5], v[28:29] op_sel_hi:[0,1,1]
	v_mov_b32_e32 v4, v44
	v_pk_fma_f32 v[28:29], v[42:43], v[6:7], v[28:29] op_sel_hi:[0,1,1]
	v_pk_fma_f32 v[26:27], v[30:31], v[4:5], v[26:27] op_sel_hi:[0,1,1]
	v_mov_b32_e32 v7, v44
	v_mov_b32_e32 v4, v45
	v_pk_fma_f32 v[26:27], v[30:31], v[6:7], v[26:27] op_sel:[1,0,0]
	v_mov_b32_e32 v7, v45
	v_pk_fma_f32 v[26:27], v[32:33], v[4:5], v[26:27] op_sel_hi:[0,1,1]
	v_mov_b32_e32 v4, v46
	v_pk_fma_f32 v[26:27], v[40:41], v[6:7], v[26:27] op_sel_hi:[0,1,1]
	;; [unrolled: 2-line block ×3, first 2 shown]
	v_mov_b32_e32 v4, v47
	v_pk_fma_f32 v[26:27], v[36:37], v[6:7], v[26:27] op_sel:[1,0,0]
	v_mov_b32_e32 v7, v47
	v_pk_fma_f32 v[26:27], v[38:39], v[4:5], v[26:27] op_sel_hi:[0,1,1]
	s_waitcnt vmcnt(1)
	v_mov_b32_e32 v4, v52
	v_pk_fma_f32 v[26:27], v[42:43], v[6:7], v[26:27] op_sel_hi:[0,1,1]
	v_pk_fma_f32 v[24:25], v[30:31], v[4:5], v[24:25] op_sel_hi:[0,1,1]
	v_mov_b32_e32 v7, v52
	v_mov_b32_e32 v4, v53
	v_pk_fma_f32 v[24:25], v[30:31], v[6:7], v[24:25] op_sel:[1,0,0]
	v_mov_b32_e32 v7, v53
	v_pk_fma_f32 v[24:25], v[32:33], v[4:5], v[24:25] op_sel_hi:[0,1,1]
	v_mov_b32_e32 v4, v54
	v_pk_fma_f32 v[24:25], v[40:41], v[6:7], v[24:25] op_sel_hi:[0,1,1]
	v_mov_b32_e32 v7, v54
	v_pk_fma_f32 v[24:25], v[36:37], v[4:5], v[24:25] op_sel_hi:[0,1,1]
	v_mov_b32_e32 v4, v55
	v_pk_fma_f32 v[24:25], v[36:37], v[6:7], v[24:25] op_sel:[1,0,0]
	v_mov_b32_e32 v7, v55
	v_pk_fma_f32 v[24:25], v[38:39], v[4:5], v[24:25] op_sel_hi:[0,1,1]
	s_waitcnt vmcnt(0)
	v_mov_b32_e32 v4, v56
	v_pk_fma_f32 v[24:25], v[42:43], v[6:7], v[24:25] op_sel_hi:[0,1,1]
	v_pk_fma_f32 v[22:23], v[30:31], v[4:5], v[22:23] op_sel_hi:[0,1,1]
	v_mov_b32_e32 v7, v56
	v_mov_b32_e32 v4, v57
	v_pk_fma_f32 v[22:23], v[30:31], v[6:7], v[22:23] op_sel:[1,0,0]
	v_mov_b32_e32 v7, v57
	v_pk_fma_f32 v[22:23], v[32:33], v[4:5], v[22:23] op_sel_hi:[0,1,1]
	v_mov_b32_e32 v4, v58
	v_pk_fma_f32 v[22:23], v[40:41], v[6:7], v[22:23] op_sel_hi:[0,1,1]
	;; [unrolled: 2-line block ×3, first 2 shown]
	v_mov_b32_e32 v4, v59
	v_pk_fma_f32 v[22:23], v[36:37], v[6:7], v[22:23] op_sel:[1,0,0]
	v_mov_b32_e32 v7, v59
	v_pk_fma_f32 v[22:23], v[38:39], v[4:5], v[22:23] op_sel_hi:[0,1,1]
	v_pk_fma_f32 v[22:23], v[42:43], v[6:7], v[22:23] op_sel_hi:[0,1,1]
	s_andn2_b64 exec, exec, s[14:15]
	s_cbranch_execnz .LBB120_13
; %bb.14:
	s_or_b64 exec, exec, s[14:15]
.LBB120_15:
	s_or_b64 exec, exec, s[10:11]
	v_cmp_lt_u32_e32 vcc, 11, v8
	s_and_saveexec_b64 s[10:11], vcc
	s_cbranch_execz .LBB120_19
; %bb.16:
	s_mov_b64 s[14:15], 0
	v_mov_b32_e32 v5, 0
	s_mov_b64 s[18:19], 0x400
	v_bfrev_b32_e32 v6, 1
.LBB120_17:                             ; =>This Inner Loop Header: Depth=1
	v_ashrrev_i32_e32 v1, 31, v0
	v_lshl_add_u64 v[8:9], v[0:1], 2, s[12:13]
	global_load_dword v1, v[8:9], off
	v_add_u32_e32 v0, 16, v0
	v_cmp_ge_i32_e32 vcc, v0, v34
	s_or_b64 s[14:15], vcc, s[14:15]
	s_waitcnt vmcnt(0)
	v_subrev_u32_e32 v1, s16, v1
	v_lshlrev_b32_e32 v30, 2, v1
	v_ashrrev_i32_e32 v31, 31, v30
	v_lshl_add_u64 v[40:41], v[30:31], 3, s[2:3]
	global_load_dwordx4 v[30:33], v[40:41], off offset:16
	global_load_dwordx4 v[36:39], v[40:41], off
	global_load_dwordx4 v[50:53], v[2:3], off offset:48
	global_load_dwordx4 v[54:57], v[2:3], off offset:32
	;; [unrolled: 1-line block ×3, first 2 shown]
	global_load_dwordx4 v[42:45], v[2:3], off
	global_load_dword v1, v[8:9], off offset:16
	s_waitcnt vmcnt(5)
	v_mov_b32_e32 v40, v39
	s_waitcnt vmcnt(1)
	v_mov_b32_e32 v4, v42
	v_pk_fma_f32 v[28:29], v[36:37], v[4:5], v[28:29] op_sel_hi:[0,1,1]
	v_mov_b32_e32 v7, v42
	v_pk_fma_f32 v[28:29], v[36:37], v[6:7], v[28:29] op_sel:[1,0,0]
	v_mov_b32_e32 v4, v43
	v_pk_fma_f32 v[28:29], v[38:39], v[4:5], v[28:29] op_sel_hi:[0,1,1]
	v_mov_b32_e32 v7, v43
	v_pk_fma_f32 v[28:29], v[40:41], v[6:7], v[28:29] op_sel_hi:[0,1,1]
	;; [unrolled: 2-line block ×3, first 2 shown]
	v_mov_b32_e32 v7, v44
	v_pk_fma_f32 v[28:29], v[30:31], v[6:7], v[28:29] op_sel:[1,0,0]
	v_mov_b32_e32 v4, v45
	v_pk_fma_f32 v[28:29], v[32:33], v[4:5], v[28:29] op_sel_hi:[0,1,1]
	v_mov_b32_e32 v42, v33
	v_mov_b32_e32 v7, v45
	;; [unrolled: 1-line block ×3, first 2 shown]
	v_pk_fma_f32 v[44:45], v[42:43], v[6:7], v[28:29] op_sel_hi:[0,1,1]
	v_pk_fma_f32 v[26:27], v[36:37], v[4:5], v[26:27] op_sel_hi:[0,1,1]
	v_mov_b32_e32 v7, v46
	v_pk_fma_f32 v[26:27], v[36:37], v[6:7], v[26:27] op_sel:[1,0,0]
	v_mov_b32_e32 v4, v47
	v_pk_fma_f32 v[26:27], v[38:39], v[4:5], v[26:27] op_sel_hi:[0,1,1]
	v_mov_b32_e32 v7, v47
	v_pk_fma_f32 v[26:27], v[40:41], v[6:7], v[26:27] op_sel_hi:[0,1,1]
	;; [unrolled: 2-line block ×3, first 2 shown]
	v_mov_b32_e32 v7, v48
	v_pk_fma_f32 v[26:27], v[30:31], v[6:7], v[26:27] op_sel:[1,0,0]
	v_mov_b32_e32 v4, v49
	v_pk_fma_f32 v[26:27], v[32:33], v[4:5], v[26:27] op_sel_hi:[0,1,1]
	v_mov_b32_e32 v7, v49
	v_mov_b32_e32 v4, v54
	v_pk_fma_f32 v[46:47], v[42:43], v[6:7], v[26:27] op_sel_hi:[0,1,1]
	v_pk_fma_f32 v[24:25], v[36:37], v[4:5], v[24:25] op_sel_hi:[0,1,1]
	v_mov_b32_e32 v7, v54
	v_pk_fma_f32 v[24:25], v[36:37], v[6:7], v[24:25] op_sel:[1,0,0]
	v_mov_b32_e32 v4, v55
	v_pk_fma_f32 v[24:25], v[38:39], v[4:5], v[24:25] op_sel_hi:[0,1,1]
	v_mov_b32_e32 v7, v55
	v_pk_fma_f32 v[24:25], v[40:41], v[6:7], v[24:25] op_sel_hi:[0,1,1]
	;; [unrolled: 2-line block ×3, first 2 shown]
	v_mov_b32_e32 v7, v56
	v_pk_fma_f32 v[24:25], v[30:31], v[6:7], v[24:25] op_sel:[1,0,0]
	v_mov_b32_e32 v4, v57
	v_pk_fma_f32 v[24:25], v[32:33], v[4:5], v[24:25] op_sel_hi:[0,1,1]
	v_mov_b32_e32 v7, v57
	v_mov_b32_e32 v4, v50
	v_pk_fma_f32 v[48:49], v[42:43], v[6:7], v[24:25] op_sel_hi:[0,1,1]
	v_pk_fma_f32 v[22:23], v[36:37], v[4:5], v[22:23] op_sel_hi:[0,1,1]
	v_mov_b32_e32 v7, v50
	v_pk_fma_f32 v[22:23], v[36:37], v[6:7], v[22:23] op_sel:[1,0,0]
	v_mov_b32_e32 v4, v51
	v_pk_fma_f32 v[22:23], v[38:39], v[4:5], v[22:23] op_sel_hi:[0,1,1]
	v_mov_b32_e32 v7, v51
	v_pk_fma_f32 v[22:23], v[40:41], v[6:7], v[22:23] op_sel_hi:[0,1,1]
	;; [unrolled: 2-line block ×3, first 2 shown]
	v_mov_b32_e32 v7, v52
	v_pk_fma_f32 v[22:23], v[30:31], v[6:7], v[22:23] op_sel:[1,0,0]
	v_mov_b32_e32 v4, v53
	v_pk_fma_f32 v[22:23], v[32:33], v[4:5], v[22:23] op_sel_hi:[0,1,1]
	v_mov_b32_e32 v7, v53
	s_waitcnt vmcnt(0)
	v_subrev_u32_e32 v1, s16, v1
	v_pk_fma_f32 v[30:31], v[42:43], v[6:7], v[22:23] op_sel_hi:[0,1,1]
	v_lshlrev_b32_e32 v22, 2, v1
	v_ashrrev_i32_e32 v23, 31, v22
	v_lshl_add_u64 v[32:33], v[22:23], 3, s[2:3]
	global_load_dwordx4 v[22:25], v[32:33], off offset:16
	global_load_dwordx4 v[26:29], v[32:33], off
	global_load_dwordx4 v[50:53], v[2:3], off offset:304
	global_load_dwordx4 v[54:57], v[2:3], off offset:288
	;; [unrolled: 1-line block ×4, first 2 shown]
	global_load_dword v1, v[8:9], off offset:32
	s_waitcnt vmcnt(1)
	v_mov_b32_e32 v4, v36
	v_pk_fma_f32 v[32:33], v[26:27], v[4:5], v[44:45] op_sel_hi:[0,1,1]
	v_mov_b32_e32 v7, v36
	v_pk_fma_f32 v[32:33], v[26:27], v[6:7], v[32:33] op_sel:[1,0,0]
	v_mov_b32_e32 v4, v37
	v_pk_fma_f32 v[32:33], v[28:29], v[4:5], v[32:33] op_sel_hi:[0,1,1]
	v_mov_b32_e32 v36, v29
	v_mov_b32_e32 v7, v37
	v_pk_fma_f32 v[32:33], v[36:37], v[6:7], v[32:33] op_sel_hi:[0,1,1]
	v_mov_b32_e32 v4, v38
	v_pk_fma_f32 v[32:33], v[22:23], v[4:5], v[32:33] op_sel_hi:[0,1,1]
	v_mov_b32_e32 v7, v38
	v_pk_fma_f32 v[32:33], v[22:23], v[6:7], v[32:33] op_sel:[1,0,0]
	v_mov_b32_e32 v4, v39
	v_pk_fma_f32 v[32:33], v[24:25], v[4:5], v[32:33] op_sel_hi:[0,1,1]
	v_mov_b32_e32 v38, v25
	v_mov_b32_e32 v7, v39
	v_mov_b32_e32 v4, v58
	v_pk_fma_f32 v[32:33], v[38:39], v[6:7], v[32:33] op_sel_hi:[0,1,1]
	v_pk_fma_f32 v[40:41], v[26:27], v[4:5], v[46:47] op_sel_hi:[0,1,1]
	v_mov_b32_e32 v7, v58
	v_pk_fma_f32 v[40:41], v[26:27], v[6:7], v[40:41] op_sel:[1,0,0]
	v_mov_b32_e32 v4, v59
	v_pk_fma_f32 v[40:41], v[28:29], v[4:5], v[40:41] op_sel_hi:[0,1,1]
	v_mov_b32_e32 v7, v59
	v_pk_fma_f32 v[40:41], v[36:37], v[6:7], v[40:41] op_sel_hi:[0,1,1]
	;; [unrolled: 2-line block ×3, first 2 shown]
	v_mov_b32_e32 v7, v60
	v_pk_fma_f32 v[40:41], v[22:23], v[6:7], v[40:41] op_sel:[1,0,0]
	v_mov_b32_e32 v4, v61
	v_pk_fma_f32 v[40:41], v[24:25], v[4:5], v[40:41] op_sel_hi:[0,1,1]
	v_mov_b32_e32 v7, v61
	v_mov_b32_e32 v4, v54
	v_pk_fma_f32 v[40:41], v[38:39], v[6:7], v[40:41] op_sel_hi:[0,1,1]
	v_pk_fma_f32 v[42:43], v[26:27], v[4:5], v[48:49] op_sel_hi:[0,1,1]
	v_mov_b32_e32 v7, v54
	v_pk_fma_f32 v[42:43], v[26:27], v[6:7], v[42:43] op_sel:[1,0,0]
	v_mov_b32_e32 v4, v55
	v_pk_fma_f32 v[42:43], v[28:29], v[4:5], v[42:43] op_sel_hi:[0,1,1]
	v_mov_b32_e32 v7, v55
	v_pk_fma_f32 v[42:43], v[36:37], v[6:7], v[42:43] op_sel_hi:[0,1,1]
	;; [unrolled: 2-line block ×3, first 2 shown]
	v_mov_b32_e32 v7, v56
	v_pk_fma_f32 v[42:43], v[22:23], v[6:7], v[42:43] op_sel:[1,0,0]
	v_mov_b32_e32 v4, v57
	v_pk_fma_f32 v[42:43], v[24:25], v[4:5], v[42:43] op_sel_hi:[0,1,1]
	v_mov_b32_e32 v7, v57
	v_mov_b32_e32 v4, v50
	v_pk_fma_f32 v[42:43], v[38:39], v[6:7], v[42:43] op_sel_hi:[0,1,1]
	v_pk_fma_f32 v[30:31], v[26:27], v[4:5], v[30:31] op_sel_hi:[0,1,1]
	v_mov_b32_e32 v7, v50
	v_pk_fma_f32 v[26:27], v[26:27], v[6:7], v[30:31] op_sel:[1,0,0]
	v_mov_b32_e32 v4, v51
	v_pk_fma_f32 v[26:27], v[28:29], v[4:5], v[26:27] op_sel_hi:[0,1,1]
	v_mov_b32_e32 v7, v51
	v_pk_fma_f32 v[26:27], v[36:37], v[6:7], v[26:27] op_sel_hi:[0,1,1]
	;; [unrolled: 2-line block ×3, first 2 shown]
	v_mov_b32_e32 v7, v52
	v_pk_fma_f32 v[22:23], v[22:23], v[6:7], v[26:27] op_sel:[1,0,0]
	v_mov_b32_e32 v4, v53
	v_pk_fma_f32 v[22:23], v[24:25], v[4:5], v[22:23] op_sel_hi:[0,1,1]
	v_mov_b32_e32 v7, v53
	s_waitcnt vmcnt(0)
	v_subrev_u32_e32 v1, s16, v1
	v_pk_fma_f32 v[30:31], v[38:39], v[6:7], v[22:23] op_sel_hi:[0,1,1]
	v_lshlrev_b32_e32 v22, 2, v1
	v_ashrrev_i32_e32 v23, 31, v22
	v_lshl_add_u64 v[36:37], v[22:23], 3, s[2:3]
	global_load_dwordx4 v[22:25], v[36:37], off offset:16
	global_load_dwordx4 v[26:29], v[36:37], off
	global_load_dwordx4 v[46:49], v[2:3], off offset:560
	global_load_dwordx4 v[50:53], v[2:3], off offset:544
	global_load_dwordx4 v[54:57], v[2:3], off offset:528
	global_load_dwordx4 v[58:61], v[2:3], off offset:512
	global_load_dword v1, v[8:9], off offset:48
	s_waitcnt vmcnt(6)
	v_mov_b32_e32 v38, v25
	s_waitcnt vmcnt(5)
	v_mov_b32_e32 v36, v29
	;; [unrolled: 2-line block ×3, first 2 shown]
	v_pk_fma_f32 v[32:33], v[26:27], v[4:5], v[32:33] op_sel_hi:[0,1,1]
	v_mov_b32_e32 v7, v58
	v_pk_fma_f32 v[32:33], v[26:27], v[6:7], v[32:33] op_sel:[1,0,0]
	v_mov_b32_e32 v4, v59
	v_pk_fma_f32 v[32:33], v[28:29], v[4:5], v[32:33] op_sel_hi:[0,1,1]
	v_mov_b32_e32 v7, v59
	v_pk_fma_f32 v[32:33], v[36:37], v[6:7], v[32:33] op_sel_hi:[0,1,1]
	v_mov_b32_e32 v4, v60
	v_pk_fma_f32 v[32:33], v[22:23], v[4:5], v[32:33] op_sel_hi:[0,1,1]
	v_mov_b32_e32 v7, v60
	v_pk_fma_f32 v[32:33], v[22:23], v[6:7], v[32:33] op_sel:[1,0,0]
	v_mov_b32_e32 v4, v61
	v_pk_fma_f32 v[32:33], v[24:25], v[4:5], v[32:33] op_sel_hi:[0,1,1]
	v_mov_b32_e32 v7, v61
	v_mov_b32_e32 v4, v54
	v_pk_fma_f32 v[44:45], v[38:39], v[6:7], v[32:33] op_sel_hi:[0,1,1]
	v_pk_fma_f32 v[32:33], v[26:27], v[4:5], v[40:41] op_sel_hi:[0,1,1]
	v_mov_b32_e32 v7, v54
	v_pk_fma_f32 v[32:33], v[26:27], v[6:7], v[32:33] op_sel:[1,0,0]
	v_mov_b32_e32 v4, v55
	v_pk_fma_f32 v[32:33], v[28:29], v[4:5], v[32:33] op_sel_hi:[0,1,1]
	v_mov_b32_e32 v7, v55
	v_pk_fma_f32 v[32:33], v[36:37], v[6:7], v[32:33] op_sel_hi:[0,1,1]
	v_mov_b32_e32 v4, v56
	v_pk_fma_f32 v[32:33], v[22:23], v[4:5], v[32:33] op_sel_hi:[0,1,1]
	v_mov_b32_e32 v7, v56
	v_pk_fma_f32 v[32:33], v[22:23], v[6:7], v[32:33] op_sel:[1,0,0]
	v_mov_b32_e32 v4, v57
	v_pk_fma_f32 v[32:33], v[24:25], v[4:5], v[32:33] op_sel_hi:[0,1,1]
	v_mov_b32_e32 v7, v57
	v_mov_b32_e32 v4, v50
	v_pk_fma_f32 v[40:41], v[38:39], v[6:7], v[32:33] op_sel_hi:[0,1,1]
	;; [unrolled: 16-line block ×3, first 2 shown]
	v_pk_fma_f32 v[30:31], v[26:27], v[4:5], v[30:31] op_sel_hi:[0,1,1]
	v_mov_b32_e32 v7, v46
	v_pk_fma_f32 v[26:27], v[26:27], v[6:7], v[30:31] op_sel:[1,0,0]
	v_mov_b32_e32 v4, v47
	v_pk_fma_f32 v[26:27], v[28:29], v[4:5], v[26:27] op_sel_hi:[0,1,1]
	v_mov_b32_e32 v7, v47
	v_pk_fma_f32 v[26:27], v[36:37], v[6:7], v[26:27] op_sel_hi:[0,1,1]
	v_mov_b32_e32 v4, v48
	s_waitcnt vmcnt(0)
	v_subrev_u32_e32 v1, s16, v1
	v_pk_fma_f32 v[26:27], v[22:23], v[4:5], v[26:27] op_sel_hi:[0,1,1]
	v_mov_b32_e32 v7, v48
	v_lshlrev_b32_e32 v8, 2, v1
	v_pk_fma_f32 v[22:23], v[22:23], v[6:7], v[26:27] op_sel:[1,0,0]
	v_mov_b32_e32 v4, v49
	v_ashrrev_i32_e32 v9, 31, v8
	v_pk_fma_f32 v[22:23], v[24:25], v[4:5], v[22:23] op_sel_hi:[0,1,1]
	v_mov_b32_e32 v7, v49
	v_lshl_add_u64 v[8:9], v[8:9], 3, s[2:3]
	v_pk_fma_f32 v[22:23], v[38:39], v[6:7], v[22:23] op_sel_hi:[0,1,1]
	global_load_dwordx4 v[30:33], v[8:9], off offset:16
	global_load_dwordx4 v[36:39], v[8:9], off
	global_load_dwordx4 v[48:51], v[2:3], off offset:816
	global_load_dwordx4 v[52:55], v[2:3], off offset:800
	;; [unrolled: 1-line block ×4, first 2 shown]
	v_lshl_add_u64 v[2:3], v[2:3], 0, s[18:19]
	s_waitcnt vmcnt(5)
	v_mov_b32_e32 v46, v33
	s_waitcnt vmcnt(0)
	v_mov_b32_e32 v4, v56
	v_pk_fma_f32 v[8:9], v[36:37], v[4:5], v[44:45] op_sel_hi:[0,1,1]
	v_mov_b32_e32 v7, v56
	v_pk_fma_f32 v[8:9], v[36:37], v[6:7], v[8:9] op_sel:[1,0,0]
	v_mov_b32_e32 v4, v57
	v_pk_fma_f32 v[8:9], v[38:39], v[4:5], v[8:9] op_sel_hi:[0,1,1]
	v_mov_b32_e32 v44, v39
	v_mov_b32_e32 v7, v57
	v_pk_fma_f32 v[8:9], v[44:45], v[6:7], v[8:9] op_sel_hi:[0,1,1]
	v_mov_b32_e32 v4, v58
	v_pk_fma_f32 v[8:9], v[30:31], v[4:5], v[8:9] op_sel_hi:[0,1,1]
	v_mov_b32_e32 v7, v58
	v_pk_fma_f32 v[8:9], v[30:31], v[6:7], v[8:9] op_sel:[1,0,0]
	v_mov_b32_e32 v4, v59
	v_pk_fma_f32 v[8:9], v[32:33], v[4:5], v[8:9] op_sel_hi:[0,1,1]
	v_mov_b32_e32 v7, v59
	v_mov_b32_e32 v4, v24
	v_pk_fma_f32 v[28:29], v[46:47], v[6:7], v[8:9] op_sel_hi:[0,1,1]
	v_pk_fma_f32 v[8:9], v[36:37], v[4:5], v[40:41] op_sel_hi:[0,1,1]
	v_mov_b32_e32 v7, v24
	v_pk_fma_f32 v[8:9], v[36:37], v[6:7], v[8:9] op_sel:[1,0,0]
	v_mov_b32_e32 v4, v25
	v_pk_fma_f32 v[8:9], v[38:39], v[4:5], v[8:9] op_sel_hi:[0,1,1]
	v_mov_b32_e32 v7, v25
	v_pk_fma_f32 v[8:9], v[44:45], v[6:7], v[8:9] op_sel_hi:[0,1,1]
	v_mov_b32_e32 v4, v26
	v_pk_fma_f32 v[8:9], v[30:31], v[4:5], v[8:9] op_sel_hi:[0,1,1]
	v_mov_b32_e32 v7, v26
	v_pk_fma_f32 v[8:9], v[30:31], v[6:7], v[8:9] op_sel:[1,0,0]
	v_mov_b32_e32 v4, v27
	v_pk_fma_f32 v[8:9], v[32:33], v[4:5], v[8:9] op_sel_hi:[0,1,1]
	v_mov_b32_e32 v7, v27
	v_mov_b32_e32 v4, v52
	v_pk_fma_f32 v[26:27], v[46:47], v[6:7], v[8:9] op_sel_hi:[0,1,1]
	v_pk_fma_f32 v[8:9], v[36:37], v[4:5], v[42:43] op_sel_hi:[0,1,1]
	v_mov_b32_e32 v7, v52
	v_pk_fma_f32 v[8:9], v[36:37], v[6:7], v[8:9] op_sel:[1,0,0]
	v_mov_b32_e32 v4, v53
	v_pk_fma_f32 v[8:9], v[38:39], v[4:5], v[8:9] op_sel_hi:[0,1,1]
	v_mov_b32_e32 v7, v53
	v_pk_fma_f32 v[8:9], v[44:45], v[6:7], v[8:9] op_sel_hi:[0,1,1]
	v_mov_b32_e32 v4, v54
	v_pk_fma_f32 v[8:9], v[30:31], v[4:5], v[8:9] op_sel_hi:[0,1,1]
	v_mov_b32_e32 v7, v54
	v_pk_fma_f32 v[8:9], v[30:31], v[6:7], v[8:9] op_sel:[1,0,0]
	v_mov_b32_e32 v4, v55
	v_pk_fma_f32 v[8:9], v[32:33], v[4:5], v[8:9] op_sel_hi:[0,1,1]
	v_mov_b32_e32 v7, v55
	v_mov_b32_e32 v4, v48
	v_pk_fma_f32 v[24:25], v[46:47], v[6:7], v[8:9] op_sel_hi:[0,1,1]
	v_pk_fma_f32 v[8:9], v[36:37], v[4:5], v[22:23] op_sel_hi:[0,1,1]
	v_mov_b32_e32 v7, v48
	v_pk_fma_f32 v[8:9], v[36:37], v[6:7], v[8:9] op_sel:[1,0,0]
	v_mov_b32_e32 v4, v49
	v_pk_fma_f32 v[8:9], v[38:39], v[4:5], v[8:9] op_sel_hi:[0,1,1]
	v_mov_b32_e32 v7, v49
	v_pk_fma_f32 v[8:9], v[44:45], v[6:7], v[8:9] op_sel_hi:[0,1,1]
	v_mov_b32_e32 v4, v50
	v_pk_fma_f32 v[8:9], v[30:31], v[4:5], v[8:9] op_sel_hi:[0,1,1]
	v_mov_b32_e32 v7, v50
	v_pk_fma_f32 v[8:9], v[30:31], v[6:7], v[8:9] op_sel:[1,0,0]
	v_mov_b32_e32 v4, v51
	v_pk_fma_f32 v[8:9], v[32:33], v[4:5], v[8:9] op_sel_hi:[0,1,1]
	v_mov_b32_e32 v7, v51
	v_pk_fma_f32 v[22:23], v[46:47], v[6:7], v[8:9] op_sel_hi:[0,1,1]
	s_andn2_b64 exec, exec, s[14:15]
	s_cbranch_execnz .LBB120_17
; %bb.18:
	s_or_b64 exec, exec, s[14:15]
.LBB120_19:
	s_or_b64 exec, exec, s[10:11]
.LBB120_20:
	s_or_b64 exec, exec, s[8:9]
	s_cbranch_execz .LBB120_22
	s_branch .LBB120_33
.LBB120_21:
                                        ; implicit-def: $vgpr29
                                        ; implicit-def: $vgpr27
                                        ; implicit-def: $vgpr25
                                        ; implicit-def: $vgpr23
.LBB120_22:
	v_mov_b32_e32 v29, 0
	v_mov_b32_e32 v28, 0
	;; [unrolled: 1-line block ×8, first 2 shown]
	s_and_saveexec_b64 s[8:9], s[4:5]
	s_cbranch_execz .LBB120_32
; %bb.23:
	v_add_u32_e32 v0, v10, v17
	v_subrev_u32_e32 v0, s16, v0
	v_add_u32_e32 v0, 4, v0
	v_max_i32_e32 v0, v0, v34
	v_not_b32_e32 v1, v10
	v_add3_u32 v0, s16, v0, v1
	v_sub_u32_e32 v4, v0, v17
	v_and_b32_e32 v0, 12, v4
	v_mov_b32_e32 v1, 0
	v_cmp_ne_u32_e32 vcc, 12, v0
	v_mov_b32_e32 v0, v1
	v_mov_b64_e32 v[28:29], v[0:1]
	v_mov_b64_e32 v[26:27], v[0:1]
	;; [unrolled: 1-line block ×4, first 2 shown]
	s_and_saveexec_b64 s[4:5], vcc
	s_cbranch_execz .LBB120_27
; %bb.24:
	v_lshrrev_b32_e32 v0, 2, v4
	v_add_u32_e32 v0, 1, v0
	v_and_b32_e32 v0, 3, v0
	v_sub_u32_e32 v5, 0, v0
	s_mov_b64 s[10:11], 0
	s_mov_b64 s[14:15], 0x100
	v_bfrev_b32_e32 v2, 1
	v_mov_b32_e32 v22, v1
	v_mov_b32_e32 v23, v1
	;; [unrolled: 1-line block ×8, first 2 shown]
.LBB120_25:                             ; =>This Inner Loop Header: Depth=1
	v_ashrrev_i32_e32 v19, 31, v18
	v_lshl_add_u64 v[6:7], v[18:19], 2, s[12:13]
	global_load_dword v0, v[6:7], off
	global_load_dwordx4 v[40:43], v[20:21], off offset:32
	global_load_dwordx4 v[44:47], v[20:21], off offset:16
	global_load_dwordx4 v[48:51], v[20:21], off
	v_add_co_u32_e32 v5, vcc, 1, v5
	v_add_u32_e32 v18, 4, v18
	s_or_b64 s[10:11], vcc, s[10:11]
	s_waitcnt vmcnt(3)
	v_subrev_u32_e32 v0, s16, v0
	v_lshlrev_b32_e32 v6, 2, v0
	v_ashrrev_i32_e32 v7, 31, v6
	v_lshl_add_u64 v[10:11], v[6:7], 3, s[2:3]
	global_load_dwordx4 v[6:9], v[10:11], off
	global_load_dwordx4 v[30:33], v[10:11], off offset:16
	global_load_dwordx4 v[52:55], v[20:21], off offset:48
	s_waitcnt vmcnt(3)
	v_mov_b32_e32 v0, v48
	v_mov_b32_e32 v3, v48
	v_lshl_add_u64 v[20:21], v[20:21], 0, s[14:15]
	s_waitcnt vmcnt(2)
	v_pk_fma_f32 v[10:11], v[6:7], v[0:1], v[28:29] op_sel_hi:[0,1,1]
	v_mov_b32_e32 v0, v44
	v_pk_fma_f32 v[10:11], v[6:7], v[2:3], v[10:11] op_sel:[1,0,0]
	v_mov_b32_e32 v36, v9
	v_mov_b32_e32 v3, v44
	v_pk_fma_f32 v[10:11], v[8:9], v[0:1], v[10:11] op_sel_hi:[0,1,1]
	v_mov_b32_e32 v0, v40
	v_pk_fma_f32 v[10:11], v[36:37], v[2:3], v[10:11] op_sel_hi:[0,1,1]
	v_mov_b32_e32 v3, v40
	s_waitcnt vmcnt(1)
	v_pk_fma_f32 v[10:11], v[30:31], v[0:1], v[10:11] op_sel_hi:[0,1,1]
	s_waitcnt vmcnt(0)
	v_mov_b32_e32 v0, v52
	v_pk_fma_f32 v[10:11], v[30:31], v[2:3], v[10:11] op_sel:[1,0,0]
	v_mov_b32_e32 v38, v33
	v_mov_b32_e32 v3, v52
	v_pk_fma_f32 v[10:11], v[32:33], v[0:1], v[10:11] op_sel_hi:[0,1,1]
	v_mov_b32_e32 v0, v49
	v_pk_fma_f32 v[28:29], v[38:39], v[2:3], v[10:11] op_sel_hi:[0,1,1]
	v_pk_fma_f32 v[10:11], v[6:7], v[0:1], v[26:27] op_sel_hi:[0,1,1]
	v_mov_b32_e32 v3, v49
	v_mov_b32_e32 v0, v45
	v_pk_fma_f32 v[10:11], v[6:7], v[2:3], v[10:11] op_sel:[1,0,0]
	v_mov_b32_e32 v3, v45
	v_pk_fma_f32 v[10:11], v[8:9], v[0:1], v[10:11] op_sel_hi:[0,1,1]
	v_mov_b32_e32 v0, v41
	v_pk_fma_f32 v[10:11], v[36:37], v[2:3], v[10:11] op_sel_hi:[0,1,1]
	v_mov_b32_e32 v3, v41
	v_pk_fma_f32 v[10:11], v[30:31], v[0:1], v[10:11] op_sel_hi:[0,1,1]
	v_mov_b32_e32 v0, v53
	v_pk_fma_f32 v[10:11], v[30:31], v[2:3], v[10:11] op_sel:[1,0,0]
	v_mov_b32_e32 v3, v53
	v_pk_fma_f32 v[10:11], v[32:33], v[0:1], v[10:11] op_sel_hi:[0,1,1]
	v_mov_b32_e32 v0, v50
	v_pk_fma_f32 v[26:27], v[38:39], v[2:3], v[10:11] op_sel_hi:[0,1,1]
	v_pk_fma_f32 v[10:11], v[6:7], v[0:1], v[24:25] op_sel_hi:[0,1,1]
	v_mov_b32_e32 v3, v50
	v_mov_b32_e32 v0, v46
	v_pk_fma_f32 v[10:11], v[6:7], v[2:3], v[10:11] op_sel:[1,0,0]
	v_mov_b32_e32 v3, v46
	v_pk_fma_f32 v[10:11], v[8:9], v[0:1], v[10:11] op_sel_hi:[0,1,1]
	v_mov_b32_e32 v0, v42
	v_pk_fma_f32 v[10:11], v[36:37], v[2:3], v[10:11] op_sel_hi:[0,1,1]
	v_mov_b32_e32 v3, v42
	v_pk_fma_f32 v[10:11], v[30:31], v[0:1], v[10:11] op_sel_hi:[0,1,1]
	v_mov_b32_e32 v0, v54
	v_pk_fma_f32 v[10:11], v[30:31], v[2:3], v[10:11] op_sel:[1,0,0]
	;; [unrolled: 16-line block ×3, first 2 shown]
	v_mov_b32_e32 v3, v55
	v_pk_fma_f32 v[6:7], v[32:33], v[0:1], v[6:7] op_sel_hi:[0,1,1]
	v_pk_fma_f32 v[22:23], v[38:39], v[2:3], v[6:7] op_sel_hi:[0,1,1]
	s_andn2_b64 exec, exec, s[10:11]
	s_cbranch_execnz .LBB120_25
; %bb.26:
	s_or_b64 exec, exec, s[10:11]
.LBB120_27:
	s_or_b64 exec, exec, s[4:5]
	v_cmp_lt_u32_e32 vcc, 11, v4
	s_and_saveexec_b64 s[4:5], vcc
	s_cbranch_execz .LBB120_31
; %bb.28:
	s_mov_b64 s[10:11], 0
	v_mov_b32_e32 v31, 0
	s_mov_b64 s[14:15], 0x400
	v_bfrev_b32_e32 v32, 1
.LBB120_29:                             ; =>This Inner Loop Header: Depth=1
	v_ashrrev_i32_e32 v19, 31, v18
	v_lshl_add_u64 v[0:1], v[18:19], 2, s[12:13]
	global_load_dwordx4 v[36:39], v[20:21], off offset:48
	global_load_dwordx4 v[40:43], v[20:21], off offset:32
	;; [unrolled: 1-line block ×3, first 2 shown]
	global_load_dwordx4 v[48:51], v[20:21], off
	global_load_dwordx4 v[52:55], v[20:21], off offset:304
	global_load_dwordx4 v[56:59], v[20:21], off offset:288
	;; [unrolled: 1-line block ×12, first 2 shown]
	global_load_dword v2, v[0:1], off
	global_load_dword v3, v[0:1], off offset:16
	global_load_dword v4, v[0:1], off offset:32
	;; [unrolled: 1-line block ×3, first 2 shown]
	v_add_u32_e32 v18, 16, v18
	v_cmp_ge_i32_e32 vcc, v18, v34
	v_lshl_add_u64 v[20:21], v[20:21], 0, s[14:15]
	s_or_b64 s[10:11], vcc, s[10:11]
	s_waitcnt vmcnt(16)
	v_mov_b32_e32 v30, v48
	v_mov_b32_e32 v33, v48
	s_waitcnt vmcnt(3)
	v_subrev_u32_e32 v0, s16, v2
	s_waitcnt vmcnt(2)
	v_subrev_u32_e32 v1, s16, v3
	;; [unrolled: 2-line block ×4, first 2 shown]
	v_lshlrev_b32_e32 v0, 2, v0
	v_lshlrev_b32_e32 v2, 2, v1
	;; [unrolled: 1-line block ×4, first 2 shown]
	v_ashrrev_i32_e32 v1, 31, v0
	v_ashrrev_i32_e32 v3, 31, v2
	;; [unrolled: 1-line block ×4, first 2 shown]
	v_lshl_add_u64 v[104:105], v[0:1], 3, s[2:3]
	v_lshl_add_u64 v[106:107], v[2:3], 3, s[2:3]
	v_lshl_add_u64 v[108:109], v[4:5], 3, s[2:3]
	v_lshl_add_u64 v[110:111], v[6:7], 3, s[2:3]
	global_load_dwordx4 v[84:87], v[104:105], off
	global_load_dwordx4 v[88:91], v[104:105], off offset:16
	global_load_dwordx4 v[92:95], v[106:107], off
	global_load_dwordx4 v[96:99], v[106:107], off offset:16
	;; [unrolled: 2-line block ×4, first 2 shown]
	s_waitcnt vmcnt(7)
	v_pk_fma_f32 v[28:29], v[84:85], v[30:31], v[28:29] op_sel_hi:[0,1,1]
	v_mov_b32_e32 v30, v44
	v_pk_fma_f32 v[28:29], v[84:85], v[32:33], v[28:29] op_sel:[1,0,0]
	v_mov_b32_e32 v48, v87
	v_mov_b32_e32 v33, v44
	v_pk_fma_f32 v[28:29], v[86:87], v[30:31], v[28:29] op_sel_hi:[0,1,1]
	v_mov_b32_e32 v30, v40
	v_pk_fma_f32 v[28:29], v[48:49], v[32:33], v[28:29] op_sel_hi:[0,1,1]
	v_mov_b32_e32 v33, v40
	s_waitcnt vmcnt(6)
	v_pk_fma_f32 v[28:29], v[88:89], v[30:31], v[28:29] op_sel_hi:[0,1,1]
	v_mov_b32_e32 v30, v36
	v_pk_fma_f32 v[28:29], v[88:89], v[32:33], v[28:29] op_sel:[1,0,0]
	v_mov_b32_e32 v104, v91
	v_mov_b32_e32 v33, v36
	v_pk_fma_f32 v[28:29], v[90:91], v[30:31], v[28:29] op_sel_hi:[0,1,1]
	v_mov_b32_e32 v30, v49
	v_pk_fma_f32 v[28:29], v[104:105], v[32:33], v[28:29] op_sel_hi:[0,1,1]
	v_pk_fma_f32 v[26:27], v[84:85], v[30:31], v[26:27] op_sel_hi:[0,1,1]
	v_mov_b32_e32 v33, v49
	v_mov_b32_e32 v30, v45
	v_pk_fma_f32 v[26:27], v[84:85], v[32:33], v[26:27] op_sel:[1,0,0]
	v_mov_b32_e32 v33, v45
	v_pk_fma_f32 v[26:27], v[86:87], v[30:31], v[26:27] op_sel_hi:[0,1,1]
	v_mov_b32_e32 v30, v41
	v_pk_fma_f32 v[26:27], v[48:49], v[32:33], v[26:27] op_sel_hi:[0,1,1]
	v_mov_b32_e32 v33, v41
	v_pk_fma_f32 v[26:27], v[88:89], v[30:31], v[26:27] op_sel_hi:[0,1,1]
	v_mov_b32_e32 v30, v37
	v_pk_fma_f32 v[26:27], v[88:89], v[32:33], v[26:27] op_sel:[1,0,0]
	v_mov_b32_e32 v33, v37
	v_pk_fma_f32 v[26:27], v[90:91], v[30:31], v[26:27] op_sel_hi:[0,1,1]
	v_mov_b32_e32 v30, v50
	v_pk_fma_f32 v[26:27], v[104:105], v[32:33], v[26:27] op_sel_hi:[0,1,1]
	v_pk_fma_f32 v[24:25], v[84:85], v[30:31], v[24:25] op_sel_hi:[0,1,1]
	v_mov_b32_e32 v33, v50
	v_mov_b32_e32 v30, v46
	v_pk_fma_f32 v[24:25], v[84:85], v[32:33], v[24:25] op_sel:[1,0,0]
	v_mov_b32_e32 v33, v46
	v_pk_fma_f32 v[24:25], v[86:87], v[30:31], v[24:25] op_sel_hi:[0,1,1]
	v_mov_b32_e32 v30, v42
	v_pk_fma_f32 v[24:25], v[48:49], v[32:33], v[24:25] op_sel_hi:[0,1,1]
	v_mov_b32_e32 v33, v42
	v_pk_fma_f32 v[24:25], v[88:89], v[30:31], v[24:25] op_sel_hi:[0,1,1]
	v_mov_b32_e32 v30, v38
	v_pk_fma_f32 v[24:25], v[88:89], v[32:33], v[24:25] op_sel:[1,0,0]
	;; [unrolled: 16-line block ×3, first 2 shown]
	v_mov_b32_e32 v33, v39
	v_pk_fma_f32 v[22:23], v[90:91], v[30:31], v[22:23] op_sel_hi:[0,1,1]
	v_mov_b32_e32 v30, v64
	v_pk_fma_f32 v[22:23], v[104:105], v[32:33], v[22:23] op_sel_hi:[0,1,1]
	s_waitcnt vmcnt(5)
	v_pk_fma_f32 v[28:29], v[92:93], v[30:31], v[28:29] op_sel_hi:[0,1,1]
	v_mov_b32_e32 v33, v64
	v_mov_b32_e32 v30, v60
	v_pk_fma_f32 v[28:29], v[92:93], v[32:33], v[28:29] op_sel:[1,0,0]
	v_mov_b32_e32 v106, v95
	v_mov_b32_e32 v33, v60
	v_pk_fma_f32 v[28:29], v[94:95], v[30:31], v[28:29] op_sel_hi:[0,1,1]
	v_mov_b32_e32 v30, v56
	v_pk_fma_f32 v[28:29], v[106:107], v[32:33], v[28:29] op_sel_hi:[0,1,1]
	v_mov_b32_e32 v33, v56
	s_waitcnt vmcnt(4)
	v_pk_fma_f32 v[28:29], v[96:97], v[30:31], v[28:29] op_sel_hi:[0,1,1]
	v_mov_b32_e32 v30, v52
	v_pk_fma_f32 v[28:29], v[96:97], v[32:33], v[28:29] op_sel:[1,0,0]
	v_mov_b32_e32 v108, v99
	v_mov_b32_e32 v33, v52
	v_pk_fma_f32 v[28:29], v[98:99], v[30:31], v[28:29] op_sel_hi:[0,1,1]
	v_mov_b32_e32 v30, v65
	v_pk_fma_f32 v[28:29], v[108:109], v[32:33], v[28:29] op_sel_hi:[0,1,1]
	v_pk_fma_f32 v[26:27], v[92:93], v[30:31], v[26:27] op_sel_hi:[0,1,1]
	v_mov_b32_e32 v33, v65
	v_mov_b32_e32 v30, v61
	v_pk_fma_f32 v[26:27], v[92:93], v[32:33], v[26:27] op_sel:[1,0,0]
	v_mov_b32_e32 v33, v61
	v_pk_fma_f32 v[26:27], v[94:95], v[30:31], v[26:27] op_sel_hi:[0,1,1]
	v_mov_b32_e32 v30, v57
	v_pk_fma_f32 v[26:27], v[106:107], v[32:33], v[26:27] op_sel_hi:[0,1,1]
	v_mov_b32_e32 v33, v57
	v_pk_fma_f32 v[26:27], v[96:97], v[30:31], v[26:27] op_sel_hi:[0,1,1]
	v_mov_b32_e32 v30, v53
	v_pk_fma_f32 v[26:27], v[96:97], v[32:33], v[26:27] op_sel:[1,0,0]
	v_mov_b32_e32 v33, v53
	v_pk_fma_f32 v[26:27], v[98:99], v[30:31], v[26:27] op_sel_hi:[0,1,1]
	v_mov_b32_e32 v30, v66
	v_pk_fma_f32 v[26:27], v[108:109], v[32:33], v[26:27] op_sel_hi:[0,1,1]
	v_pk_fma_f32 v[24:25], v[92:93], v[30:31], v[24:25] op_sel_hi:[0,1,1]
	v_mov_b32_e32 v33, v66
	v_mov_b32_e32 v30, v62
	v_pk_fma_f32 v[24:25], v[92:93], v[32:33], v[24:25] op_sel:[1,0,0]
	v_mov_b32_e32 v33, v62
	v_pk_fma_f32 v[24:25], v[94:95], v[30:31], v[24:25] op_sel_hi:[0,1,1]
	v_mov_b32_e32 v30, v58
	v_pk_fma_f32 v[24:25], v[106:107], v[32:33], v[24:25] op_sel_hi:[0,1,1]
	v_mov_b32_e32 v33, v58
	v_pk_fma_f32 v[24:25], v[96:97], v[30:31], v[24:25] op_sel_hi:[0,1,1]
	v_mov_b32_e32 v30, v54
	v_pk_fma_f32 v[24:25], v[96:97], v[32:33], v[24:25] op_sel:[1,0,0]
	;; [unrolled: 16-line block ×3, first 2 shown]
	v_mov_b32_e32 v33, v55
	v_pk_fma_f32 v[22:23], v[98:99], v[30:31], v[22:23] op_sel_hi:[0,1,1]
	v_mov_b32_e32 v30, v80
	v_pk_fma_f32 v[22:23], v[108:109], v[32:33], v[22:23] op_sel_hi:[0,1,1]
	s_waitcnt vmcnt(3)
	v_pk_fma_f32 v[28:29], v[100:101], v[30:31], v[28:29] op_sel_hi:[0,1,1]
	v_mov_b32_e32 v33, v80
	v_mov_b32_e32 v30, v76
	v_pk_fma_f32 v[28:29], v[100:101], v[32:33], v[28:29] op_sel:[1,0,0]
	v_mov_b32_e32 v110, v103
	v_mov_b32_e32 v33, v76
	v_pk_fma_f32 v[28:29], v[102:103], v[30:31], v[28:29] op_sel_hi:[0,1,1]
	v_mov_b32_e32 v30, v72
	v_pk_fma_f32 v[28:29], v[110:111], v[32:33], v[28:29] op_sel_hi:[0,1,1]
	v_mov_b32_e32 v33, v72
	s_waitcnt vmcnt(2)
	v_pk_fma_f32 v[28:29], v[8:9], v[30:31], v[28:29] op_sel_hi:[0,1,1]
	v_mov_b32_e32 v30, v68
	v_pk_fma_f32 v[28:29], v[8:9], v[32:33], v[28:29] op_sel:[1,0,0]
	v_mov_b32_e32 v112, v11
	v_mov_b32_e32 v33, v68
	v_pk_fma_f32 v[28:29], v[10:11], v[30:31], v[28:29] op_sel_hi:[0,1,1]
	v_mov_b32_e32 v30, v81
	v_pk_fma_f32 v[28:29], v[112:113], v[32:33], v[28:29] op_sel_hi:[0,1,1]
	v_pk_fma_f32 v[26:27], v[100:101], v[30:31], v[26:27] op_sel_hi:[0,1,1]
	v_mov_b32_e32 v33, v81
	v_mov_b32_e32 v30, v77
	v_pk_fma_f32 v[26:27], v[100:101], v[32:33], v[26:27] op_sel:[1,0,0]
	v_mov_b32_e32 v33, v77
	v_pk_fma_f32 v[26:27], v[102:103], v[30:31], v[26:27] op_sel_hi:[0,1,1]
	v_mov_b32_e32 v30, v73
	v_pk_fma_f32 v[26:27], v[110:111], v[32:33], v[26:27] op_sel_hi:[0,1,1]
	v_mov_b32_e32 v33, v73
	v_pk_fma_f32 v[26:27], v[8:9], v[30:31], v[26:27] op_sel_hi:[0,1,1]
	v_mov_b32_e32 v30, v69
	v_pk_fma_f32 v[26:27], v[8:9], v[32:33], v[26:27] op_sel:[1,0,0]
	v_mov_b32_e32 v33, v69
	v_pk_fma_f32 v[26:27], v[10:11], v[30:31], v[26:27] op_sel_hi:[0,1,1]
	v_mov_b32_e32 v30, v82
	v_pk_fma_f32 v[26:27], v[112:113], v[32:33], v[26:27] op_sel_hi:[0,1,1]
	v_pk_fma_f32 v[24:25], v[100:101], v[30:31], v[24:25] op_sel_hi:[0,1,1]
	v_mov_b32_e32 v33, v82
	v_mov_b32_e32 v30, v78
	v_pk_fma_f32 v[24:25], v[100:101], v[32:33], v[24:25] op_sel:[1,0,0]
	v_mov_b32_e32 v33, v78
	v_pk_fma_f32 v[24:25], v[102:103], v[30:31], v[24:25] op_sel_hi:[0,1,1]
	v_mov_b32_e32 v30, v74
	v_pk_fma_f32 v[24:25], v[110:111], v[32:33], v[24:25] op_sel_hi:[0,1,1]
	v_mov_b32_e32 v33, v74
	v_pk_fma_f32 v[24:25], v[8:9], v[30:31], v[24:25] op_sel_hi:[0,1,1]
	v_mov_b32_e32 v30, v70
	v_pk_fma_f32 v[24:25], v[8:9], v[32:33], v[24:25] op_sel:[1,0,0]
	;; [unrolled: 16-line block ×3, first 2 shown]
	v_mov_b32_e32 v33, v71
	v_pk_fma_f32 v[8:9], v[10:11], v[30:31], v[8:9] op_sel_hi:[0,1,1]
	v_mov_b32_e32 v30, v130
	v_pk_fma_f32 v[8:9], v[112:113], v[32:33], v[8:9] op_sel_hi:[0,1,1]
	s_waitcnt vmcnt(1)
	v_pk_fma_f32 v[10:11], v[4:5], v[30:31], v[28:29] op_sel_hi:[0,1,1]
	v_mov_b32_e32 v33, v130
	v_mov_b32_e32 v30, v126
	v_pk_fma_f32 v[10:11], v[4:5], v[32:33], v[10:11] op_sel:[1,0,0]
	v_mov_b32_e32 v114, v7
	v_mov_b32_e32 v33, v126
	v_pk_fma_f32 v[10:11], v[6:7], v[30:31], v[10:11] op_sel_hi:[0,1,1]
	v_mov_b32_e32 v30, v122
	v_pk_fma_f32 v[10:11], v[114:115], v[32:33], v[10:11] op_sel_hi:[0,1,1]
	v_mov_b32_e32 v33, v122
	s_waitcnt vmcnt(0)
	v_pk_fma_f32 v[10:11], v[0:1], v[30:31], v[10:11] op_sel_hi:[0,1,1]
	v_mov_b32_e32 v30, v118
	v_pk_fma_f32 v[10:11], v[0:1], v[32:33], v[10:11] op_sel:[1,0,0]
	v_mov_b32_e32 v116, v3
	v_mov_b32_e32 v33, v118
	v_pk_fma_f32 v[10:11], v[2:3], v[30:31], v[10:11] op_sel_hi:[0,1,1]
	v_mov_b32_e32 v30, v131
	v_pk_fma_f32 v[28:29], v[116:117], v[32:33], v[10:11] op_sel_hi:[0,1,1]
	v_pk_fma_f32 v[10:11], v[4:5], v[30:31], v[26:27] op_sel_hi:[0,1,1]
	v_mov_b32_e32 v33, v131
	v_mov_b32_e32 v30, v127
	v_pk_fma_f32 v[10:11], v[4:5], v[32:33], v[10:11] op_sel:[1,0,0]
	v_mov_b32_e32 v33, v127
	v_pk_fma_f32 v[10:11], v[6:7], v[30:31], v[10:11] op_sel_hi:[0,1,1]
	v_mov_b32_e32 v30, v123
	v_pk_fma_f32 v[10:11], v[114:115], v[32:33], v[10:11] op_sel_hi:[0,1,1]
	v_mov_b32_e32 v33, v123
	v_pk_fma_f32 v[10:11], v[0:1], v[30:31], v[10:11] op_sel_hi:[0,1,1]
	v_mov_b32_e32 v30, v119
	v_pk_fma_f32 v[10:11], v[0:1], v[32:33], v[10:11] op_sel:[1,0,0]
	v_mov_b32_e32 v33, v119
	v_pk_fma_f32 v[10:11], v[2:3], v[30:31], v[10:11] op_sel_hi:[0,1,1]
	v_mov_b32_e32 v30, v132
	v_pk_fma_f32 v[26:27], v[116:117], v[32:33], v[10:11] op_sel_hi:[0,1,1]
	v_pk_fma_f32 v[10:11], v[4:5], v[30:31], v[24:25] op_sel_hi:[0,1,1]
	v_mov_b32_e32 v33, v132
	v_mov_b32_e32 v30, v128
	v_pk_fma_f32 v[10:11], v[4:5], v[32:33], v[10:11] op_sel:[1,0,0]
	v_mov_b32_e32 v33, v128
	v_pk_fma_f32 v[10:11], v[6:7], v[30:31], v[10:11] op_sel_hi:[0,1,1]
	v_mov_b32_e32 v30, v124
	v_pk_fma_f32 v[10:11], v[114:115], v[32:33], v[10:11] op_sel_hi:[0,1,1]
	v_mov_b32_e32 v33, v124
	v_pk_fma_f32 v[10:11], v[0:1], v[30:31], v[10:11] op_sel_hi:[0,1,1]
	v_mov_b32_e32 v30, v120
	v_pk_fma_f32 v[10:11], v[0:1], v[32:33], v[10:11] op_sel:[1,0,0]
	;; [unrolled: 16-line block ×3, first 2 shown]
	v_mov_b32_e32 v33, v121
	v_pk_fma_f32 v[0:1], v[2:3], v[30:31], v[0:1] op_sel_hi:[0,1,1]
	v_pk_fma_f32 v[22:23], v[116:117], v[32:33], v[0:1] op_sel_hi:[0,1,1]
	s_andn2_b64 exec, exec, s[10:11]
	s_cbranch_execnz .LBB120_29
; %bb.30:
	s_or_b64 exec, exec, s[10:11]
.LBB120_31:
	s_or_b64 exec, exec, s[4:5]
.LBB120_32:
	s_or_b64 exec, exec, s[8:9]
.LBB120_33:
	v_mov_b32_dpp v6, v27 row_shr:1 row_mask:0xf bank_mask:0xf
	v_add_f32_e32 v7, v27, v6
	v_mov_b32_dpp v0, v28 row_shr:1 row_mask:0xf bank_mask:0xf
	v_mov_b32_dpp v6, v24 row_shr:1 row_mask:0xf bank_mask:0xf
	v_add_f32_e32 v9, v24, v6
	v_mov_b32_dpp v2, v29 row_shr:1 row_mask:0xf bank_mask:0xf
	;; [unrolled: 3-line block ×3, first 2 shown]
	v_mov_b32_dpp v6, v22 row_shr:1 row_mask:0xf bank_mask:0xf
	v_add_f32_e32 v21, v22, v6
	v_add_f32_e32 v0, v28, v0
	v_mov_b32_dpp v6, v23 row_shr:1 row_mask:0xf bank_mask:0xf
	v_add_f32_e32 v2, v29, v2
	v_add_f32_e32 v4, v26, v4
	v_add_f32_e32 v23, v23, v6
	v_mov_b32_dpp v1, v0 row_shr:2 row_mask:0xf bank_mask:0xf
	v_mov_b32_dpp v3, v2 row_shr:2 row_mask:0xf bank_mask:0xf
	v_mov_b32_dpp v5, v4 row_shr:2 row_mask:0xf bank_mask:0xf
	v_mov_b32_dpp v8, v7 row_shr:2 row_mask:0xf bank_mask:0xf
	v_mov_b32_dpp v10, v9 row_shr:2 row_mask:0xf bank_mask:0xf
	v_mov_b32_dpp v19, v11 row_shr:2 row_mask:0xf bank_mask:0xf
	v_mov_b32_dpp v22, v21 row_shr:2 row_mask:0xf bank_mask:0xf
	v_mov_b32_dpp v24, v23 row_shr:2 row_mask:0xf bank_mask:0xf
	v_cmp_eq_u32_e32 vcc, 3, v17
	s_and_b64 exec, exec, vcc
	s_cbranch_execz .LBB120_6
; %bb.34:
	s_load_dwordx2 s[0:1], s[0:1], 0x50
	v_cmp_eq_f32_e32 vcc, 0, v14
	s_xor_b64 s[2:3], s[6:7], -1
	v_add_f32_e32 v6, v0, v1
	v_add_f32_e32 v20, v2, v3
	;; [unrolled: 1-line block ×8, first 2 shown]
	s_and_b64 s[2:3], vcc, s[2:3]
	v_lshlrev_b32_e32 v16, 2, v16
	s_and_saveexec_b64 s[4:5], s[2:3]
	s_xor_b64 s[2:3], exec, s[4:5]
	s_cbranch_execz .LBB120_36
; %bb.35:
	v_xor_b32_e32 v22, 0x80000000, v13
	v_mov_b32_e32 v23, v12
	v_pk_mul_f32 v[14:15], v[20:21], v[22:23] op_sel_hi:[0,1]
	v_ashrrev_i32_e32 v17, 31, v16
	v_pk_fma_f32 v[14:15], v[12:13], v[6:7], v[14:15] op_sel_hi:[1,0,1]
	v_pk_mul_f32 v[6:7], v[18:19], v[22:23] op_sel_hi:[0,1]
	s_waitcnt lgkmcnt(0)
	v_lshl_add_u64 v[24:25], v[16:17], 3, s[0:1]
	v_pk_fma_f32 v[16:17], v[12:13], v[4:5], v[6:7] op_sel_hi:[1,0,1]
	v_pk_mul_f32 v[4:5], v[10:11], v[22:23] op_sel_hi:[0,1]
	v_pk_fma_f32 v[2:3], v[12:13], v[2:3], v[4:5] op_sel_hi:[1,0,1]
	v_pk_mul_f32 v[4:5], v[8:9], v[22:23] op_sel_hi:[0,1]
	v_pk_fma_f32 v[4:5], v[12:13], v[0:1], v[4:5] op_sel_hi:[1,0,1]
	global_store_dwordx4 v[24:25], v[14:17], off
	global_store_dwordx4 v[24:25], v[2:5], off offset:16
                                        ; implicit-def: $vgpr6
                                        ; implicit-def: $vgpr20
                                        ; implicit-def: $vgpr4
                                        ; implicit-def: $vgpr18
                                        ; implicit-def: $vgpr2
                                        ; implicit-def: $vgpr10
                                        ; implicit-def: $vgpr0
                                        ; implicit-def: $vgpr8
                                        ; implicit-def: $vgpr12_vgpr13
                                        ; implicit-def: $vgpr14_vgpr15
                                        ; implicit-def: $vgpr16
.LBB120_36:
	s_andn2_saveexec_b64 s[2:3], s[2:3]
	s_cbranch_execz .LBB120_6
; %bb.37:
	v_ashrrev_i32_e32 v17, 31, v16
	s_waitcnt lgkmcnt(0)
	v_lshl_add_u64 v[16:17], v[16:17], 3, s[0:1]
	global_load_dwordx4 v[22:25], v[16:17], off
	global_load_dwordx4 v[26:29], v[16:17], off offset:16
	v_xor_b32_e32 v30, 0x80000000, v13
	v_mov_b32_e32 v31, v12
	v_pk_mul_f32 v[20:21], v[20:21], v[30:31] op_sel_hi:[0,1]
	v_pk_mul_f32 v[18:19], v[18:19], v[30:31] op_sel_hi:[0,1]
	;; [unrolled: 1-line block ×4, first 2 shown]
	v_pk_fma_f32 v[6:7], v[12:13], v[6:7], v[20:21] op_sel_hi:[1,0,1]
	v_pk_fma_f32 v[4:5], v[12:13], v[4:5], v[18:19] op_sel_hi:[1,0,1]
	v_xor_b32_e32 v32, 0x80000000, v15
	v_mov_b32_e32 v33, v14
	v_pk_fma_f32 v[2:3], v[12:13], v[2:3], v[10:11] op_sel_hi:[1,0,1]
	v_pk_fma_f32 v[0:1], v[12:13], v[0:1], v[8:9] op_sel_hi:[1,0,1]
	s_waitcnt vmcnt(1)
	v_pk_fma_f32 v[6:7], v[14:15], v[22:23], v[6:7] op_sel_hi:[1,0,1]
	v_pk_fma_f32 v[4:5], v[14:15], v[24:25], v[4:5] op_sel_hi:[1,0,1]
	v_mov_b32_e32 v8, v25
	s_waitcnt vmcnt(0)
	v_pk_fma_f32 v[10:11], v[14:15], v[26:27], v[2:3] op_sel_hi:[1,0,1]
	v_pk_fma_f32 v[12:13], v[14:15], v[28:29], v[0:1] op_sel_hi:[1,0,1]
	v_mov_b32_e32 v14, v29
	v_pk_fma_f32 v[0:1], v[32:33], v[22:23], v[6:7] op_sel:[0,1,0]
	v_pk_fma_f32 v[2:3], v[32:33], v[8:9], v[4:5] op_sel_hi:[1,0,1]
	v_pk_fma_f32 v[4:5], v[32:33], v[26:27], v[10:11] op_sel:[0,1,0]
	v_pk_fma_f32 v[6:7], v[32:33], v[14:15], v[12:13] op_sel_hi:[1,0,1]
	global_store_dwordx4 v[16:17], v[0:3], off
	global_store_dwordx4 v[16:17], v[4:7], off offset:16
	s_endpgm
	.section	.rodata,"a",@progbits
	.p2align	6, 0x0
	.amdhsa_kernel _ZN9rocsparseL18bsrxmvn_4x4_kernelILj128ELj4E21rocsparse_complex_numIfEiifS2_S2_EEvT3_20rocsparse_direction_NS_24const_host_device_scalarIT1_EES3_PKS3_PKT2_SC_S9_PKT4_PKT5_S7_PT6_21rocsparse_index_base_b
		.amdhsa_group_segment_fixed_size 0
		.amdhsa_private_segment_fixed_size 0
		.amdhsa_kernarg_size 96
		.amdhsa_user_sgpr_count 2
		.amdhsa_user_sgpr_dispatch_ptr 0
		.amdhsa_user_sgpr_queue_ptr 0
		.amdhsa_user_sgpr_kernarg_segment_ptr 1
		.amdhsa_user_sgpr_dispatch_id 0
		.amdhsa_user_sgpr_kernarg_preload_length 0
		.amdhsa_user_sgpr_kernarg_preload_offset 0
		.amdhsa_user_sgpr_private_segment_size 0
		.amdhsa_uses_dynamic_stack 0
		.amdhsa_enable_private_segment 0
		.amdhsa_system_sgpr_workgroup_id_x 1
		.amdhsa_system_sgpr_workgroup_id_y 0
		.amdhsa_system_sgpr_workgroup_id_z 0
		.amdhsa_system_sgpr_workgroup_info 0
		.amdhsa_system_vgpr_workitem_id 0
		.amdhsa_next_free_vgpr 134
		.amdhsa_next_free_sgpr 20
		.amdhsa_accum_offset 136
		.amdhsa_reserve_vcc 1
		.amdhsa_float_round_mode_32 0
		.amdhsa_float_round_mode_16_64 0
		.amdhsa_float_denorm_mode_32 3
		.amdhsa_float_denorm_mode_16_64 3
		.amdhsa_dx10_clamp 1
		.amdhsa_ieee_mode 1
		.amdhsa_fp16_overflow 0
		.amdhsa_tg_split 0
		.amdhsa_exception_fp_ieee_invalid_op 0
		.amdhsa_exception_fp_denorm_src 0
		.amdhsa_exception_fp_ieee_div_zero 0
		.amdhsa_exception_fp_ieee_overflow 0
		.amdhsa_exception_fp_ieee_underflow 0
		.amdhsa_exception_fp_ieee_inexact 0
		.amdhsa_exception_int_div_zero 0
	.end_amdhsa_kernel
	.section	.text._ZN9rocsparseL18bsrxmvn_4x4_kernelILj128ELj4E21rocsparse_complex_numIfEiifS2_S2_EEvT3_20rocsparse_direction_NS_24const_host_device_scalarIT1_EES3_PKS3_PKT2_SC_S9_PKT4_PKT5_S7_PT6_21rocsparse_index_base_b,"axG",@progbits,_ZN9rocsparseL18bsrxmvn_4x4_kernelILj128ELj4E21rocsparse_complex_numIfEiifS2_S2_EEvT3_20rocsparse_direction_NS_24const_host_device_scalarIT1_EES3_PKS3_PKT2_SC_S9_PKT4_PKT5_S7_PT6_21rocsparse_index_base_b,comdat
.Lfunc_end120:
	.size	_ZN9rocsparseL18bsrxmvn_4x4_kernelILj128ELj4E21rocsparse_complex_numIfEiifS2_S2_EEvT3_20rocsparse_direction_NS_24const_host_device_scalarIT1_EES3_PKS3_PKT2_SC_S9_PKT4_PKT5_S7_PT6_21rocsparse_index_base_b, .Lfunc_end120-_ZN9rocsparseL18bsrxmvn_4x4_kernelILj128ELj4E21rocsparse_complex_numIfEiifS2_S2_EEvT3_20rocsparse_direction_NS_24const_host_device_scalarIT1_EES3_PKS3_PKT2_SC_S9_PKT4_PKT5_S7_PT6_21rocsparse_index_base_b
                                        ; -- End function
	.set _ZN9rocsparseL18bsrxmvn_4x4_kernelILj128ELj4E21rocsparse_complex_numIfEiifS2_S2_EEvT3_20rocsparse_direction_NS_24const_host_device_scalarIT1_EES3_PKS3_PKT2_SC_S9_PKT4_PKT5_S7_PT6_21rocsparse_index_base_b.num_vgpr, 134
	.set _ZN9rocsparseL18bsrxmvn_4x4_kernelILj128ELj4E21rocsparse_complex_numIfEiifS2_S2_EEvT3_20rocsparse_direction_NS_24const_host_device_scalarIT1_EES3_PKS3_PKT2_SC_S9_PKT4_PKT5_S7_PT6_21rocsparse_index_base_b.num_agpr, 0
	.set _ZN9rocsparseL18bsrxmvn_4x4_kernelILj128ELj4E21rocsparse_complex_numIfEiifS2_S2_EEvT3_20rocsparse_direction_NS_24const_host_device_scalarIT1_EES3_PKS3_PKT2_SC_S9_PKT4_PKT5_S7_PT6_21rocsparse_index_base_b.numbered_sgpr, 20
	.set _ZN9rocsparseL18bsrxmvn_4x4_kernelILj128ELj4E21rocsparse_complex_numIfEiifS2_S2_EEvT3_20rocsparse_direction_NS_24const_host_device_scalarIT1_EES3_PKS3_PKT2_SC_S9_PKT4_PKT5_S7_PT6_21rocsparse_index_base_b.num_named_barrier, 0
	.set _ZN9rocsparseL18bsrxmvn_4x4_kernelILj128ELj4E21rocsparse_complex_numIfEiifS2_S2_EEvT3_20rocsparse_direction_NS_24const_host_device_scalarIT1_EES3_PKS3_PKT2_SC_S9_PKT4_PKT5_S7_PT6_21rocsparse_index_base_b.private_seg_size, 0
	.set _ZN9rocsparseL18bsrxmvn_4x4_kernelILj128ELj4E21rocsparse_complex_numIfEiifS2_S2_EEvT3_20rocsparse_direction_NS_24const_host_device_scalarIT1_EES3_PKS3_PKT2_SC_S9_PKT4_PKT5_S7_PT6_21rocsparse_index_base_b.uses_vcc, 1
	.set _ZN9rocsparseL18bsrxmvn_4x4_kernelILj128ELj4E21rocsparse_complex_numIfEiifS2_S2_EEvT3_20rocsparse_direction_NS_24const_host_device_scalarIT1_EES3_PKS3_PKT2_SC_S9_PKT4_PKT5_S7_PT6_21rocsparse_index_base_b.uses_flat_scratch, 0
	.set _ZN9rocsparseL18bsrxmvn_4x4_kernelILj128ELj4E21rocsparse_complex_numIfEiifS2_S2_EEvT3_20rocsparse_direction_NS_24const_host_device_scalarIT1_EES3_PKS3_PKT2_SC_S9_PKT4_PKT5_S7_PT6_21rocsparse_index_base_b.has_dyn_sized_stack, 0
	.set _ZN9rocsparseL18bsrxmvn_4x4_kernelILj128ELj4E21rocsparse_complex_numIfEiifS2_S2_EEvT3_20rocsparse_direction_NS_24const_host_device_scalarIT1_EES3_PKS3_PKT2_SC_S9_PKT4_PKT5_S7_PT6_21rocsparse_index_base_b.has_recursion, 0
	.set _ZN9rocsparseL18bsrxmvn_4x4_kernelILj128ELj4E21rocsparse_complex_numIfEiifS2_S2_EEvT3_20rocsparse_direction_NS_24const_host_device_scalarIT1_EES3_PKS3_PKT2_SC_S9_PKT4_PKT5_S7_PT6_21rocsparse_index_base_b.has_indirect_call, 0
	.section	.AMDGPU.csdata,"",@progbits
; Kernel info:
; codeLenInByte = 6496
; TotalNumSgprs: 26
; NumVgprs: 134
; NumAgprs: 0
; TotalNumVgprs: 134
; ScratchSize: 0
; MemoryBound: 0
; FloatMode: 240
; IeeeMode: 1
; LDSByteSize: 0 bytes/workgroup (compile time only)
; SGPRBlocks: 3
; VGPRBlocks: 16
; NumSGPRsForWavesPerEU: 26
; NumVGPRsForWavesPerEU: 134
; AccumOffset: 136
; Occupancy: 3
; WaveLimiterHint : 1
; COMPUTE_PGM_RSRC2:SCRATCH_EN: 0
; COMPUTE_PGM_RSRC2:USER_SGPR: 2
; COMPUTE_PGM_RSRC2:TRAP_HANDLER: 0
; COMPUTE_PGM_RSRC2:TGID_X_EN: 1
; COMPUTE_PGM_RSRC2:TGID_Y_EN: 0
; COMPUTE_PGM_RSRC2:TGID_Z_EN: 0
; COMPUTE_PGM_RSRC2:TIDIG_COMP_CNT: 0
; COMPUTE_PGM_RSRC3_GFX90A:ACCUM_OFFSET: 33
; COMPUTE_PGM_RSRC3_GFX90A:TG_SPLIT: 0
	.section	.text._ZN9rocsparseL18bsrxmvn_4x4_kernelILj128ELj8E21rocsparse_complex_numIfEiifS2_S2_EEvT3_20rocsparse_direction_NS_24const_host_device_scalarIT1_EES3_PKS3_PKT2_SC_S9_PKT4_PKT5_S7_PT6_21rocsparse_index_base_b,"axG",@progbits,_ZN9rocsparseL18bsrxmvn_4x4_kernelILj128ELj8E21rocsparse_complex_numIfEiifS2_S2_EEvT3_20rocsparse_direction_NS_24const_host_device_scalarIT1_EES3_PKS3_PKT2_SC_S9_PKT4_PKT5_S7_PT6_21rocsparse_index_base_b,comdat
	.globl	_ZN9rocsparseL18bsrxmvn_4x4_kernelILj128ELj8E21rocsparse_complex_numIfEiifS2_S2_EEvT3_20rocsparse_direction_NS_24const_host_device_scalarIT1_EES3_PKS3_PKT2_SC_S9_PKT4_PKT5_S7_PT6_21rocsparse_index_base_b ; -- Begin function _ZN9rocsparseL18bsrxmvn_4x4_kernelILj128ELj8E21rocsparse_complex_numIfEiifS2_S2_EEvT3_20rocsparse_direction_NS_24const_host_device_scalarIT1_EES3_PKS3_PKT2_SC_S9_PKT4_PKT5_S7_PT6_21rocsparse_index_base_b
	.p2align	8
	.type	_ZN9rocsparseL18bsrxmvn_4x4_kernelILj128ELj8E21rocsparse_complex_numIfEiifS2_S2_EEvT3_20rocsparse_direction_NS_24const_host_device_scalarIT1_EES3_PKS3_PKT2_SC_S9_PKT4_PKT5_S7_PT6_21rocsparse_index_base_b,@function
_ZN9rocsparseL18bsrxmvn_4x4_kernelILj128ELj8E21rocsparse_complex_numIfEiifS2_S2_EEvT3_20rocsparse_direction_NS_24const_host_device_scalarIT1_EES3_PKS3_PKT2_SC_S9_PKT4_PKT5_S7_PT6_21rocsparse_index_base_b: ; @_ZN9rocsparseL18bsrxmvn_4x4_kernelILj128ELj8E21rocsparse_complex_numIfEiifS2_S2_EEvT3_20rocsparse_direction_NS_24const_host_device_scalarIT1_EES3_PKS3_PKT2_SC_S9_PKT4_PKT5_S7_PT6_21rocsparse_index_base_b
; %bb.0:
	s_load_dwordx2 s[4:5], s[0:1], 0x8
	s_load_dwordx2 s[16:17], s[0:1], 0x58
	s_add_u32 s3, s0, 8
	s_addc_u32 s8, s1, 0
	s_load_dwordx2 s[6:7], s[0:1], 0x48
	s_add_u32 s9, s0, 0x48
	s_addc_u32 s10, s1, 0
	s_waitcnt lgkmcnt(0)
	s_bitcmp1_b32 s17, 0
	s_cselect_b32 s3, s3, s4
	s_cselect_b32 s5, s8, s5
	v_mov_b32_e32 v2, s3
	s_cselect_b32 s3, s10, s7
	s_cselect_b32 s4, s9, s6
	v_mov_b32_e32 v3, s5
	v_mov_b32_e32 v4, s4
	;; [unrolled: 1-line block ×3, first 2 shown]
	flat_load_dwordx2 v[12:13], v[2:3]
	flat_load_dwordx2 v[14:15], v[4:5]
	s_waitcnt vmcnt(0) lgkmcnt(0)
	v_cmp_neq_f32_e32 vcc, 0, v12
	v_cmp_neq_f32_e64 s[4:5], 0, v13
	v_cmp_neq_f32_e64 s[8:9], 1.0, v14
	v_cmp_neq_f32_e64 s[6:7], 0, v15
	s_or_b64 s[4:5], vcc, s[4:5]
	s_or_b64 s[8:9], s[8:9], s[6:7]
	s_or_b64 s[4:5], s[4:5], s[8:9]
	s_and_saveexec_b64 s[8:9], s[4:5]
	s_cbranch_execz .LBB121_6
; %bb.1:
	s_load_dwordx2 s[8:9], s[0:1], 0x18
	s_load_dwordx2 s[4:5], s[0:1], 0x0
	v_lshrrev_b32_e32 v1, 3, v0
	v_lshl_or_b32 v16, s2, 4, v1
	s_mov_b64 s[2:3], 0
	s_waitcnt lgkmcnt(0)
	s_cmp_lg_u64 s[8:9], 0
	s_cbranch_scc0 .LBB121_7
; %bb.2:
	s_load_dword s10, s[0:1], 0x10
                                        ; implicit-def: $vgpr1
	s_waitcnt lgkmcnt(0)
	v_cmp_gt_i32_e32 vcc, s10, v16
	s_and_saveexec_b64 s[10:11], vcc
	s_xor_b64 s[10:11], exec, s[10:11]
	s_cbranch_execz .LBB121_4
; %bb.3:
	v_ashrrev_i32_e32 v17, 31, v16
	v_lshl_add_u64 v[2:3], v[16:17], 2, s[8:9]
	global_load_dword v1, v[2:3], off
	s_mov_b64 s[2:3], exec
	s_waitcnt vmcnt(0)
	v_subrev_u32_e32 v1, s16, v1
.LBB121_4:
	s_or_b64 exec, exec, s[10:11]
	s_branch .LBB121_8
.LBB121_5:
	v_cmp_gt_i32_e32 vcc, s4, v16
	s_andn2_b64 s[2:3], s[2:3], exec
	s_and_b64 s[8:9], vcc, exec
	s_or_b64 s[2:3], s[2:3], s[8:9]
	s_and_b64 exec, exec, s[2:3]
	s_cbranch_execnz .LBB121_9
.LBB121_6:
	s_endpgm
.LBB121_7:
                                        ; implicit-def: $vgpr1
	s_cbranch_execnz .LBB121_5
.LBB121_8:
	v_mov_b32_e32 v16, v1
	s_and_b64 exec, exec, s[2:3]
	s_cbranch_execz .LBB121_6
.LBB121_9:
	s_load_dwordx8 s[8:15], s[0:1], 0x20
	v_ashrrev_i32_e32 v17, 31, v16
	v_lshlrev_b64 v[2:3], 2, v[16:17]
	s_load_dwordx2 s[2:3], s[0:1], 0x40
	v_and_b32_e32 v17, 7, v0
	s_waitcnt lgkmcnt(0)
	v_lshl_add_u64 v[4:5], s[8:9], 0, v[2:3]
	s_cmp_eq_u64 s[10:11], 0
	global_load_dword v10, v[4:5], off
	v_lshl_add_u64 v[4:5], v[4:5], 0, 4
	v_lshl_add_u64 v[2:3], s[10:11], 0, v[2:3]
	s_cselect_b64 vcc, -1, 0
	v_cndmask_b32_e32 v3, v3, v5, vcc
	v_cndmask_b32_e32 v2, v2, v4, vcc
	global_load_dword v1, v[2:3], off
	s_cmp_eq_u32 s5, 1
	s_waitcnt vmcnt(1)
	v_subrev_u32_e32 v0, s16, v10
	v_add_u32_e32 v18, v0, v17
	v_ashrrev_i32_e32 v19, 31, v18
	s_waitcnt vmcnt(0)
	v_subrev_u32_e32 v34, s16, v1
	v_lshlrev_b64 v[0:1], 6, v[18:19]
	v_lshl_add_u64 v[20:21], s[14:15], 0, v[0:1]
	v_cmp_lt_i32_e64 s[4:5], v18, v34
	s_cbranch_scc1 .LBB121_21
; %bb.10:
	v_mov_b32_e32 v29, 0
	v_mov_b32_e32 v28, 0
	;; [unrolled: 1-line block ×8, first 2 shown]
	s_and_saveexec_b64 s[8:9], s[4:5]
	s_cbranch_execz .LBB121_20
; %bb.11:
	v_add_u32_e32 v0, v10, v17
	v_subrev_u32_e32 v0, s16, v0
	v_add_u32_e32 v0, 8, v0
	v_max_i32_e32 v0, v0, v34
	v_not_b32_e32 v1, v10
	v_add3_u32 v0, s16, v0, v1
	v_sub_u32_e32 v8, v0, v17
	v_mov_b32_e32 v5, 0
	v_and_b32_e32 v0, 24, v8
	v_mov_b32_e32 v4, v5
	v_cmp_ne_u32_e32 vcc, 24, v0
	v_mov_b64_e32 v[28:29], v[4:5]
	v_mov_b64_e32 v[26:27], v[4:5]
	v_mov_b64_e32 v[24:25], v[4:5]
	v_mov_b64_e32 v[22:23], v[4:5]
	v_mov_b64_e32 v[2:3], v[20:21]
	v_mov_b32_e32 v0, v18
	s_and_saveexec_b64 s[10:11], vcc
	s_cbranch_execz .LBB121_15
; %bb.12:
	v_lshrrev_b32_e32 v0, 3, v8
	v_add_u32_e32 v0, 1, v0
	v_and_b32_e32 v0, 3, v0
	v_sub_u32_e32 v9, 0, v0
	s_mov_b64 s[14:15], 0
	s_mov_b64 s[18:19], 0x200
	v_bfrev_b32_e32 v6, 1
	v_mov_b32_e32 v0, v18
	v_mov_b64_e32 v[2:3], v[20:21]
	v_mov_b32_e32 v22, v5
	v_mov_b32_e32 v23, v5
	;; [unrolled: 1-line block ×8, first 2 shown]
.LBB121_13:                             ; =>This Inner Loop Header: Depth=1
	v_ashrrev_i32_e32 v1, 31, v0
	v_lshl_add_u64 v[30:31], v[0:1], 2, s[12:13]
	global_load_dword v1, v[30:31], off
	global_load_dwordx4 v[44:47], v[2:3], off offset:16
	global_load_dwordx4 v[48:51], v[2:3], off
	v_add_co_u32_e32 v9, vcc, 1, v9
	v_add_u32_e32 v0, 8, v0
	s_or_b64 s[14:15], vcc, s[14:15]
	s_waitcnt vmcnt(2)
	v_subrev_u32_e32 v1, s16, v1
	v_lshlrev_b32_e32 v30, 2, v1
	v_ashrrev_i32_e32 v31, 31, v30
	v_lshl_add_u64 v[40:41], v[30:31], 3, s[2:3]
	global_load_dwordx4 v[30:33], v[40:41], off
	global_load_dwordx4 v[36:39], v[40:41], off offset:16
	global_load_dwordx4 v[52:55], v[2:3], off offset:32
	;; [unrolled: 1-line block ×3, first 2 shown]
	s_waitcnt vmcnt(4)
	v_mov_b32_e32 v4, v48
	v_mov_b32_e32 v7, v48
	v_lshl_add_u64 v[2:3], v[2:3], 0, s[18:19]
	s_waitcnt vmcnt(3)
	v_pk_fma_f32 v[28:29], v[30:31], v[4:5], v[28:29] op_sel_hi:[0,1,1]
	v_mov_b32_e32 v4, v49
	v_pk_fma_f32 v[28:29], v[30:31], v[6:7], v[28:29] op_sel:[1,0,0]
	v_mov_b32_e32 v40, v33
	v_mov_b32_e32 v7, v49
	v_pk_fma_f32 v[28:29], v[32:33], v[4:5], v[28:29] op_sel_hi:[0,1,1]
	v_mov_b32_e32 v4, v50
	v_pk_fma_f32 v[28:29], v[40:41], v[6:7], v[28:29] op_sel_hi:[0,1,1]
	v_mov_b32_e32 v7, v50
	s_waitcnt vmcnt(2)
	v_pk_fma_f32 v[28:29], v[36:37], v[4:5], v[28:29] op_sel_hi:[0,1,1]
	v_mov_b32_e32 v4, v51
	v_pk_fma_f32 v[28:29], v[36:37], v[6:7], v[28:29] op_sel:[1,0,0]
	v_mov_b32_e32 v42, v39
	v_mov_b32_e32 v7, v51
	v_pk_fma_f32 v[28:29], v[38:39], v[4:5], v[28:29] op_sel_hi:[0,1,1]
	v_mov_b32_e32 v4, v44
	v_pk_fma_f32 v[28:29], v[42:43], v[6:7], v[28:29] op_sel_hi:[0,1,1]
	v_pk_fma_f32 v[26:27], v[30:31], v[4:5], v[26:27] op_sel_hi:[0,1,1]
	v_mov_b32_e32 v7, v44
	v_mov_b32_e32 v4, v45
	v_pk_fma_f32 v[26:27], v[30:31], v[6:7], v[26:27] op_sel:[1,0,0]
	v_mov_b32_e32 v7, v45
	v_pk_fma_f32 v[26:27], v[32:33], v[4:5], v[26:27] op_sel_hi:[0,1,1]
	v_mov_b32_e32 v4, v46
	v_pk_fma_f32 v[26:27], v[40:41], v[6:7], v[26:27] op_sel_hi:[0,1,1]
	;; [unrolled: 2-line block ×3, first 2 shown]
	v_mov_b32_e32 v4, v47
	v_pk_fma_f32 v[26:27], v[36:37], v[6:7], v[26:27] op_sel:[1,0,0]
	v_mov_b32_e32 v7, v47
	v_pk_fma_f32 v[26:27], v[38:39], v[4:5], v[26:27] op_sel_hi:[0,1,1]
	s_waitcnt vmcnt(1)
	v_mov_b32_e32 v4, v52
	v_pk_fma_f32 v[26:27], v[42:43], v[6:7], v[26:27] op_sel_hi:[0,1,1]
	v_pk_fma_f32 v[24:25], v[30:31], v[4:5], v[24:25] op_sel_hi:[0,1,1]
	v_mov_b32_e32 v7, v52
	v_mov_b32_e32 v4, v53
	v_pk_fma_f32 v[24:25], v[30:31], v[6:7], v[24:25] op_sel:[1,0,0]
	v_mov_b32_e32 v7, v53
	v_pk_fma_f32 v[24:25], v[32:33], v[4:5], v[24:25] op_sel_hi:[0,1,1]
	v_mov_b32_e32 v4, v54
	v_pk_fma_f32 v[24:25], v[40:41], v[6:7], v[24:25] op_sel_hi:[0,1,1]
	;; [unrolled: 2-line block ×3, first 2 shown]
	v_mov_b32_e32 v4, v55
	v_pk_fma_f32 v[24:25], v[36:37], v[6:7], v[24:25] op_sel:[1,0,0]
	v_mov_b32_e32 v7, v55
	v_pk_fma_f32 v[24:25], v[38:39], v[4:5], v[24:25] op_sel_hi:[0,1,1]
	s_waitcnt vmcnt(0)
	v_mov_b32_e32 v4, v56
	v_pk_fma_f32 v[24:25], v[42:43], v[6:7], v[24:25] op_sel_hi:[0,1,1]
	v_pk_fma_f32 v[22:23], v[30:31], v[4:5], v[22:23] op_sel_hi:[0,1,1]
	v_mov_b32_e32 v7, v56
	v_mov_b32_e32 v4, v57
	v_pk_fma_f32 v[22:23], v[30:31], v[6:7], v[22:23] op_sel:[1,0,0]
	v_mov_b32_e32 v7, v57
	v_pk_fma_f32 v[22:23], v[32:33], v[4:5], v[22:23] op_sel_hi:[0,1,1]
	v_mov_b32_e32 v4, v58
	v_pk_fma_f32 v[22:23], v[40:41], v[6:7], v[22:23] op_sel_hi:[0,1,1]
	;; [unrolled: 2-line block ×3, first 2 shown]
	v_mov_b32_e32 v4, v59
	v_pk_fma_f32 v[22:23], v[36:37], v[6:7], v[22:23] op_sel:[1,0,0]
	v_mov_b32_e32 v7, v59
	v_pk_fma_f32 v[22:23], v[38:39], v[4:5], v[22:23] op_sel_hi:[0,1,1]
	v_pk_fma_f32 v[22:23], v[42:43], v[6:7], v[22:23] op_sel_hi:[0,1,1]
	s_andn2_b64 exec, exec, s[14:15]
	s_cbranch_execnz .LBB121_13
; %bb.14:
	s_or_b64 exec, exec, s[14:15]
.LBB121_15:
	s_or_b64 exec, exec, s[10:11]
	v_cmp_lt_u32_e32 vcc, 23, v8
	s_and_saveexec_b64 s[10:11], vcc
	s_cbranch_execz .LBB121_19
; %bb.16:
	s_mov_b64 s[14:15], 0
	v_mov_b32_e32 v5, 0
	s_mov_b64 s[18:19], 0x800
	v_bfrev_b32_e32 v6, 1
.LBB121_17:                             ; =>This Inner Loop Header: Depth=1
	v_ashrrev_i32_e32 v1, 31, v0
	v_lshl_add_u64 v[8:9], v[0:1], 2, s[12:13]
	global_load_dword v1, v[8:9], off
	v_add_u32_e32 v0, 32, v0
	v_cmp_ge_i32_e32 vcc, v0, v34
	s_or_b64 s[14:15], vcc, s[14:15]
	s_waitcnt vmcnt(0)
	v_subrev_u32_e32 v1, s16, v1
	v_lshlrev_b32_e32 v30, 2, v1
	v_ashrrev_i32_e32 v31, 31, v30
	v_lshl_add_u64 v[40:41], v[30:31], 3, s[2:3]
	global_load_dwordx4 v[30:33], v[40:41], off offset:16
	global_load_dwordx4 v[36:39], v[40:41], off
	global_load_dwordx4 v[50:53], v[2:3], off offset:48
	global_load_dwordx4 v[54:57], v[2:3], off offset:32
	;; [unrolled: 1-line block ×3, first 2 shown]
	global_load_dwordx4 v[42:45], v[2:3], off
	global_load_dword v1, v[8:9], off offset:32
	s_waitcnt vmcnt(5)
	v_mov_b32_e32 v40, v39
	s_waitcnt vmcnt(1)
	v_mov_b32_e32 v4, v42
	v_pk_fma_f32 v[28:29], v[36:37], v[4:5], v[28:29] op_sel_hi:[0,1,1]
	v_mov_b32_e32 v7, v42
	v_pk_fma_f32 v[28:29], v[36:37], v[6:7], v[28:29] op_sel:[1,0,0]
	v_mov_b32_e32 v4, v43
	v_pk_fma_f32 v[28:29], v[38:39], v[4:5], v[28:29] op_sel_hi:[0,1,1]
	v_mov_b32_e32 v7, v43
	v_pk_fma_f32 v[28:29], v[40:41], v[6:7], v[28:29] op_sel_hi:[0,1,1]
	;; [unrolled: 2-line block ×3, first 2 shown]
	v_mov_b32_e32 v7, v44
	v_pk_fma_f32 v[28:29], v[30:31], v[6:7], v[28:29] op_sel:[1,0,0]
	v_mov_b32_e32 v4, v45
	v_pk_fma_f32 v[28:29], v[32:33], v[4:5], v[28:29] op_sel_hi:[0,1,1]
	v_mov_b32_e32 v42, v33
	v_mov_b32_e32 v7, v45
	v_mov_b32_e32 v4, v46
	v_pk_fma_f32 v[44:45], v[42:43], v[6:7], v[28:29] op_sel_hi:[0,1,1]
	v_pk_fma_f32 v[26:27], v[36:37], v[4:5], v[26:27] op_sel_hi:[0,1,1]
	v_mov_b32_e32 v7, v46
	v_pk_fma_f32 v[26:27], v[36:37], v[6:7], v[26:27] op_sel:[1,0,0]
	v_mov_b32_e32 v4, v47
	v_pk_fma_f32 v[26:27], v[38:39], v[4:5], v[26:27] op_sel_hi:[0,1,1]
	v_mov_b32_e32 v7, v47
	v_pk_fma_f32 v[26:27], v[40:41], v[6:7], v[26:27] op_sel_hi:[0,1,1]
	;; [unrolled: 2-line block ×3, first 2 shown]
	v_mov_b32_e32 v7, v48
	v_pk_fma_f32 v[26:27], v[30:31], v[6:7], v[26:27] op_sel:[1,0,0]
	v_mov_b32_e32 v4, v49
	v_pk_fma_f32 v[26:27], v[32:33], v[4:5], v[26:27] op_sel_hi:[0,1,1]
	v_mov_b32_e32 v7, v49
	v_mov_b32_e32 v4, v54
	v_pk_fma_f32 v[46:47], v[42:43], v[6:7], v[26:27] op_sel_hi:[0,1,1]
	v_pk_fma_f32 v[24:25], v[36:37], v[4:5], v[24:25] op_sel_hi:[0,1,1]
	v_mov_b32_e32 v7, v54
	v_pk_fma_f32 v[24:25], v[36:37], v[6:7], v[24:25] op_sel:[1,0,0]
	v_mov_b32_e32 v4, v55
	v_pk_fma_f32 v[24:25], v[38:39], v[4:5], v[24:25] op_sel_hi:[0,1,1]
	v_mov_b32_e32 v7, v55
	v_pk_fma_f32 v[24:25], v[40:41], v[6:7], v[24:25] op_sel_hi:[0,1,1]
	;; [unrolled: 2-line block ×3, first 2 shown]
	v_mov_b32_e32 v7, v56
	v_pk_fma_f32 v[24:25], v[30:31], v[6:7], v[24:25] op_sel:[1,0,0]
	v_mov_b32_e32 v4, v57
	v_pk_fma_f32 v[24:25], v[32:33], v[4:5], v[24:25] op_sel_hi:[0,1,1]
	v_mov_b32_e32 v7, v57
	v_mov_b32_e32 v4, v50
	v_pk_fma_f32 v[48:49], v[42:43], v[6:7], v[24:25] op_sel_hi:[0,1,1]
	v_pk_fma_f32 v[22:23], v[36:37], v[4:5], v[22:23] op_sel_hi:[0,1,1]
	v_mov_b32_e32 v7, v50
	v_pk_fma_f32 v[22:23], v[36:37], v[6:7], v[22:23] op_sel:[1,0,0]
	v_mov_b32_e32 v4, v51
	v_pk_fma_f32 v[22:23], v[38:39], v[4:5], v[22:23] op_sel_hi:[0,1,1]
	v_mov_b32_e32 v7, v51
	v_pk_fma_f32 v[22:23], v[40:41], v[6:7], v[22:23] op_sel_hi:[0,1,1]
	;; [unrolled: 2-line block ×3, first 2 shown]
	v_mov_b32_e32 v7, v52
	v_pk_fma_f32 v[22:23], v[30:31], v[6:7], v[22:23] op_sel:[1,0,0]
	v_mov_b32_e32 v4, v53
	v_pk_fma_f32 v[22:23], v[32:33], v[4:5], v[22:23] op_sel_hi:[0,1,1]
	v_mov_b32_e32 v7, v53
	s_waitcnt vmcnt(0)
	v_subrev_u32_e32 v1, s16, v1
	v_pk_fma_f32 v[30:31], v[42:43], v[6:7], v[22:23] op_sel_hi:[0,1,1]
	v_lshlrev_b32_e32 v22, 2, v1
	v_ashrrev_i32_e32 v23, 31, v22
	v_lshl_add_u64 v[32:33], v[22:23], 3, s[2:3]
	global_load_dwordx4 v[22:25], v[32:33], off offset:16
	global_load_dwordx4 v[26:29], v[32:33], off
	global_load_dwordx4 v[50:53], v[2:3], off offset:560
	global_load_dwordx4 v[54:57], v[2:3], off offset:544
	;; [unrolled: 1-line block ×4, first 2 shown]
	global_load_dword v1, v[8:9], off offset:64
	s_waitcnt vmcnt(1)
	v_mov_b32_e32 v4, v36
	v_pk_fma_f32 v[32:33], v[26:27], v[4:5], v[44:45] op_sel_hi:[0,1,1]
	v_mov_b32_e32 v7, v36
	v_pk_fma_f32 v[32:33], v[26:27], v[6:7], v[32:33] op_sel:[1,0,0]
	v_mov_b32_e32 v4, v37
	v_pk_fma_f32 v[32:33], v[28:29], v[4:5], v[32:33] op_sel_hi:[0,1,1]
	v_mov_b32_e32 v36, v29
	v_mov_b32_e32 v7, v37
	v_pk_fma_f32 v[32:33], v[36:37], v[6:7], v[32:33] op_sel_hi:[0,1,1]
	v_mov_b32_e32 v4, v38
	v_pk_fma_f32 v[32:33], v[22:23], v[4:5], v[32:33] op_sel_hi:[0,1,1]
	v_mov_b32_e32 v7, v38
	v_pk_fma_f32 v[32:33], v[22:23], v[6:7], v[32:33] op_sel:[1,0,0]
	v_mov_b32_e32 v4, v39
	v_pk_fma_f32 v[32:33], v[24:25], v[4:5], v[32:33] op_sel_hi:[0,1,1]
	v_mov_b32_e32 v38, v25
	v_mov_b32_e32 v7, v39
	;; [unrolled: 1-line block ×3, first 2 shown]
	v_pk_fma_f32 v[32:33], v[38:39], v[6:7], v[32:33] op_sel_hi:[0,1,1]
	v_pk_fma_f32 v[40:41], v[26:27], v[4:5], v[46:47] op_sel_hi:[0,1,1]
	v_mov_b32_e32 v7, v58
	v_pk_fma_f32 v[40:41], v[26:27], v[6:7], v[40:41] op_sel:[1,0,0]
	v_mov_b32_e32 v4, v59
	v_pk_fma_f32 v[40:41], v[28:29], v[4:5], v[40:41] op_sel_hi:[0,1,1]
	v_mov_b32_e32 v7, v59
	v_pk_fma_f32 v[40:41], v[36:37], v[6:7], v[40:41] op_sel_hi:[0,1,1]
	;; [unrolled: 2-line block ×3, first 2 shown]
	v_mov_b32_e32 v7, v60
	v_pk_fma_f32 v[40:41], v[22:23], v[6:7], v[40:41] op_sel:[1,0,0]
	v_mov_b32_e32 v4, v61
	v_pk_fma_f32 v[40:41], v[24:25], v[4:5], v[40:41] op_sel_hi:[0,1,1]
	v_mov_b32_e32 v7, v61
	v_mov_b32_e32 v4, v54
	v_pk_fma_f32 v[40:41], v[38:39], v[6:7], v[40:41] op_sel_hi:[0,1,1]
	v_pk_fma_f32 v[42:43], v[26:27], v[4:5], v[48:49] op_sel_hi:[0,1,1]
	v_mov_b32_e32 v7, v54
	v_pk_fma_f32 v[42:43], v[26:27], v[6:7], v[42:43] op_sel:[1,0,0]
	v_mov_b32_e32 v4, v55
	v_pk_fma_f32 v[42:43], v[28:29], v[4:5], v[42:43] op_sel_hi:[0,1,1]
	v_mov_b32_e32 v7, v55
	v_pk_fma_f32 v[42:43], v[36:37], v[6:7], v[42:43] op_sel_hi:[0,1,1]
	;; [unrolled: 2-line block ×3, first 2 shown]
	v_mov_b32_e32 v7, v56
	v_pk_fma_f32 v[42:43], v[22:23], v[6:7], v[42:43] op_sel:[1,0,0]
	v_mov_b32_e32 v4, v57
	v_pk_fma_f32 v[42:43], v[24:25], v[4:5], v[42:43] op_sel_hi:[0,1,1]
	v_mov_b32_e32 v7, v57
	v_mov_b32_e32 v4, v50
	v_pk_fma_f32 v[42:43], v[38:39], v[6:7], v[42:43] op_sel_hi:[0,1,1]
	v_pk_fma_f32 v[30:31], v[26:27], v[4:5], v[30:31] op_sel_hi:[0,1,1]
	v_mov_b32_e32 v7, v50
	v_pk_fma_f32 v[26:27], v[26:27], v[6:7], v[30:31] op_sel:[1,0,0]
	v_mov_b32_e32 v4, v51
	v_pk_fma_f32 v[26:27], v[28:29], v[4:5], v[26:27] op_sel_hi:[0,1,1]
	v_mov_b32_e32 v7, v51
	v_pk_fma_f32 v[26:27], v[36:37], v[6:7], v[26:27] op_sel_hi:[0,1,1]
	;; [unrolled: 2-line block ×3, first 2 shown]
	v_mov_b32_e32 v7, v52
	v_pk_fma_f32 v[22:23], v[22:23], v[6:7], v[26:27] op_sel:[1,0,0]
	v_mov_b32_e32 v4, v53
	v_pk_fma_f32 v[22:23], v[24:25], v[4:5], v[22:23] op_sel_hi:[0,1,1]
	v_mov_b32_e32 v7, v53
	s_waitcnt vmcnt(0)
	v_subrev_u32_e32 v1, s16, v1
	v_pk_fma_f32 v[30:31], v[38:39], v[6:7], v[22:23] op_sel_hi:[0,1,1]
	v_lshlrev_b32_e32 v22, 2, v1
	v_ashrrev_i32_e32 v23, 31, v22
	v_lshl_add_u64 v[36:37], v[22:23], 3, s[2:3]
	global_load_dwordx4 v[22:25], v[36:37], off offset:16
	global_load_dwordx4 v[26:29], v[36:37], off
	global_load_dwordx4 v[46:49], v[2:3], off offset:1072
	global_load_dwordx4 v[50:53], v[2:3], off offset:1056
	;; [unrolled: 1-line block ×4, first 2 shown]
	global_load_dword v1, v[8:9], off offset:96
	s_waitcnt vmcnt(6)
	v_mov_b32_e32 v38, v25
	s_waitcnt vmcnt(5)
	v_mov_b32_e32 v36, v29
	;; [unrolled: 2-line block ×3, first 2 shown]
	v_pk_fma_f32 v[32:33], v[26:27], v[4:5], v[32:33] op_sel_hi:[0,1,1]
	v_mov_b32_e32 v7, v58
	v_pk_fma_f32 v[32:33], v[26:27], v[6:7], v[32:33] op_sel:[1,0,0]
	v_mov_b32_e32 v4, v59
	v_pk_fma_f32 v[32:33], v[28:29], v[4:5], v[32:33] op_sel_hi:[0,1,1]
	v_mov_b32_e32 v7, v59
	v_pk_fma_f32 v[32:33], v[36:37], v[6:7], v[32:33] op_sel_hi:[0,1,1]
	v_mov_b32_e32 v4, v60
	v_pk_fma_f32 v[32:33], v[22:23], v[4:5], v[32:33] op_sel_hi:[0,1,1]
	v_mov_b32_e32 v7, v60
	v_pk_fma_f32 v[32:33], v[22:23], v[6:7], v[32:33] op_sel:[1,0,0]
	v_mov_b32_e32 v4, v61
	v_pk_fma_f32 v[32:33], v[24:25], v[4:5], v[32:33] op_sel_hi:[0,1,1]
	v_mov_b32_e32 v7, v61
	v_mov_b32_e32 v4, v54
	v_pk_fma_f32 v[44:45], v[38:39], v[6:7], v[32:33] op_sel_hi:[0,1,1]
	v_pk_fma_f32 v[32:33], v[26:27], v[4:5], v[40:41] op_sel_hi:[0,1,1]
	v_mov_b32_e32 v7, v54
	v_pk_fma_f32 v[32:33], v[26:27], v[6:7], v[32:33] op_sel:[1,0,0]
	v_mov_b32_e32 v4, v55
	v_pk_fma_f32 v[32:33], v[28:29], v[4:5], v[32:33] op_sel_hi:[0,1,1]
	v_mov_b32_e32 v7, v55
	v_pk_fma_f32 v[32:33], v[36:37], v[6:7], v[32:33] op_sel_hi:[0,1,1]
	v_mov_b32_e32 v4, v56
	v_pk_fma_f32 v[32:33], v[22:23], v[4:5], v[32:33] op_sel_hi:[0,1,1]
	v_mov_b32_e32 v7, v56
	v_pk_fma_f32 v[32:33], v[22:23], v[6:7], v[32:33] op_sel:[1,0,0]
	v_mov_b32_e32 v4, v57
	v_pk_fma_f32 v[32:33], v[24:25], v[4:5], v[32:33] op_sel_hi:[0,1,1]
	v_mov_b32_e32 v7, v57
	v_mov_b32_e32 v4, v50
	v_pk_fma_f32 v[40:41], v[38:39], v[6:7], v[32:33] op_sel_hi:[0,1,1]
	;; [unrolled: 16-line block ×3, first 2 shown]
	v_pk_fma_f32 v[30:31], v[26:27], v[4:5], v[30:31] op_sel_hi:[0,1,1]
	v_mov_b32_e32 v7, v46
	v_pk_fma_f32 v[26:27], v[26:27], v[6:7], v[30:31] op_sel:[1,0,0]
	v_mov_b32_e32 v4, v47
	v_pk_fma_f32 v[26:27], v[28:29], v[4:5], v[26:27] op_sel_hi:[0,1,1]
	v_mov_b32_e32 v7, v47
	v_pk_fma_f32 v[26:27], v[36:37], v[6:7], v[26:27] op_sel_hi:[0,1,1]
	v_mov_b32_e32 v4, v48
	s_waitcnt vmcnt(0)
	v_subrev_u32_e32 v1, s16, v1
	v_pk_fma_f32 v[26:27], v[22:23], v[4:5], v[26:27] op_sel_hi:[0,1,1]
	v_mov_b32_e32 v7, v48
	v_lshlrev_b32_e32 v8, 2, v1
	v_pk_fma_f32 v[22:23], v[22:23], v[6:7], v[26:27] op_sel:[1,0,0]
	v_mov_b32_e32 v4, v49
	v_ashrrev_i32_e32 v9, 31, v8
	v_pk_fma_f32 v[22:23], v[24:25], v[4:5], v[22:23] op_sel_hi:[0,1,1]
	v_mov_b32_e32 v7, v49
	v_lshl_add_u64 v[8:9], v[8:9], 3, s[2:3]
	v_pk_fma_f32 v[22:23], v[38:39], v[6:7], v[22:23] op_sel_hi:[0,1,1]
	global_load_dwordx4 v[30:33], v[8:9], off offset:16
	global_load_dwordx4 v[36:39], v[8:9], off
	global_load_dwordx4 v[48:51], v[2:3], off offset:1584
	global_load_dwordx4 v[52:55], v[2:3], off offset:1568
	global_load_dwordx4 v[24:27], v[2:3], off offset:1552
	global_load_dwordx4 v[56:59], v[2:3], off offset:1536
	v_lshl_add_u64 v[2:3], v[2:3], 0, s[18:19]
	s_waitcnt vmcnt(5)
	v_mov_b32_e32 v46, v33
	s_waitcnt vmcnt(0)
	v_mov_b32_e32 v4, v56
	v_pk_fma_f32 v[8:9], v[36:37], v[4:5], v[44:45] op_sel_hi:[0,1,1]
	v_mov_b32_e32 v7, v56
	v_pk_fma_f32 v[8:9], v[36:37], v[6:7], v[8:9] op_sel:[1,0,0]
	v_mov_b32_e32 v4, v57
	v_pk_fma_f32 v[8:9], v[38:39], v[4:5], v[8:9] op_sel_hi:[0,1,1]
	v_mov_b32_e32 v44, v39
	v_mov_b32_e32 v7, v57
	v_pk_fma_f32 v[8:9], v[44:45], v[6:7], v[8:9] op_sel_hi:[0,1,1]
	v_mov_b32_e32 v4, v58
	v_pk_fma_f32 v[8:9], v[30:31], v[4:5], v[8:9] op_sel_hi:[0,1,1]
	v_mov_b32_e32 v7, v58
	v_pk_fma_f32 v[8:9], v[30:31], v[6:7], v[8:9] op_sel:[1,0,0]
	v_mov_b32_e32 v4, v59
	v_pk_fma_f32 v[8:9], v[32:33], v[4:5], v[8:9] op_sel_hi:[0,1,1]
	v_mov_b32_e32 v7, v59
	v_mov_b32_e32 v4, v24
	v_pk_fma_f32 v[28:29], v[46:47], v[6:7], v[8:9] op_sel_hi:[0,1,1]
	v_pk_fma_f32 v[8:9], v[36:37], v[4:5], v[40:41] op_sel_hi:[0,1,1]
	v_mov_b32_e32 v7, v24
	v_pk_fma_f32 v[8:9], v[36:37], v[6:7], v[8:9] op_sel:[1,0,0]
	v_mov_b32_e32 v4, v25
	v_pk_fma_f32 v[8:9], v[38:39], v[4:5], v[8:9] op_sel_hi:[0,1,1]
	v_mov_b32_e32 v7, v25
	v_pk_fma_f32 v[8:9], v[44:45], v[6:7], v[8:9] op_sel_hi:[0,1,1]
	v_mov_b32_e32 v4, v26
	v_pk_fma_f32 v[8:9], v[30:31], v[4:5], v[8:9] op_sel_hi:[0,1,1]
	v_mov_b32_e32 v7, v26
	v_pk_fma_f32 v[8:9], v[30:31], v[6:7], v[8:9] op_sel:[1,0,0]
	v_mov_b32_e32 v4, v27
	v_pk_fma_f32 v[8:9], v[32:33], v[4:5], v[8:9] op_sel_hi:[0,1,1]
	v_mov_b32_e32 v7, v27
	v_mov_b32_e32 v4, v52
	v_pk_fma_f32 v[26:27], v[46:47], v[6:7], v[8:9] op_sel_hi:[0,1,1]
	v_pk_fma_f32 v[8:9], v[36:37], v[4:5], v[42:43] op_sel_hi:[0,1,1]
	v_mov_b32_e32 v7, v52
	v_pk_fma_f32 v[8:9], v[36:37], v[6:7], v[8:9] op_sel:[1,0,0]
	v_mov_b32_e32 v4, v53
	v_pk_fma_f32 v[8:9], v[38:39], v[4:5], v[8:9] op_sel_hi:[0,1,1]
	;; [unrolled: 16-line block ×3, first 2 shown]
	v_mov_b32_e32 v7, v49
	v_pk_fma_f32 v[8:9], v[44:45], v[6:7], v[8:9] op_sel_hi:[0,1,1]
	v_mov_b32_e32 v4, v50
	v_pk_fma_f32 v[8:9], v[30:31], v[4:5], v[8:9] op_sel_hi:[0,1,1]
	v_mov_b32_e32 v7, v50
	v_pk_fma_f32 v[8:9], v[30:31], v[6:7], v[8:9] op_sel:[1,0,0]
	v_mov_b32_e32 v4, v51
	v_pk_fma_f32 v[8:9], v[32:33], v[4:5], v[8:9] op_sel_hi:[0,1,1]
	v_mov_b32_e32 v7, v51
	v_pk_fma_f32 v[22:23], v[46:47], v[6:7], v[8:9] op_sel_hi:[0,1,1]
	s_andn2_b64 exec, exec, s[14:15]
	s_cbranch_execnz .LBB121_17
; %bb.18:
	s_or_b64 exec, exec, s[14:15]
.LBB121_19:
	s_or_b64 exec, exec, s[10:11]
.LBB121_20:
	s_or_b64 exec, exec, s[8:9]
	s_cbranch_execz .LBB121_22
	s_branch .LBB121_33
.LBB121_21:
                                        ; implicit-def: $vgpr29
                                        ; implicit-def: $vgpr27
                                        ; implicit-def: $vgpr25
                                        ; implicit-def: $vgpr23
.LBB121_22:
	v_mov_b32_e32 v29, 0
	v_mov_b32_e32 v28, 0
	;; [unrolled: 1-line block ×8, first 2 shown]
	s_and_saveexec_b64 s[8:9], s[4:5]
	s_cbranch_execz .LBB121_32
; %bb.23:
	v_add_u32_e32 v0, v10, v17
	v_subrev_u32_e32 v0, s16, v0
	v_add_u32_e32 v0, 8, v0
	v_max_i32_e32 v0, v0, v34
	v_not_b32_e32 v1, v10
	v_add3_u32 v0, s16, v0, v1
	v_sub_u32_e32 v4, v0, v17
	v_and_b32_e32 v0, 24, v4
	v_mov_b32_e32 v1, 0
	v_cmp_ne_u32_e32 vcc, 24, v0
	v_mov_b32_e32 v0, v1
	v_mov_b64_e32 v[28:29], v[0:1]
	v_mov_b64_e32 v[26:27], v[0:1]
	;; [unrolled: 1-line block ×4, first 2 shown]
	s_and_saveexec_b64 s[4:5], vcc
	s_cbranch_execz .LBB121_27
; %bb.24:
	v_lshrrev_b32_e32 v0, 3, v4
	v_add_u32_e32 v0, 1, v0
	v_and_b32_e32 v0, 3, v0
	v_sub_u32_e32 v5, 0, v0
	s_mov_b64 s[10:11], 0
	s_mov_b64 s[14:15], 0x200
	v_bfrev_b32_e32 v2, 1
	v_mov_b32_e32 v22, v1
	v_mov_b32_e32 v23, v1
	;; [unrolled: 1-line block ×8, first 2 shown]
.LBB121_25:                             ; =>This Inner Loop Header: Depth=1
	v_ashrrev_i32_e32 v19, 31, v18
	v_lshl_add_u64 v[6:7], v[18:19], 2, s[12:13]
	global_load_dword v0, v[6:7], off
	global_load_dwordx4 v[40:43], v[20:21], off offset:32
	global_load_dwordx4 v[44:47], v[20:21], off offset:16
	global_load_dwordx4 v[48:51], v[20:21], off
	v_add_co_u32_e32 v5, vcc, 1, v5
	v_add_u32_e32 v18, 8, v18
	s_or_b64 s[10:11], vcc, s[10:11]
	s_waitcnt vmcnt(3)
	v_subrev_u32_e32 v0, s16, v0
	v_lshlrev_b32_e32 v6, 2, v0
	v_ashrrev_i32_e32 v7, 31, v6
	v_lshl_add_u64 v[10:11], v[6:7], 3, s[2:3]
	global_load_dwordx4 v[6:9], v[10:11], off
	global_load_dwordx4 v[30:33], v[10:11], off offset:16
	global_load_dwordx4 v[52:55], v[20:21], off offset:48
	s_waitcnt vmcnt(3)
	v_mov_b32_e32 v0, v48
	v_mov_b32_e32 v3, v48
	v_lshl_add_u64 v[20:21], v[20:21], 0, s[14:15]
	s_waitcnt vmcnt(2)
	v_pk_fma_f32 v[10:11], v[6:7], v[0:1], v[28:29] op_sel_hi:[0,1,1]
	v_mov_b32_e32 v0, v44
	v_pk_fma_f32 v[10:11], v[6:7], v[2:3], v[10:11] op_sel:[1,0,0]
	v_mov_b32_e32 v36, v9
	v_mov_b32_e32 v3, v44
	v_pk_fma_f32 v[10:11], v[8:9], v[0:1], v[10:11] op_sel_hi:[0,1,1]
	v_mov_b32_e32 v0, v40
	v_pk_fma_f32 v[10:11], v[36:37], v[2:3], v[10:11] op_sel_hi:[0,1,1]
	v_mov_b32_e32 v3, v40
	s_waitcnt vmcnt(1)
	v_pk_fma_f32 v[10:11], v[30:31], v[0:1], v[10:11] op_sel_hi:[0,1,1]
	s_waitcnt vmcnt(0)
	v_mov_b32_e32 v0, v52
	v_pk_fma_f32 v[10:11], v[30:31], v[2:3], v[10:11] op_sel:[1,0,0]
	v_mov_b32_e32 v38, v33
	v_mov_b32_e32 v3, v52
	v_pk_fma_f32 v[10:11], v[32:33], v[0:1], v[10:11] op_sel_hi:[0,1,1]
	v_mov_b32_e32 v0, v49
	v_pk_fma_f32 v[28:29], v[38:39], v[2:3], v[10:11] op_sel_hi:[0,1,1]
	v_pk_fma_f32 v[10:11], v[6:7], v[0:1], v[26:27] op_sel_hi:[0,1,1]
	v_mov_b32_e32 v3, v49
	v_mov_b32_e32 v0, v45
	v_pk_fma_f32 v[10:11], v[6:7], v[2:3], v[10:11] op_sel:[1,0,0]
	v_mov_b32_e32 v3, v45
	v_pk_fma_f32 v[10:11], v[8:9], v[0:1], v[10:11] op_sel_hi:[0,1,1]
	v_mov_b32_e32 v0, v41
	v_pk_fma_f32 v[10:11], v[36:37], v[2:3], v[10:11] op_sel_hi:[0,1,1]
	v_mov_b32_e32 v3, v41
	v_pk_fma_f32 v[10:11], v[30:31], v[0:1], v[10:11] op_sel_hi:[0,1,1]
	v_mov_b32_e32 v0, v53
	v_pk_fma_f32 v[10:11], v[30:31], v[2:3], v[10:11] op_sel:[1,0,0]
	v_mov_b32_e32 v3, v53
	v_pk_fma_f32 v[10:11], v[32:33], v[0:1], v[10:11] op_sel_hi:[0,1,1]
	v_mov_b32_e32 v0, v50
	v_pk_fma_f32 v[26:27], v[38:39], v[2:3], v[10:11] op_sel_hi:[0,1,1]
	v_pk_fma_f32 v[10:11], v[6:7], v[0:1], v[24:25] op_sel_hi:[0,1,1]
	v_mov_b32_e32 v3, v50
	v_mov_b32_e32 v0, v46
	v_pk_fma_f32 v[10:11], v[6:7], v[2:3], v[10:11] op_sel:[1,0,0]
	v_mov_b32_e32 v3, v46
	v_pk_fma_f32 v[10:11], v[8:9], v[0:1], v[10:11] op_sel_hi:[0,1,1]
	v_mov_b32_e32 v0, v42
	v_pk_fma_f32 v[10:11], v[36:37], v[2:3], v[10:11] op_sel_hi:[0,1,1]
	v_mov_b32_e32 v3, v42
	v_pk_fma_f32 v[10:11], v[30:31], v[0:1], v[10:11] op_sel_hi:[0,1,1]
	v_mov_b32_e32 v0, v54
	v_pk_fma_f32 v[10:11], v[30:31], v[2:3], v[10:11] op_sel:[1,0,0]
	;; [unrolled: 16-line block ×3, first 2 shown]
	v_mov_b32_e32 v3, v55
	v_pk_fma_f32 v[6:7], v[32:33], v[0:1], v[6:7] op_sel_hi:[0,1,1]
	v_pk_fma_f32 v[22:23], v[38:39], v[2:3], v[6:7] op_sel_hi:[0,1,1]
	s_andn2_b64 exec, exec, s[10:11]
	s_cbranch_execnz .LBB121_25
; %bb.26:
	s_or_b64 exec, exec, s[10:11]
.LBB121_27:
	s_or_b64 exec, exec, s[4:5]
	v_cmp_lt_u32_e32 vcc, 23, v4
	s_and_saveexec_b64 s[4:5], vcc
	s_cbranch_execz .LBB121_31
; %bb.28:
	s_mov_b64 s[10:11], 0
	v_mov_b32_e32 v31, 0
	s_mov_b64 s[14:15], 0x800
	v_bfrev_b32_e32 v32, 1
.LBB121_29:                             ; =>This Inner Loop Header: Depth=1
	v_ashrrev_i32_e32 v19, 31, v18
	v_lshl_add_u64 v[0:1], v[18:19], 2, s[12:13]
	global_load_dwordx4 v[36:39], v[20:21], off offset:48
	global_load_dwordx4 v[40:43], v[20:21], off offset:32
	;; [unrolled: 1-line block ×3, first 2 shown]
	global_load_dwordx4 v[48:51], v[20:21], off
	global_load_dwordx4 v[52:55], v[20:21], off offset:560
	global_load_dwordx4 v[56:59], v[20:21], off offset:544
	;; [unrolled: 1-line block ×12, first 2 shown]
	global_load_dword v2, v[0:1], off
	global_load_dword v3, v[0:1], off offset:32
	global_load_dword v4, v[0:1], off offset:64
	;; [unrolled: 1-line block ×3, first 2 shown]
	v_add_u32_e32 v18, 32, v18
	v_cmp_ge_i32_e32 vcc, v18, v34
	v_lshl_add_u64 v[20:21], v[20:21], 0, s[14:15]
	s_or_b64 s[10:11], vcc, s[10:11]
	s_waitcnt vmcnt(16)
	v_mov_b32_e32 v30, v48
	v_mov_b32_e32 v33, v48
	s_waitcnt vmcnt(3)
	v_subrev_u32_e32 v0, s16, v2
	s_waitcnt vmcnt(2)
	v_subrev_u32_e32 v1, s16, v3
	s_waitcnt vmcnt(1)
	v_subrev_u32_e32 v3, s16, v4
	s_waitcnt vmcnt(0)
	v_subrev_u32_e32 v5, s16, v5
	v_lshlrev_b32_e32 v0, 2, v0
	v_lshlrev_b32_e32 v2, 2, v1
	v_lshlrev_b32_e32 v4, 2, v3
	v_lshlrev_b32_e32 v6, 2, v5
	v_ashrrev_i32_e32 v1, 31, v0
	v_ashrrev_i32_e32 v3, 31, v2
	;; [unrolled: 1-line block ×4, first 2 shown]
	v_lshl_add_u64 v[104:105], v[0:1], 3, s[2:3]
	v_lshl_add_u64 v[106:107], v[2:3], 3, s[2:3]
	;; [unrolled: 1-line block ×4, first 2 shown]
	global_load_dwordx4 v[84:87], v[104:105], off
	global_load_dwordx4 v[88:91], v[104:105], off offset:16
	global_load_dwordx4 v[92:95], v[106:107], off
	global_load_dwordx4 v[96:99], v[106:107], off offset:16
	;; [unrolled: 2-line block ×4, first 2 shown]
	s_waitcnt vmcnt(7)
	v_pk_fma_f32 v[28:29], v[84:85], v[30:31], v[28:29] op_sel_hi:[0,1,1]
	v_mov_b32_e32 v30, v44
	v_pk_fma_f32 v[28:29], v[84:85], v[32:33], v[28:29] op_sel:[1,0,0]
	v_mov_b32_e32 v48, v87
	v_mov_b32_e32 v33, v44
	v_pk_fma_f32 v[28:29], v[86:87], v[30:31], v[28:29] op_sel_hi:[0,1,1]
	v_mov_b32_e32 v30, v40
	v_pk_fma_f32 v[28:29], v[48:49], v[32:33], v[28:29] op_sel_hi:[0,1,1]
	v_mov_b32_e32 v33, v40
	s_waitcnt vmcnt(6)
	v_pk_fma_f32 v[28:29], v[88:89], v[30:31], v[28:29] op_sel_hi:[0,1,1]
	v_mov_b32_e32 v30, v36
	v_pk_fma_f32 v[28:29], v[88:89], v[32:33], v[28:29] op_sel:[1,0,0]
	v_mov_b32_e32 v104, v91
	v_mov_b32_e32 v33, v36
	v_pk_fma_f32 v[28:29], v[90:91], v[30:31], v[28:29] op_sel_hi:[0,1,1]
	v_mov_b32_e32 v30, v49
	v_pk_fma_f32 v[28:29], v[104:105], v[32:33], v[28:29] op_sel_hi:[0,1,1]
	v_pk_fma_f32 v[26:27], v[84:85], v[30:31], v[26:27] op_sel_hi:[0,1,1]
	v_mov_b32_e32 v33, v49
	v_mov_b32_e32 v30, v45
	v_pk_fma_f32 v[26:27], v[84:85], v[32:33], v[26:27] op_sel:[1,0,0]
	v_mov_b32_e32 v33, v45
	v_pk_fma_f32 v[26:27], v[86:87], v[30:31], v[26:27] op_sel_hi:[0,1,1]
	v_mov_b32_e32 v30, v41
	v_pk_fma_f32 v[26:27], v[48:49], v[32:33], v[26:27] op_sel_hi:[0,1,1]
	v_mov_b32_e32 v33, v41
	v_pk_fma_f32 v[26:27], v[88:89], v[30:31], v[26:27] op_sel_hi:[0,1,1]
	v_mov_b32_e32 v30, v37
	v_pk_fma_f32 v[26:27], v[88:89], v[32:33], v[26:27] op_sel:[1,0,0]
	v_mov_b32_e32 v33, v37
	v_pk_fma_f32 v[26:27], v[90:91], v[30:31], v[26:27] op_sel_hi:[0,1,1]
	v_mov_b32_e32 v30, v50
	v_pk_fma_f32 v[26:27], v[104:105], v[32:33], v[26:27] op_sel_hi:[0,1,1]
	v_pk_fma_f32 v[24:25], v[84:85], v[30:31], v[24:25] op_sel_hi:[0,1,1]
	v_mov_b32_e32 v33, v50
	v_mov_b32_e32 v30, v46
	v_pk_fma_f32 v[24:25], v[84:85], v[32:33], v[24:25] op_sel:[1,0,0]
	v_mov_b32_e32 v33, v46
	v_pk_fma_f32 v[24:25], v[86:87], v[30:31], v[24:25] op_sel_hi:[0,1,1]
	v_mov_b32_e32 v30, v42
	v_pk_fma_f32 v[24:25], v[48:49], v[32:33], v[24:25] op_sel_hi:[0,1,1]
	v_mov_b32_e32 v33, v42
	v_pk_fma_f32 v[24:25], v[88:89], v[30:31], v[24:25] op_sel_hi:[0,1,1]
	v_mov_b32_e32 v30, v38
	v_pk_fma_f32 v[24:25], v[88:89], v[32:33], v[24:25] op_sel:[1,0,0]
	;; [unrolled: 16-line block ×3, first 2 shown]
	v_mov_b32_e32 v33, v39
	v_pk_fma_f32 v[22:23], v[90:91], v[30:31], v[22:23] op_sel_hi:[0,1,1]
	v_mov_b32_e32 v30, v64
	v_pk_fma_f32 v[22:23], v[104:105], v[32:33], v[22:23] op_sel_hi:[0,1,1]
	s_waitcnt vmcnt(5)
	v_pk_fma_f32 v[28:29], v[92:93], v[30:31], v[28:29] op_sel_hi:[0,1,1]
	v_mov_b32_e32 v33, v64
	v_mov_b32_e32 v30, v60
	v_pk_fma_f32 v[28:29], v[92:93], v[32:33], v[28:29] op_sel:[1,0,0]
	v_mov_b32_e32 v106, v95
	v_mov_b32_e32 v33, v60
	v_pk_fma_f32 v[28:29], v[94:95], v[30:31], v[28:29] op_sel_hi:[0,1,1]
	v_mov_b32_e32 v30, v56
	v_pk_fma_f32 v[28:29], v[106:107], v[32:33], v[28:29] op_sel_hi:[0,1,1]
	v_mov_b32_e32 v33, v56
	s_waitcnt vmcnt(4)
	v_pk_fma_f32 v[28:29], v[96:97], v[30:31], v[28:29] op_sel_hi:[0,1,1]
	v_mov_b32_e32 v30, v52
	v_pk_fma_f32 v[28:29], v[96:97], v[32:33], v[28:29] op_sel:[1,0,0]
	v_mov_b32_e32 v108, v99
	v_mov_b32_e32 v33, v52
	v_pk_fma_f32 v[28:29], v[98:99], v[30:31], v[28:29] op_sel_hi:[0,1,1]
	v_mov_b32_e32 v30, v65
	v_pk_fma_f32 v[28:29], v[108:109], v[32:33], v[28:29] op_sel_hi:[0,1,1]
	v_pk_fma_f32 v[26:27], v[92:93], v[30:31], v[26:27] op_sel_hi:[0,1,1]
	v_mov_b32_e32 v33, v65
	v_mov_b32_e32 v30, v61
	v_pk_fma_f32 v[26:27], v[92:93], v[32:33], v[26:27] op_sel:[1,0,0]
	v_mov_b32_e32 v33, v61
	v_pk_fma_f32 v[26:27], v[94:95], v[30:31], v[26:27] op_sel_hi:[0,1,1]
	v_mov_b32_e32 v30, v57
	v_pk_fma_f32 v[26:27], v[106:107], v[32:33], v[26:27] op_sel_hi:[0,1,1]
	v_mov_b32_e32 v33, v57
	v_pk_fma_f32 v[26:27], v[96:97], v[30:31], v[26:27] op_sel_hi:[0,1,1]
	v_mov_b32_e32 v30, v53
	v_pk_fma_f32 v[26:27], v[96:97], v[32:33], v[26:27] op_sel:[1,0,0]
	v_mov_b32_e32 v33, v53
	v_pk_fma_f32 v[26:27], v[98:99], v[30:31], v[26:27] op_sel_hi:[0,1,1]
	v_mov_b32_e32 v30, v66
	v_pk_fma_f32 v[26:27], v[108:109], v[32:33], v[26:27] op_sel_hi:[0,1,1]
	v_pk_fma_f32 v[24:25], v[92:93], v[30:31], v[24:25] op_sel_hi:[0,1,1]
	v_mov_b32_e32 v33, v66
	v_mov_b32_e32 v30, v62
	v_pk_fma_f32 v[24:25], v[92:93], v[32:33], v[24:25] op_sel:[1,0,0]
	v_mov_b32_e32 v33, v62
	v_pk_fma_f32 v[24:25], v[94:95], v[30:31], v[24:25] op_sel_hi:[0,1,1]
	v_mov_b32_e32 v30, v58
	v_pk_fma_f32 v[24:25], v[106:107], v[32:33], v[24:25] op_sel_hi:[0,1,1]
	v_mov_b32_e32 v33, v58
	v_pk_fma_f32 v[24:25], v[96:97], v[30:31], v[24:25] op_sel_hi:[0,1,1]
	v_mov_b32_e32 v30, v54
	v_pk_fma_f32 v[24:25], v[96:97], v[32:33], v[24:25] op_sel:[1,0,0]
	;; [unrolled: 16-line block ×3, first 2 shown]
	v_mov_b32_e32 v33, v55
	v_pk_fma_f32 v[22:23], v[98:99], v[30:31], v[22:23] op_sel_hi:[0,1,1]
	v_mov_b32_e32 v30, v80
	v_pk_fma_f32 v[22:23], v[108:109], v[32:33], v[22:23] op_sel_hi:[0,1,1]
	s_waitcnt vmcnt(3)
	v_pk_fma_f32 v[28:29], v[100:101], v[30:31], v[28:29] op_sel_hi:[0,1,1]
	v_mov_b32_e32 v33, v80
	v_mov_b32_e32 v30, v76
	v_pk_fma_f32 v[28:29], v[100:101], v[32:33], v[28:29] op_sel:[1,0,0]
	v_mov_b32_e32 v110, v103
	v_mov_b32_e32 v33, v76
	v_pk_fma_f32 v[28:29], v[102:103], v[30:31], v[28:29] op_sel_hi:[0,1,1]
	v_mov_b32_e32 v30, v72
	v_pk_fma_f32 v[28:29], v[110:111], v[32:33], v[28:29] op_sel_hi:[0,1,1]
	v_mov_b32_e32 v33, v72
	s_waitcnt vmcnt(2)
	v_pk_fma_f32 v[28:29], v[8:9], v[30:31], v[28:29] op_sel_hi:[0,1,1]
	v_mov_b32_e32 v30, v68
	v_pk_fma_f32 v[28:29], v[8:9], v[32:33], v[28:29] op_sel:[1,0,0]
	v_mov_b32_e32 v112, v11
	v_mov_b32_e32 v33, v68
	v_pk_fma_f32 v[28:29], v[10:11], v[30:31], v[28:29] op_sel_hi:[0,1,1]
	v_mov_b32_e32 v30, v81
	v_pk_fma_f32 v[28:29], v[112:113], v[32:33], v[28:29] op_sel_hi:[0,1,1]
	v_pk_fma_f32 v[26:27], v[100:101], v[30:31], v[26:27] op_sel_hi:[0,1,1]
	v_mov_b32_e32 v33, v81
	v_mov_b32_e32 v30, v77
	v_pk_fma_f32 v[26:27], v[100:101], v[32:33], v[26:27] op_sel:[1,0,0]
	v_mov_b32_e32 v33, v77
	v_pk_fma_f32 v[26:27], v[102:103], v[30:31], v[26:27] op_sel_hi:[0,1,1]
	v_mov_b32_e32 v30, v73
	v_pk_fma_f32 v[26:27], v[110:111], v[32:33], v[26:27] op_sel_hi:[0,1,1]
	v_mov_b32_e32 v33, v73
	v_pk_fma_f32 v[26:27], v[8:9], v[30:31], v[26:27] op_sel_hi:[0,1,1]
	v_mov_b32_e32 v30, v69
	v_pk_fma_f32 v[26:27], v[8:9], v[32:33], v[26:27] op_sel:[1,0,0]
	v_mov_b32_e32 v33, v69
	v_pk_fma_f32 v[26:27], v[10:11], v[30:31], v[26:27] op_sel_hi:[0,1,1]
	v_mov_b32_e32 v30, v82
	v_pk_fma_f32 v[26:27], v[112:113], v[32:33], v[26:27] op_sel_hi:[0,1,1]
	v_pk_fma_f32 v[24:25], v[100:101], v[30:31], v[24:25] op_sel_hi:[0,1,1]
	v_mov_b32_e32 v33, v82
	v_mov_b32_e32 v30, v78
	v_pk_fma_f32 v[24:25], v[100:101], v[32:33], v[24:25] op_sel:[1,0,0]
	v_mov_b32_e32 v33, v78
	v_pk_fma_f32 v[24:25], v[102:103], v[30:31], v[24:25] op_sel_hi:[0,1,1]
	v_mov_b32_e32 v30, v74
	v_pk_fma_f32 v[24:25], v[110:111], v[32:33], v[24:25] op_sel_hi:[0,1,1]
	v_mov_b32_e32 v33, v74
	v_pk_fma_f32 v[24:25], v[8:9], v[30:31], v[24:25] op_sel_hi:[0,1,1]
	v_mov_b32_e32 v30, v70
	v_pk_fma_f32 v[24:25], v[8:9], v[32:33], v[24:25] op_sel:[1,0,0]
	;; [unrolled: 16-line block ×3, first 2 shown]
	v_mov_b32_e32 v33, v71
	v_pk_fma_f32 v[8:9], v[10:11], v[30:31], v[8:9] op_sel_hi:[0,1,1]
	v_mov_b32_e32 v30, v130
	v_pk_fma_f32 v[8:9], v[112:113], v[32:33], v[8:9] op_sel_hi:[0,1,1]
	s_waitcnt vmcnt(1)
	v_pk_fma_f32 v[10:11], v[4:5], v[30:31], v[28:29] op_sel_hi:[0,1,1]
	v_mov_b32_e32 v33, v130
	v_mov_b32_e32 v30, v126
	v_pk_fma_f32 v[10:11], v[4:5], v[32:33], v[10:11] op_sel:[1,0,0]
	v_mov_b32_e32 v114, v7
	v_mov_b32_e32 v33, v126
	v_pk_fma_f32 v[10:11], v[6:7], v[30:31], v[10:11] op_sel_hi:[0,1,1]
	v_mov_b32_e32 v30, v122
	v_pk_fma_f32 v[10:11], v[114:115], v[32:33], v[10:11] op_sel_hi:[0,1,1]
	v_mov_b32_e32 v33, v122
	s_waitcnt vmcnt(0)
	v_pk_fma_f32 v[10:11], v[0:1], v[30:31], v[10:11] op_sel_hi:[0,1,1]
	v_mov_b32_e32 v30, v118
	v_pk_fma_f32 v[10:11], v[0:1], v[32:33], v[10:11] op_sel:[1,0,0]
	v_mov_b32_e32 v116, v3
	v_mov_b32_e32 v33, v118
	v_pk_fma_f32 v[10:11], v[2:3], v[30:31], v[10:11] op_sel_hi:[0,1,1]
	v_mov_b32_e32 v30, v131
	v_pk_fma_f32 v[28:29], v[116:117], v[32:33], v[10:11] op_sel_hi:[0,1,1]
	v_pk_fma_f32 v[10:11], v[4:5], v[30:31], v[26:27] op_sel_hi:[0,1,1]
	v_mov_b32_e32 v33, v131
	v_mov_b32_e32 v30, v127
	v_pk_fma_f32 v[10:11], v[4:5], v[32:33], v[10:11] op_sel:[1,0,0]
	v_mov_b32_e32 v33, v127
	v_pk_fma_f32 v[10:11], v[6:7], v[30:31], v[10:11] op_sel_hi:[0,1,1]
	v_mov_b32_e32 v30, v123
	v_pk_fma_f32 v[10:11], v[114:115], v[32:33], v[10:11] op_sel_hi:[0,1,1]
	v_mov_b32_e32 v33, v123
	v_pk_fma_f32 v[10:11], v[0:1], v[30:31], v[10:11] op_sel_hi:[0,1,1]
	v_mov_b32_e32 v30, v119
	v_pk_fma_f32 v[10:11], v[0:1], v[32:33], v[10:11] op_sel:[1,0,0]
	v_mov_b32_e32 v33, v119
	v_pk_fma_f32 v[10:11], v[2:3], v[30:31], v[10:11] op_sel_hi:[0,1,1]
	v_mov_b32_e32 v30, v132
	v_pk_fma_f32 v[26:27], v[116:117], v[32:33], v[10:11] op_sel_hi:[0,1,1]
	v_pk_fma_f32 v[10:11], v[4:5], v[30:31], v[24:25] op_sel_hi:[0,1,1]
	v_mov_b32_e32 v33, v132
	v_mov_b32_e32 v30, v128
	v_pk_fma_f32 v[10:11], v[4:5], v[32:33], v[10:11] op_sel:[1,0,0]
	v_mov_b32_e32 v33, v128
	v_pk_fma_f32 v[10:11], v[6:7], v[30:31], v[10:11] op_sel_hi:[0,1,1]
	v_mov_b32_e32 v30, v124
	v_pk_fma_f32 v[10:11], v[114:115], v[32:33], v[10:11] op_sel_hi:[0,1,1]
	v_mov_b32_e32 v33, v124
	v_pk_fma_f32 v[10:11], v[0:1], v[30:31], v[10:11] op_sel_hi:[0,1,1]
	v_mov_b32_e32 v30, v120
	v_pk_fma_f32 v[10:11], v[0:1], v[32:33], v[10:11] op_sel:[1,0,0]
	;; [unrolled: 16-line block ×3, first 2 shown]
	v_mov_b32_e32 v33, v121
	v_pk_fma_f32 v[0:1], v[2:3], v[30:31], v[0:1] op_sel_hi:[0,1,1]
	v_pk_fma_f32 v[22:23], v[116:117], v[32:33], v[0:1] op_sel_hi:[0,1,1]
	s_andn2_b64 exec, exec, s[10:11]
	s_cbranch_execnz .LBB121_29
; %bb.30:
	s_or_b64 exec, exec, s[10:11]
.LBB121_31:
	s_or_b64 exec, exec, s[4:5]
.LBB121_32:
	s_or_b64 exec, exec, s[8:9]
.LBB121_33:
	v_mov_b32_dpp v6, v27 row_shr:1 row_mask:0xf bank_mask:0xf
	v_add_f32_e32 v6, v27, v6
	v_mov_b32_dpp v0, v28 row_shr:1 row_mask:0xf bank_mask:0xf
	v_mov_b32_dpp v2, v29 row_shr:1 row_mask:0xf bank_mask:0xf
	v_mov_b32_dpp v7, v6 row_shr:2 row_mask:0xf bank_mask:0xf
	v_add_f32_e32 v7, v6, v7
	v_mov_b32_dpp v6, v24 row_shr:1 row_mask:0xf bank_mask:0xf
	v_add_f32_e32 v6, v24, v6
	v_mov_b32_dpp v4, v26 row_shr:1 row_mask:0xf bank_mask:0xf
	;; [unrolled: 2-line block ×4, first 2 shown]
	v_add_f32_e32 v6, v25, v6
	v_add_f32_e32 v2, v29, v2
	;; [unrolled: 1-line block ×3, first 2 shown]
	v_mov_b32_dpp v11, v6 row_shr:2 row_mask:0xf bank_mask:0xf
	v_add_f32_e32 v11, v6, v11
	v_mov_b32_dpp v6, v22 row_shr:1 row_mask:0xf bank_mask:0xf
	v_add_f32_e32 v6, v22, v6
	v_mov_b32_dpp v1, v0 row_shr:2 row_mask:0xf bank_mask:0xf
	v_mov_b32_dpp v3, v2 row_shr:2 row_mask:0xf bank_mask:0xf
	;; [unrolled: 1-line block ×3, first 2 shown]
	v_add_f32_e32 v21, v6, v18
	v_mov_b32_dpp v6, v23 row_shr:1 row_mask:0xf bank_mask:0xf
	v_add_f32_e32 v6, v23, v6
	v_mov_b32_dpp v5, v4 row_shr:2 row_mask:0xf bank_mask:0xf
	v_add_f32_e32 v0, v0, v1
	v_mov_b32_dpp v18, v6 row_shr:2 row_mask:0xf bank_mask:0xf
	v_add_f32_e32 v2, v2, v3
	v_add_f32_e32 v4, v4, v5
	;; [unrolled: 1-line block ×3, first 2 shown]
	v_mov_b32_dpp v1, v0 row_shr:4 row_mask:0xf bank_mask:0xe
	v_mov_b32_dpp v3, v2 row_shr:4 row_mask:0xf bank_mask:0xe
	v_mov_b32_dpp v5, v4 row_shr:4 row_mask:0xf bank_mask:0xe
	v_mov_b32_dpp v8, v7 row_shr:4 row_mask:0xf bank_mask:0xe
	v_mov_b32_dpp v10, v9 row_shr:4 row_mask:0xf bank_mask:0xe
	v_mov_b32_dpp v19, v11 row_shr:4 row_mask:0xf bank_mask:0xe
	v_mov_b32_dpp v22, v21 row_shr:4 row_mask:0xf bank_mask:0xe
	v_mov_b32_dpp v24, v23 row_shr:4 row_mask:0xf bank_mask:0xe
	v_cmp_eq_u32_e32 vcc, 7, v17
	s_and_b64 exec, exec, vcc
	s_cbranch_execz .LBB121_6
; %bb.34:
	s_load_dwordx2 s[0:1], s[0:1], 0x50
	v_cmp_eq_f32_e32 vcc, 0, v14
	s_xor_b64 s[2:3], s[6:7], -1
	v_add_f32_e32 v6, v0, v1
	v_add_f32_e32 v20, v2, v3
	;; [unrolled: 1-line block ×8, first 2 shown]
	s_and_b64 s[2:3], vcc, s[2:3]
	v_lshlrev_b32_e32 v16, 2, v16
	s_and_saveexec_b64 s[4:5], s[2:3]
	s_xor_b64 s[2:3], exec, s[4:5]
	s_cbranch_execz .LBB121_36
; %bb.35:
	v_xor_b32_e32 v22, 0x80000000, v13
	v_mov_b32_e32 v23, v12
	v_pk_mul_f32 v[14:15], v[20:21], v[22:23] op_sel_hi:[0,1]
	v_ashrrev_i32_e32 v17, 31, v16
	v_pk_fma_f32 v[14:15], v[12:13], v[6:7], v[14:15] op_sel_hi:[1,0,1]
	v_pk_mul_f32 v[6:7], v[18:19], v[22:23] op_sel_hi:[0,1]
	s_waitcnt lgkmcnt(0)
	v_lshl_add_u64 v[24:25], v[16:17], 3, s[0:1]
	v_pk_fma_f32 v[16:17], v[12:13], v[4:5], v[6:7] op_sel_hi:[1,0,1]
	v_pk_mul_f32 v[4:5], v[10:11], v[22:23] op_sel_hi:[0,1]
	v_pk_fma_f32 v[2:3], v[12:13], v[2:3], v[4:5] op_sel_hi:[1,0,1]
	v_pk_mul_f32 v[4:5], v[8:9], v[22:23] op_sel_hi:[0,1]
	v_pk_fma_f32 v[4:5], v[12:13], v[0:1], v[4:5] op_sel_hi:[1,0,1]
	global_store_dwordx4 v[24:25], v[14:17], off
	global_store_dwordx4 v[24:25], v[2:5], off offset:16
                                        ; implicit-def: $vgpr6
                                        ; implicit-def: $vgpr20
                                        ; implicit-def: $vgpr4
                                        ; implicit-def: $vgpr18
                                        ; implicit-def: $vgpr2
                                        ; implicit-def: $vgpr10
                                        ; implicit-def: $vgpr0
                                        ; implicit-def: $vgpr8
                                        ; implicit-def: $vgpr12_vgpr13
                                        ; implicit-def: $vgpr14_vgpr15
                                        ; implicit-def: $vgpr16
.LBB121_36:
	s_andn2_saveexec_b64 s[2:3], s[2:3]
	s_cbranch_execz .LBB121_6
; %bb.37:
	v_ashrrev_i32_e32 v17, 31, v16
	s_waitcnt lgkmcnt(0)
	v_lshl_add_u64 v[16:17], v[16:17], 3, s[0:1]
	global_load_dwordx4 v[22:25], v[16:17], off
	global_load_dwordx4 v[26:29], v[16:17], off offset:16
	v_xor_b32_e32 v30, 0x80000000, v13
	v_mov_b32_e32 v31, v12
	v_pk_mul_f32 v[20:21], v[20:21], v[30:31] op_sel_hi:[0,1]
	v_pk_mul_f32 v[18:19], v[18:19], v[30:31] op_sel_hi:[0,1]
	v_pk_mul_f32 v[10:11], v[10:11], v[30:31] op_sel_hi:[0,1]
	v_pk_mul_f32 v[8:9], v[8:9], v[30:31] op_sel_hi:[0,1]
	v_pk_fma_f32 v[6:7], v[12:13], v[6:7], v[20:21] op_sel_hi:[1,0,1]
	v_pk_fma_f32 v[4:5], v[12:13], v[4:5], v[18:19] op_sel_hi:[1,0,1]
	v_xor_b32_e32 v32, 0x80000000, v15
	v_mov_b32_e32 v33, v14
	v_pk_fma_f32 v[2:3], v[12:13], v[2:3], v[10:11] op_sel_hi:[1,0,1]
	v_pk_fma_f32 v[0:1], v[12:13], v[0:1], v[8:9] op_sel_hi:[1,0,1]
	s_waitcnt vmcnt(1)
	v_pk_fma_f32 v[6:7], v[14:15], v[22:23], v[6:7] op_sel_hi:[1,0,1]
	v_pk_fma_f32 v[4:5], v[14:15], v[24:25], v[4:5] op_sel_hi:[1,0,1]
	v_mov_b32_e32 v8, v25
	s_waitcnt vmcnt(0)
	v_pk_fma_f32 v[10:11], v[14:15], v[26:27], v[2:3] op_sel_hi:[1,0,1]
	v_pk_fma_f32 v[12:13], v[14:15], v[28:29], v[0:1] op_sel_hi:[1,0,1]
	v_mov_b32_e32 v14, v29
	v_pk_fma_f32 v[0:1], v[32:33], v[22:23], v[6:7] op_sel:[0,1,0]
	v_pk_fma_f32 v[2:3], v[32:33], v[8:9], v[4:5] op_sel_hi:[1,0,1]
	v_pk_fma_f32 v[4:5], v[32:33], v[26:27], v[10:11] op_sel:[0,1,0]
	v_pk_fma_f32 v[6:7], v[32:33], v[14:15], v[12:13] op_sel_hi:[1,0,1]
	global_store_dwordx4 v[16:17], v[0:3], off
	global_store_dwordx4 v[16:17], v[4:7], off offset:16
	s_endpgm
	.section	.rodata,"a",@progbits
	.p2align	6, 0x0
	.amdhsa_kernel _ZN9rocsparseL18bsrxmvn_4x4_kernelILj128ELj8E21rocsparse_complex_numIfEiifS2_S2_EEvT3_20rocsparse_direction_NS_24const_host_device_scalarIT1_EES3_PKS3_PKT2_SC_S9_PKT4_PKT5_S7_PT6_21rocsparse_index_base_b
		.amdhsa_group_segment_fixed_size 0
		.amdhsa_private_segment_fixed_size 0
		.amdhsa_kernarg_size 96
		.amdhsa_user_sgpr_count 2
		.amdhsa_user_sgpr_dispatch_ptr 0
		.amdhsa_user_sgpr_queue_ptr 0
		.amdhsa_user_sgpr_kernarg_segment_ptr 1
		.amdhsa_user_sgpr_dispatch_id 0
		.amdhsa_user_sgpr_kernarg_preload_length 0
		.amdhsa_user_sgpr_kernarg_preload_offset 0
		.amdhsa_user_sgpr_private_segment_size 0
		.amdhsa_uses_dynamic_stack 0
		.amdhsa_enable_private_segment 0
		.amdhsa_system_sgpr_workgroup_id_x 1
		.amdhsa_system_sgpr_workgroup_id_y 0
		.amdhsa_system_sgpr_workgroup_id_z 0
		.amdhsa_system_sgpr_workgroup_info 0
		.amdhsa_system_vgpr_workitem_id 0
		.amdhsa_next_free_vgpr 134
		.amdhsa_next_free_sgpr 20
		.amdhsa_accum_offset 136
		.amdhsa_reserve_vcc 1
		.amdhsa_float_round_mode_32 0
		.amdhsa_float_round_mode_16_64 0
		.amdhsa_float_denorm_mode_32 3
		.amdhsa_float_denorm_mode_16_64 3
		.amdhsa_dx10_clamp 1
		.amdhsa_ieee_mode 1
		.amdhsa_fp16_overflow 0
		.amdhsa_tg_split 0
		.amdhsa_exception_fp_ieee_invalid_op 0
		.amdhsa_exception_fp_denorm_src 0
		.amdhsa_exception_fp_ieee_div_zero 0
		.amdhsa_exception_fp_ieee_overflow 0
		.amdhsa_exception_fp_ieee_underflow 0
		.amdhsa_exception_fp_ieee_inexact 0
		.amdhsa_exception_int_div_zero 0
	.end_amdhsa_kernel
	.section	.text._ZN9rocsparseL18bsrxmvn_4x4_kernelILj128ELj8E21rocsparse_complex_numIfEiifS2_S2_EEvT3_20rocsparse_direction_NS_24const_host_device_scalarIT1_EES3_PKS3_PKT2_SC_S9_PKT4_PKT5_S7_PT6_21rocsparse_index_base_b,"axG",@progbits,_ZN9rocsparseL18bsrxmvn_4x4_kernelILj128ELj8E21rocsparse_complex_numIfEiifS2_S2_EEvT3_20rocsparse_direction_NS_24const_host_device_scalarIT1_EES3_PKS3_PKT2_SC_S9_PKT4_PKT5_S7_PT6_21rocsparse_index_base_b,comdat
.Lfunc_end121:
	.size	_ZN9rocsparseL18bsrxmvn_4x4_kernelILj128ELj8E21rocsparse_complex_numIfEiifS2_S2_EEvT3_20rocsparse_direction_NS_24const_host_device_scalarIT1_EES3_PKS3_PKT2_SC_S9_PKT4_PKT5_S7_PT6_21rocsparse_index_base_b, .Lfunc_end121-_ZN9rocsparseL18bsrxmvn_4x4_kernelILj128ELj8E21rocsparse_complex_numIfEiifS2_S2_EEvT3_20rocsparse_direction_NS_24const_host_device_scalarIT1_EES3_PKS3_PKT2_SC_S9_PKT4_PKT5_S7_PT6_21rocsparse_index_base_b
                                        ; -- End function
	.set _ZN9rocsparseL18bsrxmvn_4x4_kernelILj128ELj8E21rocsparse_complex_numIfEiifS2_S2_EEvT3_20rocsparse_direction_NS_24const_host_device_scalarIT1_EES3_PKS3_PKT2_SC_S9_PKT4_PKT5_S7_PT6_21rocsparse_index_base_b.num_vgpr, 134
	.set _ZN9rocsparseL18bsrxmvn_4x4_kernelILj128ELj8E21rocsparse_complex_numIfEiifS2_S2_EEvT3_20rocsparse_direction_NS_24const_host_device_scalarIT1_EES3_PKS3_PKT2_SC_S9_PKT4_PKT5_S7_PT6_21rocsparse_index_base_b.num_agpr, 0
	.set _ZN9rocsparseL18bsrxmvn_4x4_kernelILj128ELj8E21rocsparse_complex_numIfEiifS2_S2_EEvT3_20rocsparse_direction_NS_24const_host_device_scalarIT1_EES3_PKS3_PKT2_SC_S9_PKT4_PKT5_S7_PT6_21rocsparse_index_base_b.numbered_sgpr, 20
	.set _ZN9rocsparseL18bsrxmvn_4x4_kernelILj128ELj8E21rocsparse_complex_numIfEiifS2_S2_EEvT3_20rocsparse_direction_NS_24const_host_device_scalarIT1_EES3_PKS3_PKT2_SC_S9_PKT4_PKT5_S7_PT6_21rocsparse_index_base_b.num_named_barrier, 0
	.set _ZN9rocsparseL18bsrxmvn_4x4_kernelILj128ELj8E21rocsparse_complex_numIfEiifS2_S2_EEvT3_20rocsparse_direction_NS_24const_host_device_scalarIT1_EES3_PKS3_PKT2_SC_S9_PKT4_PKT5_S7_PT6_21rocsparse_index_base_b.private_seg_size, 0
	.set _ZN9rocsparseL18bsrxmvn_4x4_kernelILj128ELj8E21rocsparse_complex_numIfEiifS2_S2_EEvT3_20rocsparse_direction_NS_24const_host_device_scalarIT1_EES3_PKS3_PKT2_SC_S9_PKT4_PKT5_S7_PT6_21rocsparse_index_base_b.uses_vcc, 1
	.set _ZN9rocsparseL18bsrxmvn_4x4_kernelILj128ELj8E21rocsparse_complex_numIfEiifS2_S2_EEvT3_20rocsparse_direction_NS_24const_host_device_scalarIT1_EES3_PKS3_PKT2_SC_S9_PKT4_PKT5_S7_PT6_21rocsparse_index_base_b.uses_flat_scratch, 0
	.set _ZN9rocsparseL18bsrxmvn_4x4_kernelILj128ELj8E21rocsparse_complex_numIfEiifS2_S2_EEvT3_20rocsparse_direction_NS_24const_host_device_scalarIT1_EES3_PKS3_PKT2_SC_S9_PKT4_PKT5_S7_PT6_21rocsparse_index_base_b.has_dyn_sized_stack, 0
	.set _ZN9rocsparseL18bsrxmvn_4x4_kernelILj128ELj8E21rocsparse_complex_numIfEiifS2_S2_EEvT3_20rocsparse_direction_NS_24const_host_device_scalarIT1_EES3_PKS3_PKT2_SC_S9_PKT4_PKT5_S7_PT6_21rocsparse_index_base_b.has_recursion, 0
	.set _ZN9rocsparseL18bsrxmvn_4x4_kernelILj128ELj8E21rocsparse_complex_numIfEiifS2_S2_EEvT3_20rocsparse_direction_NS_24const_host_device_scalarIT1_EES3_PKS3_PKT2_SC_S9_PKT4_PKT5_S7_PT6_21rocsparse_index_base_b.has_indirect_call, 0
	.section	.AMDGPU.csdata,"",@progbits
; Kernel info:
; codeLenInByte = 6592
; TotalNumSgprs: 26
; NumVgprs: 134
; NumAgprs: 0
; TotalNumVgprs: 134
; ScratchSize: 0
; MemoryBound: 0
; FloatMode: 240
; IeeeMode: 1
; LDSByteSize: 0 bytes/workgroup (compile time only)
; SGPRBlocks: 3
; VGPRBlocks: 16
; NumSGPRsForWavesPerEU: 26
; NumVGPRsForWavesPerEU: 134
; AccumOffset: 136
; Occupancy: 3
; WaveLimiterHint : 1
; COMPUTE_PGM_RSRC2:SCRATCH_EN: 0
; COMPUTE_PGM_RSRC2:USER_SGPR: 2
; COMPUTE_PGM_RSRC2:TRAP_HANDLER: 0
; COMPUTE_PGM_RSRC2:TGID_X_EN: 1
; COMPUTE_PGM_RSRC2:TGID_Y_EN: 0
; COMPUTE_PGM_RSRC2:TGID_Z_EN: 0
; COMPUTE_PGM_RSRC2:TIDIG_COMP_CNT: 0
; COMPUTE_PGM_RSRC3_GFX90A:ACCUM_OFFSET: 33
; COMPUTE_PGM_RSRC3_GFX90A:TG_SPLIT: 0
	.section	.text._ZN9rocsparseL18bsrxmvn_4x4_kernelILj128ELj16E21rocsparse_complex_numIfEiifS2_S2_EEvT3_20rocsparse_direction_NS_24const_host_device_scalarIT1_EES3_PKS3_PKT2_SC_S9_PKT4_PKT5_S7_PT6_21rocsparse_index_base_b,"axG",@progbits,_ZN9rocsparseL18bsrxmvn_4x4_kernelILj128ELj16E21rocsparse_complex_numIfEiifS2_S2_EEvT3_20rocsparse_direction_NS_24const_host_device_scalarIT1_EES3_PKS3_PKT2_SC_S9_PKT4_PKT5_S7_PT6_21rocsparse_index_base_b,comdat
	.globl	_ZN9rocsparseL18bsrxmvn_4x4_kernelILj128ELj16E21rocsparse_complex_numIfEiifS2_S2_EEvT3_20rocsparse_direction_NS_24const_host_device_scalarIT1_EES3_PKS3_PKT2_SC_S9_PKT4_PKT5_S7_PT6_21rocsparse_index_base_b ; -- Begin function _ZN9rocsparseL18bsrxmvn_4x4_kernelILj128ELj16E21rocsparse_complex_numIfEiifS2_S2_EEvT3_20rocsparse_direction_NS_24const_host_device_scalarIT1_EES3_PKS3_PKT2_SC_S9_PKT4_PKT5_S7_PT6_21rocsparse_index_base_b
	.p2align	8
	.type	_ZN9rocsparseL18bsrxmvn_4x4_kernelILj128ELj16E21rocsparse_complex_numIfEiifS2_S2_EEvT3_20rocsparse_direction_NS_24const_host_device_scalarIT1_EES3_PKS3_PKT2_SC_S9_PKT4_PKT5_S7_PT6_21rocsparse_index_base_b,@function
_ZN9rocsparseL18bsrxmvn_4x4_kernelILj128ELj16E21rocsparse_complex_numIfEiifS2_S2_EEvT3_20rocsparse_direction_NS_24const_host_device_scalarIT1_EES3_PKS3_PKT2_SC_S9_PKT4_PKT5_S7_PT6_21rocsparse_index_base_b: ; @_ZN9rocsparseL18bsrxmvn_4x4_kernelILj128ELj16E21rocsparse_complex_numIfEiifS2_S2_EEvT3_20rocsparse_direction_NS_24const_host_device_scalarIT1_EES3_PKS3_PKT2_SC_S9_PKT4_PKT5_S7_PT6_21rocsparse_index_base_b
; %bb.0:
	s_load_dwordx2 s[4:5], s[0:1], 0x8
	s_load_dwordx2 s[16:17], s[0:1], 0x58
	s_add_u32 s3, s0, 8
	s_addc_u32 s8, s1, 0
	s_load_dwordx2 s[6:7], s[0:1], 0x48
	s_add_u32 s9, s0, 0x48
	s_addc_u32 s10, s1, 0
	s_waitcnt lgkmcnt(0)
	s_bitcmp1_b32 s17, 0
	s_cselect_b32 s3, s3, s4
	s_cselect_b32 s5, s8, s5
	v_mov_b32_e32 v2, s3
	s_cselect_b32 s3, s10, s7
	s_cselect_b32 s4, s9, s6
	v_mov_b32_e32 v3, s5
	v_mov_b32_e32 v4, s4
	;; [unrolled: 1-line block ×3, first 2 shown]
	flat_load_dwordx2 v[12:13], v[2:3]
	flat_load_dwordx2 v[14:15], v[4:5]
	s_waitcnt vmcnt(0) lgkmcnt(0)
	v_cmp_neq_f32_e32 vcc, 0, v12
	v_cmp_neq_f32_e64 s[4:5], 0, v13
	v_cmp_neq_f32_e64 s[8:9], 1.0, v14
	v_cmp_neq_f32_e64 s[6:7], 0, v15
	s_or_b64 s[4:5], vcc, s[4:5]
	s_or_b64 s[8:9], s[8:9], s[6:7]
	s_or_b64 s[4:5], s[4:5], s[8:9]
	s_and_saveexec_b64 s[8:9], s[4:5]
	s_cbranch_execz .LBB122_6
; %bb.1:
	s_load_dwordx2 s[8:9], s[0:1], 0x18
	s_load_dwordx2 s[4:5], s[0:1], 0x0
	v_lshrrev_b32_e32 v1, 4, v0
	v_lshl_or_b32 v16, s2, 3, v1
	s_mov_b64 s[2:3], 0
	s_waitcnt lgkmcnt(0)
	s_cmp_lg_u64 s[8:9], 0
	s_cbranch_scc0 .LBB122_7
; %bb.2:
	s_load_dword s10, s[0:1], 0x10
                                        ; implicit-def: $vgpr1
	s_waitcnt lgkmcnt(0)
	v_cmp_gt_i32_e32 vcc, s10, v16
	s_and_saveexec_b64 s[10:11], vcc
	s_xor_b64 s[10:11], exec, s[10:11]
	s_cbranch_execz .LBB122_4
; %bb.3:
	v_ashrrev_i32_e32 v17, 31, v16
	v_lshl_add_u64 v[2:3], v[16:17], 2, s[8:9]
	global_load_dword v1, v[2:3], off
	s_mov_b64 s[2:3], exec
	s_waitcnt vmcnt(0)
	v_subrev_u32_e32 v1, s16, v1
.LBB122_4:
	s_or_b64 exec, exec, s[10:11]
	s_branch .LBB122_8
.LBB122_5:
	v_cmp_gt_i32_e32 vcc, s4, v16
	s_andn2_b64 s[2:3], s[2:3], exec
	s_and_b64 s[8:9], vcc, exec
	s_or_b64 s[2:3], s[2:3], s[8:9]
	s_and_b64 exec, exec, s[2:3]
	s_cbranch_execnz .LBB122_9
.LBB122_6:
	s_endpgm
.LBB122_7:
                                        ; implicit-def: $vgpr1
	s_cbranch_execnz .LBB122_5
.LBB122_8:
	v_mov_b32_e32 v16, v1
	s_and_b64 exec, exec, s[2:3]
	s_cbranch_execz .LBB122_6
.LBB122_9:
	s_load_dwordx8 s[8:15], s[0:1], 0x20
	v_ashrrev_i32_e32 v17, 31, v16
	v_lshlrev_b64 v[2:3], 2, v[16:17]
	s_load_dwordx2 s[2:3], s[0:1], 0x40
	v_and_b32_e32 v17, 15, v0
	s_waitcnt lgkmcnt(0)
	v_lshl_add_u64 v[4:5], s[8:9], 0, v[2:3]
	s_cmp_eq_u64 s[10:11], 0
	global_load_dword v10, v[4:5], off
	v_lshl_add_u64 v[4:5], v[4:5], 0, 4
	v_lshl_add_u64 v[2:3], s[10:11], 0, v[2:3]
	s_cselect_b64 vcc, -1, 0
	v_cndmask_b32_e32 v3, v3, v5, vcc
	v_cndmask_b32_e32 v2, v2, v4, vcc
	global_load_dword v1, v[2:3], off
	s_cmp_eq_u32 s5, 1
	s_waitcnt vmcnt(1)
	v_subrev_u32_e32 v0, s16, v10
	v_add_u32_e32 v18, v0, v17
	v_ashrrev_i32_e32 v19, 31, v18
	s_waitcnt vmcnt(0)
	v_subrev_u32_e32 v34, s16, v1
	v_lshlrev_b64 v[0:1], 6, v[18:19]
	v_lshl_add_u64 v[20:21], s[14:15], 0, v[0:1]
	v_cmp_lt_i32_e64 s[4:5], v18, v34
	s_cbranch_scc1 .LBB122_21
; %bb.10:
	v_mov_b32_e32 v29, 0
	v_mov_b32_e32 v28, 0
	;; [unrolled: 1-line block ×8, first 2 shown]
	s_and_saveexec_b64 s[8:9], s[4:5]
	s_cbranch_execz .LBB122_20
; %bb.11:
	v_add_u32_e32 v0, v10, v17
	v_subrev_u32_e32 v0, s16, v0
	v_add_u32_e32 v0, 16, v0
	v_max_i32_e32 v0, v0, v34
	v_not_b32_e32 v1, v10
	v_add3_u32 v0, s16, v0, v1
	v_sub_u32_e32 v8, v0, v17
	v_mov_b32_e32 v5, 0
	v_and_b32_e32 v0, 48, v8
	v_mov_b32_e32 v4, v5
	v_cmp_ne_u32_e32 vcc, 48, v0
	v_mov_b64_e32 v[28:29], v[4:5]
	v_mov_b64_e32 v[26:27], v[4:5]
	;; [unrolled: 1-line block ×5, first 2 shown]
	v_mov_b32_e32 v0, v18
	s_and_saveexec_b64 s[10:11], vcc
	s_cbranch_execz .LBB122_15
; %bb.12:
	v_lshrrev_b32_e32 v0, 4, v8
	v_add_u32_e32 v0, 1, v0
	v_and_b32_e32 v0, 3, v0
	v_sub_u32_e32 v9, 0, v0
	s_mov_b64 s[14:15], 0
	s_mov_b64 s[18:19], 0x400
	v_bfrev_b32_e32 v6, 1
	v_mov_b32_e32 v0, v18
	v_mov_b64_e32 v[2:3], v[20:21]
	v_mov_b32_e32 v22, v5
	v_mov_b32_e32 v23, v5
	;; [unrolled: 1-line block ×8, first 2 shown]
.LBB122_13:                             ; =>This Inner Loop Header: Depth=1
	v_ashrrev_i32_e32 v1, 31, v0
	v_lshl_add_u64 v[30:31], v[0:1], 2, s[12:13]
	global_load_dword v1, v[30:31], off
	global_load_dwordx4 v[44:47], v[2:3], off offset:16
	global_load_dwordx4 v[48:51], v[2:3], off
	v_add_co_u32_e32 v9, vcc, 1, v9
	v_add_u32_e32 v0, 16, v0
	s_or_b64 s[14:15], vcc, s[14:15]
	s_waitcnt vmcnt(2)
	v_subrev_u32_e32 v1, s16, v1
	v_lshlrev_b32_e32 v30, 2, v1
	v_ashrrev_i32_e32 v31, 31, v30
	v_lshl_add_u64 v[40:41], v[30:31], 3, s[2:3]
	global_load_dwordx4 v[30:33], v[40:41], off
	global_load_dwordx4 v[36:39], v[40:41], off offset:16
	global_load_dwordx4 v[52:55], v[2:3], off offset:32
	;; [unrolled: 1-line block ×3, first 2 shown]
	s_waitcnt vmcnt(4)
	v_mov_b32_e32 v4, v48
	v_mov_b32_e32 v7, v48
	v_lshl_add_u64 v[2:3], v[2:3], 0, s[18:19]
	s_waitcnt vmcnt(3)
	v_pk_fma_f32 v[28:29], v[30:31], v[4:5], v[28:29] op_sel_hi:[0,1,1]
	v_mov_b32_e32 v4, v49
	v_pk_fma_f32 v[28:29], v[30:31], v[6:7], v[28:29] op_sel:[1,0,0]
	v_mov_b32_e32 v40, v33
	v_mov_b32_e32 v7, v49
	v_pk_fma_f32 v[28:29], v[32:33], v[4:5], v[28:29] op_sel_hi:[0,1,1]
	v_mov_b32_e32 v4, v50
	v_pk_fma_f32 v[28:29], v[40:41], v[6:7], v[28:29] op_sel_hi:[0,1,1]
	v_mov_b32_e32 v7, v50
	s_waitcnt vmcnt(2)
	v_pk_fma_f32 v[28:29], v[36:37], v[4:5], v[28:29] op_sel_hi:[0,1,1]
	v_mov_b32_e32 v4, v51
	v_pk_fma_f32 v[28:29], v[36:37], v[6:7], v[28:29] op_sel:[1,0,0]
	v_mov_b32_e32 v42, v39
	v_mov_b32_e32 v7, v51
	v_pk_fma_f32 v[28:29], v[38:39], v[4:5], v[28:29] op_sel_hi:[0,1,1]
	v_mov_b32_e32 v4, v44
	v_pk_fma_f32 v[28:29], v[42:43], v[6:7], v[28:29] op_sel_hi:[0,1,1]
	v_pk_fma_f32 v[26:27], v[30:31], v[4:5], v[26:27] op_sel_hi:[0,1,1]
	v_mov_b32_e32 v7, v44
	v_mov_b32_e32 v4, v45
	v_pk_fma_f32 v[26:27], v[30:31], v[6:7], v[26:27] op_sel:[1,0,0]
	v_mov_b32_e32 v7, v45
	v_pk_fma_f32 v[26:27], v[32:33], v[4:5], v[26:27] op_sel_hi:[0,1,1]
	v_mov_b32_e32 v4, v46
	v_pk_fma_f32 v[26:27], v[40:41], v[6:7], v[26:27] op_sel_hi:[0,1,1]
	;; [unrolled: 2-line block ×3, first 2 shown]
	v_mov_b32_e32 v4, v47
	v_pk_fma_f32 v[26:27], v[36:37], v[6:7], v[26:27] op_sel:[1,0,0]
	v_mov_b32_e32 v7, v47
	v_pk_fma_f32 v[26:27], v[38:39], v[4:5], v[26:27] op_sel_hi:[0,1,1]
	s_waitcnt vmcnt(1)
	v_mov_b32_e32 v4, v52
	v_pk_fma_f32 v[26:27], v[42:43], v[6:7], v[26:27] op_sel_hi:[0,1,1]
	v_pk_fma_f32 v[24:25], v[30:31], v[4:5], v[24:25] op_sel_hi:[0,1,1]
	v_mov_b32_e32 v7, v52
	v_mov_b32_e32 v4, v53
	v_pk_fma_f32 v[24:25], v[30:31], v[6:7], v[24:25] op_sel:[1,0,0]
	v_mov_b32_e32 v7, v53
	v_pk_fma_f32 v[24:25], v[32:33], v[4:5], v[24:25] op_sel_hi:[0,1,1]
	v_mov_b32_e32 v4, v54
	v_pk_fma_f32 v[24:25], v[40:41], v[6:7], v[24:25] op_sel_hi:[0,1,1]
	;; [unrolled: 2-line block ×3, first 2 shown]
	v_mov_b32_e32 v4, v55
	v_pk_fma_f32 v[24:25], v[36:37], v[6:7], v[24:25] op_sel:[1,0,0]
	v_mov_b32_e32 v7, v55
	v_pk_fma_f32 v[24:25], v[38:39], v[4:5], v[24:25] op_sel_hi:[0,1,1]
	s_waitcnt vmcnt(0)
	v_mov_b32_e32 v4, v56
	v_pk_fma_f32 v[24:25], v[42:43], v[6:7], v[24:25] op_sel_hi:[0,1,1]
	v_pk_fma_f32 v[22:23], v[30:31], v[4:5], v[22:23] op_sel_hi:[0,1,1]
	v_mov_b32_e32 v7, v56
	v_mov_b32_e32 v4, v57
	v_pk_fma_f32 v[22:23], v[30:31], v[6:7], v[22:23] op_sel:[1,0,0]
	v_mov_b32_e32 v7, v57
	v_pk_fma_f32 v[22:23], v[32:33], v[4:5], v[22:23] op_sel_hi:[0,1,1]
	v_mov_b32_e32 v4, v58
	v_pk_fma_f32 v[22:23], v[40:41], v[6:7], v[22:23] op_sel_hi:[0,1,1]
	;; [unrolled: 2-line block ×3, first 2 shown]
	v_mov_b32_e32 v4, v59
	v_pk_fma_f32 v[22:23], v[36:37], v[6:7], v[22:23] op_sel:[1,0,0]
	v_mov_b32_e32 v7, v59
	v_pk_fma_f32 v[22:23], v[38:39], v[4:5], v[22:23] op_sel_hi:[0,1,1]
	v_pk_fma_f32 v[22:23], v[42:43], v[6:7], v[22:23] op_sel_hi:[0,1,1]
	s_andn2_b64 exec, exec, s[14:15]
	s_cbranch_execnz .LBB122_13
; %bb.14:
	s_or_b64 exec, exec, s[14:15]
.LBB122_15:
	s_or_b64 exec, exec, s[10:11]
	v_cmp_lt_u32_e32 vcc, 47, v8
	s_and_saveexec_b64 s[10:11], vcc
	s_cbranch_execz .LBB122_19
; %bb.16:
	s_mov_b64 s[14:15], 0
	v_mov_b32_e32 v5, 0
	s_mov_b64 s[18:19], 0x1000
	v_bfrev_b32_e32 v6, 1
.LBB122_17:                             ; =>This Inner Loop Header: Depth=1
	v_ashrrev_i32_e32 v1, 31, v0
	v_lshl_add_u64 v[8:9], v[0:1], 2, s[12:13]
	global_load_dword v1, v[8:9], off
	v_add_u32_e32 v0, 64, v0
	v_cmp_ge_i32_e32 vcc, v0, v34
	s_or_b64 s[14:15], vcc, s[14:15]
	s_waitcnt vmcnt(0)
	v_subrev_u32_e32 v1, s16, v1
	v_lshlrev_b32_e32 v30, 2, v1
	v_ashrrev_i32_e32 v31, 31, v30
	v_lshl_add_u64 v[40:41], v[30:31], 3, s[2:3]
	global_load_dwordx4 v[30:33], v[40:41], off offset:16
	global_load_dwordx4 v[36:39], v[40:41], off
	global_load_dwordx4 v[50:53], v[2:3], off offset:48
	global_load_dwordx4 v[54:57], v[2:3], off offset:32
	;; [unrolled: 1-line block ×3, first 2 shown]
	global_load_dwordx4 v[42:45], v[2:3], off
	global_load_dword v1, v[8:9], off offset:64
	s_waitcnt vmcnt(5)
	v_mov_b32_e32 v40, v39
	s_waitcnt vmcnt(1)
	v_mov_b32_e32 v4, v42
	v_pk_fma_f32 v[28:29], v[36:37], v[4:5], v[28:29] op_sel_hi:[0,1,1]
	v_mov_b32_e32 v7, v42
	v_pk_fma_f32 v[28:29], v[36:37], v[6:7], v[28:29] op_sel:[1,0,0]
	v_mov_b32_e32 v4, v43
	v_pk_fma_f32 v[28:29], v[38:39], v[4:5], v[28:29] op_sel_hi:[0,1,1]
	v_mov_b32_e32 v7, v43
	v_pk_fma_f32 v[28:29], v[40:41], v[6:7], v[28:29] op_sel_hi:[0,1,1]
	;; [unrolled: 2-line block ×3, first 2 shown]
	v_mov_b32_e32 v7, v44
	v_pk_fma_f32 v[28:29], v[30:31], v[6:7], v[28:29] op_sel:[1,0,0]
	v_mov_b32_e32 v4, v45
	v_pk_fma_f32 v[28:29], v[32:33], v[4:5], v[28:29] op_sel_hi:[0,1,1]
	v_mov_b32_e32 v42, v33
	v_mov_b32_e32 v7, v45
	;; [unrolled: 1-line block ×3, first 2 shown]
	v_pk_fma_f32 v[44:45], v[42:43], v[6:7], v[28:29] op_sel_hi:[0,1,1]
	v_pk_fma_f32 v[26:27], v[36:37], v[4:5], v[26:27] op_sel_hi:[0,1,1]
	v_mov_b32_e32 v7, v46
	v_pk_fma_f32 v[26:27], v[36:37], v[6:7], v[26:27] op_sel:[1,0,0]
	v_mov_b32_e32 v4, v47
	v_pk_fma_f32 v[26:27], v[38:39], v[4:5], v[26:27] op_sel_hi:[0,1,1]
	v_mov_b32_e32 v7, v47
	v_pk_fma_f32 v[26:27], v[40:41], v[6:7], v[26:27] op_sel_hi:[0,1,1]
	;; [unrolled: 2-line block ×3, first 2 shown]
	v_mov_b32_e32 v7, v48
	v_pk_fma_f32 v[26:27], v[30:31], v[6:7], v[26:27] op_sel:[1,0,0]
	v_mov_b32_e32 v4, v49
	v_pk_fma_f32 v[26:27], v[32:33], v[4:5], v[26:27] op_sel_hi:[0,1,1]
	v_mov_b32_e32 v7, v49
	v_mov_b32_e32 v4, v54
	v_pk_fma_f32 v[46:47], v[42:43], v[6:7], v[26:27] op_sel_hi:[0,1,1]
	v_pk_fma_f32 v[24:25], v[36:37], v[4:5], v[24:25] op_sel_hi:[0,1,1]
	v_mov_b32_e32 v7, v54
	v_pk_fma_f32 v[24:25], v[36:37], v[6:7], v[24:25] op_sel:[1,0,0]
	v_mov_b32_e32 v4, v55
	v_pk_fma_f32 v[24:25], v[38:39], v[4:5], v[24:25] op_sel_hi:[0,1,1]
	v_mov_b32_e32 v7, v55
	v_pk_fma_f32 v[24:25], v[40:41], v[6:7], v[24:25] op_sel_hi:[0,1,1]
	;; [unrolled: 2-line block ×3, first 2 shown]
	v_mov_b32_e32 v7, v56
	v_pk_fma_f32 v[24:25], v[30:31], v[6:7], v[24:25] op_sel:[1,0,0]
	v_mov_b32_e32 v4, v57
	v_pk_fma_f32 v[24:25], v[32:33], v[4:5], v[24:25] op_sel_hi:[0,1,1]
	v_mov_b32_e32 v7, v57
	v_mov_b32_e32 v4, v50
	v_pk_fma_f32 v[48:49], v[42:43], v[6:7], v[24:25] op_sel_hi:[0,1,1]
	v_pk_fma_f32 v[22:23], v[36:37], v[4:5], v[22:23] op_sel_hi:[0,1,1]
	v_mov_b32_e32 v7, v50
	v_pk_fma_f32 v[22:23], v[36:37], v[6:7], v[22:23] op_sel:[1,0,0]
	v_mov_b32_e32 v4, v51
	v_pk_fma_f32 v[22:23], v[38:39], v[4:5], v[22:23] op_sel_hi:[0,1,1]
	v_mov_b32_e32 v7, v51
	v_pk_fma_f32 v[22:23], v[40:41], v[6:7], v[22:23] op_sel_hi:[0,1,1]
	;; [unrolled: 2-line block ×3, first 2 shown]
	v_mov_b32_e32 v7, v52
	v_pk_fma_f32 v[22:23], v[30:31], v[6:7], v[22:23] op_sel:[1,0,0]
	v_mov_b32_e32 v4, v53
	v_pk_fma_f32 v[22:23], v[32:33], v[4:5], v[22:23] op_sel_hi:[0,1,1]
	v_mov_b32_e32 v7, v53
	s_waitcnt vmcnt(0)
	v_subrev_u32_e32 v1, s16, v1
	v_pk_fma_f32 v[30:31], v[42:43], v[6:7], v[22:23] op_sel_hi:[0,1,1]
	v_lshlrev_b32_e32 v22, 2, v1
	v_ashrrev_i32_e32 v23, 31, v22
	v_lshl_add_u64 v[32:33], v[22:23], 3, s[2:3]
	global_load_dwordx4 v[22:25], v[32:33], off offset:16
	global_load_dwordx4 v[26:29], v[32:33], off
	global_load_dwordx4 v[50:53], v[2:3], off offset:1072
	global_load_dwordx4 v[54:57], v[2:3], off offset:1056
	;; [unrolled: 1-line block ×4, first 2 shown]
	global_load_dword v1, v[8:9], off offset:128
	s_waitcnt vmcnt(1)
	v_mov_b32_e32 v4, v36
	v_pk_fma_f32 v[32:33], v[26:27], v[4:5], v[44:45] op_sel_hi:[0,1,1]
	v_mov_b32_e32 v7, v36
	v_pk_fma_f32 v[32:33], v[26:27], v[6:7], v[32:33] op_sel:[1,0,0]
	v_mov_b32_e32 v4, v37
	v_pk_fma_f32 v[32:33], v[28:29], v[4:5], v[32:33] op_sel_hi:[0,1,1]
	v_mov_b32_e32 v36, v29
	v_mov_b32_e32 v7, v37
	v_pk_fma_f32 v[32:33], v[36:37], v[6:7], v[32:33] op_sel_hi:[0,1,1]
	v_mov_b32_e32 v4, v38
	v_pk_fma_f32 v[32:33], v[22:23], v[4:5], v[32:33] op_sel_hi:[0,1,1]
	v_mov_b32_e32 v7, v38
	v_pk_fma_f32 v[32:33], v[22:23], v[6:7], v[32:33] op_sel:[1,0,0]
	v_mov_b32_e32 v4, v39
	v_pk_fma_f32 v[32:33], v[24:25], v[4:5], v[32:33] op_sel_hi:[0,1,1]
	v_mov_b32_e32 v38, v25
	v_mov_b32_e32 v7, v39
	;; [unrolled: 1-line block ×3, first 2 shown]
	v_pk_fma_f32 v[32:33], v[38:39], v[6:7], v[32:33] op_sel_hi:[0,1,1]
	v_pk_fma_f32 v[40:41], v[26:27], v[4:5], v[46:47] op_sel_hi:[0,1,1]
	v_mov_b32_e32 v7, v58
	v_pk_fma_f32 v[40:41], v[26:27], v[6:7], v[40:41] op_sel:[1,0,0]
	v_mov_b32_e32 v4, v59
	v_pk_fma_f32 v[40:41], v[28:29], v[4:5], v[40:41] op_sel_hi:[0,1,1]
	v_mov_b32_e32 v7, v59
	v_pk_fma_f32 v[40:41], v[36:37], v[6:7], v[40:41] op_sel_hi:[0,1,1]
	;; [unrolled: 2-line block ×3, first 2 shown]
	v_mov_b32_e32 v7, v60
	v_pk_fma_f32 v[40:41], v[22:23], v[6:7], v[40:41] op_sel:[1,0,0]
	v_mov_b32_e32 v4, v61
	v_pk_fma_f32 v[40:41], v[24:25], v[4:5], v[40:41] op_sel_hi:[0,1,1]
	v_mov_b32_e32 v7, v61
	v_mov_b32_e32 v4, v54
	v_pk_fma_f32 v[40:41], v[38:39], v[6:7], v[40:41] op_sel_hi:[0,1,1]
	v_pk_fma_f32 v[42:43], v[26:27], v[4:5], v[48:49] op_sel_hi:[0,1,1]
	v_mov_b32_e32 v7, v54
	v_pk_fma_f32 v[42:43], v[26:27], v[6:7], v[42:43] op_sel:[1,0,0]
	v_mov_b32_e32 v4, v55
	v_pk_fma_f32 v[42:43], v[28:29], v[4:5], v[42:43] op_sel_hi:[0,1,1]
	v_mov_b32_e32 v7, v55
	v_pk_fma_f32 v[42:43], v[36:37], v[6:7], v[42:43] op_sel_hi:[0,1,1]
	;; [unrolled: 2-line block ×3, first 2 shown]
	v_mov_b32_e32 v7, v56
	v_pk_fma_f32 v[42:43], v[22:23], v[6:7], v[42:43] op_sel:[1,0,0]
	v_mov_b32_e32 v4, v57
	v_pk_fma_f32 v[42:43], v[24:25], v[4:5], v[42:43] op_sel_hi:[0,1,1]
	v_mov_b32_e32 v7, v57
	v_mov_b32_e32 v4, v50
	v_pk_fma_f32 v[42:43], v[38:39], v[6:7], v[42:43] op_sel_hi:[0,1,1]
	v_pk_fma_f32 v[30:31], v[26:27], v[4:5], v[30:31] op_sel_hi:[0,1,1]
	v_mov_b32_e32 v7, v50
	v_pk_fma_f32 v[26:27], v[26:27], v[6:7], v[30:31] op_sel:[1,0,0]
	v_mov_b32_e32 v4, v51
	v_pk_fma_f32 v[26:27], v[28:29], v[4:5], v[26:27] op_sel_hi:[0,1,1]
	v_mov_b32_e32 v7, v51
	v_pk_fma_f32 v[26:27], v[36:37], v[6:7], v[26:27] op_sel_hi:[0,1,1]
	;; [unrolled: 2-line block ×3, first 2 shown]
	v_mov_b32_e32 v7, v52
	v_pk_fma_f32 v[22:23], v[22:23], v[6:7], v[26:27] op_sel:[1,0,0]
	v_mov_b32_e32 v4, v53
	v_pk_fma_f32 v[22:23], v[24:25], v[4:5], v[22:23] op_sel_hi:[0,1,1]
	v_mov_b32_e32 v7, v53
	s_waitcnt vmcnt(0)
	v_subrev_u32_e32 v1, s16, v1
	v_pk_fma_f32 v[30:31], v[38:39], v[6:7], v[22:23] op_sel_hi:[0,1,1]
	v_lshlrev_b32_e32 v22, 2, v1
	v_ashrrev_i32_e32 v23, 31, v22
	v_lshl_add_u64 v[36:37], v[22:23], 3, s[2:3]
	global_load_dwordx4 v[22:25], v[36:37], off offset:16
	global_load_dwordx4 v[26:29], v[36:37], off
	global_load_dwordx4 v[46:49], v[2:3], off offset:2096
	global_load_dwordx4 v[50:53], v[2:3], off offset:2080
	;; [unrolled: 1-line block ×4, first 2 shown]
	global_load_dword v1, v[8:9], off offset:192
	s_waitcnt vmcnt(6)
	v_mov_b32_e32 v38, v25
	s_waitcnt vmcnt(5)
	v_mov_b32_e32 v36, v29
	;; [unrolled: 2-line block ×3, first 2 shown]
	v_pk_fma_f32 v[32:33], v[26:27], v[4:5], v[32:33] op_sel_hi:[0,1,1]
	v_mov_b32_e32 v7, v58
	v_pk_fma_f32 v[32:33], v[26:27], v[6:7], v[32:33] op_sel:[1,0,0]
	v_mov_b32_e32 v4, v59
	v_pk_fma_f32 v[32:33], v[28:29], v[4:5], v[32:33] op_sel_hi:[0,1,1]
	v_mov_b32_e32 v7, v59
	v_pk_fma_f32 v[32:33], v[36:37], v[6:7], v[32:33] op_sel_hi:[0,1,1]
	v_mov_b32_e32 v4, v60
	v_pk_fma_f32 v[32:33], v[22:23], v[4:5], v[32:33] op_sel_hi:[0,1,1]
	v_mov_b32_e32 v7, v60
	v_pk_fma_f32 v[32:33], v[22:23], v[6:7], v[32:33] op_sel:[1,0,0]
	v_mov_b32_e32 v4, v61
	v_pk_fma_f32 v[32:33], v[24:25], v[4:5], v[32:33] op_sel_hi:[0,1,1]
	v_mov_b32_e32 v7, v61
	v_mov_b32_e32 v4, v54
	v_pk_fma_f32 v[44:45], v[38:39], v[6:7], v[32:33] op_sel_hi:[0,1,1]
	v_pk_fma_f32 v[32:33], v[26:27], v[4:5], v[40:41] op_sel_hi:[0,1,1]
	v_mov_b32_e32 v7, v54
	v_pk_fma_f32 v[32:33], v[26:27], v[6:7], v[32:33] op_sel:[1,0,0]
	v_mov_b32_e32 v4, v55
	v_pk_fma_f32 v[32:33], v[28:29], v[4:5], v[32:33] op_sel_hi:[0,1,1]
	v_mov_b32_e32 v7, v55
	v_pk_fma_f32 v[32:33], v[36:37], v[6:7], v[32:33] op_sel_hi:[0,1,1]
	v_mov_b32_e32 v4, v56
	v_pk_fma_f32 v[32:33], v[22:23], v[4:5], v[32:33] op_sel_hi:[0,1,1]
	v_mov_b32_e32 v7, v56
	v_pk_fma_f32 v[32:33], v[22:23], v[6:7], v[32:33] op_sel:[1,0,0]
	v_mov_b32_e32 v4, v57
	v_pk_fma_f32 v[32:33], v[24:25], v[4:5], v[32:33] op_sel_hi:[0,1,1]
	v_mov_b32_e32 v7, v57
	v_mov_b32_e32 v4, v50
	v_pk_fma_f32 v[40:41], v[38:39], v[6:7], v[32:33] op_sel_hi:[0,1,1]
	;; [unrolled: 16-line block ×3, first 2 shown]
	v_pk_fma_f32 v[30:31], v[26:27], v[4:5], v[30:31] op_sel_hi:[0,1,1]
	v_mov_b32_e32 v7, v46
	v_pk_fma_f32 v[26:27], v[26:27], v[6:7], v[30:31] op_sel:[1,0,0]
	v_mov_b32_e32 v4, v47
	v_pk_fma_f32 v[26:27], v[28:29], v[4:5], v[26:27] op_sel_hi:[0,1,1]
	v_mov_b32_e32 v7, v47
	v_pk_fma_f32 v[26:27], v[36:37], v[6:7], v[26:27] op_sel_hi:[0,1,1]
	v_mov_b32_e32 v4, v48
	s_waitcnt vmcnt(0)
	v_subrev_u32_e32 v1, s16, v1
	v_pk_fma_f32 v[26:27], v[22:23], v[4:5], v[26:27] op_sel_hi:[0,1,1]
	v_mov_b32_e32 v7, v48
	v_lshlrev_b32_e32 v8, 2, v1
	v_pk_fma_f32 v[22:23], v[22:23], v[6:7], v[26:27] op_sel:[1,0,0]
	v_mov_b32_e32 v4, v49
	v_ashrrev_i32_e32 v9, 31, v8
	v_pk_fma_f32 v[22:23], v[24:25], v[4:5], v[22:23] op_sel_hi:[0,1,1]
	v_mov_b32_e32 v7, v49
	v_lshl_add_u64 v[8:9], v[8:9], 3, s[2:3]
	v_pk_fma_f32 v[22:23], v[38:39], v[6:7], v[22:23] op_sel_hi:[0,1,1]
	global_load_dwordx4 v[30:33], v[8:9], off offset:16
	global_load_dwordx4 v[36:39], v[8:9], off
	global_load_dwordx4 v[48:51], v[2:3], off offset:3120
	global_load_dwordx4 v[52:55], v[2:3], off offset:3104
	;; [unrolled: 1-line block ×4, first 2 shown]
	v_lshl_add_u64 v[2:3], v[2:3], 0, s[18:19]
	s_waitcnt vmcnt(5)
	v_mov_b32_e32 v46, v33
	s_waitcnt vmcnt(0)
	v_mov_b32_e32 v4, v56
	v_pk_fma_f32 v[8:9], v[36:37], v[4:5], v[44:45] op_sel_hi:[0,1,1]
	v_mov_b32_e32 v7, v56
	v_pk_fma_f32 v[8:9], v[36:37], v[6:7], v[8:9] op_sel:[1,0,0]
	v_mov_b32_e32 v4, v57
	v_pk_fma_f32 v[8:9], v[38:39], v[4:5], v[8:9] op_sel_hi:[0,1,1]
	v_mov_b32_e32 v44, v39
	v_mov_b32_e32 v7, v57
	v_pk_fma_f32 v[8:9], v[44:45], v[6:7], v[8:9] op_sel_hi:[0,1,1]
	v_mov_b32_e32 v4, v58
	v_pk_fma_f32 v[8:9], v[30:31], v[4:5], v[8:9] op_sel_hi:[0,1,1]
	v_mov_b32_e32 v7, v58
	v_pk_fma_f32 v[8:9], v[30:31], v[6:7], v[8:9] op_sel:[1,0,0]
	v_mov_b32_e32 v4, v59
	v_pk_fma_f32 v[8:9], v[32:33], v[4:5], v[8:9] op_sel_hi:[0,1,1]
	v_mov_b32_e32 v7, v59
	v_mov_b32_e32 v4, v24
	v_pk_fma_f32 v[28:29], v[46:47], v[6:7], v[8:9] op_sel_hi:[0,1,1]
	v_pk_fma_f32 v[8:9], v[36:37], v[4:5], v[40:41] op_sel_hi:[0,1,1]
	v_mov_b32_e32 v7, v24
	v_pk_fma_f32 v[8:9], v[36:37], v[6:7], v[8:9] op_sel:[1,0,0]
	v_mov_b32_e32 v4, v25
	v_pk_fma_f32 v[8:9], v[38:39], v[4:5], v[8:9] op_sel_hi:[0,1,1]
	v_mov_b32_e32 v7, v25
	v_pk_fma_f32 v[8:9], v[44:45], v[6:7], v[8:9] op_sel_hi:[0,1,1]
	v_mov_b32_e32 v4, v26
	v_pk_fma_f32 v[8:9], v[30:31], v[4:5], v[8:9] op_sel_hi:[0,1,1]
	v_mov_b32_e32 v7, v26
	v_pk_fma_f32 v[8:9], v[30:31], v[6:7], v[8:9] op_sel:[1,0,0]
	v_mov_b32_e32 v4, v27
	v_pk_fma_f32 v[8:9], v[32:33], v[4:5], v[8:9] op_sel_hi:[0,1,1]
	v_mov_b32_e32 v7, v27
	v_mov_b32_e32 v4, v52
	v_pk_fma_f32 v[26:27], v[46:47], v[6:7], v[8:9] op_sel_hi:[0,1,1]
	v_pk_fma_f32 v[8:9], v[36:37], v[4:5], v[42:43] op_sel_hi:[0,1,1]
	v_mov_b32_e32 v7, v52
	v_pk_fma_f32 v[8:9], v[36:37], v[6:7], v[8:9] op_sel:[1,0,0]
	v_mov_b32_e32 v4, v53
	v_pk_fma_f32 v[8:9], v[38:39], v[4:5], v[8:9] op_sel_hi:[0,1,1]
	;; [unrolled: 16-line block ×3, first 2 shown]
	v_mov_b32_e32 v7, v49
	v_pk_fma_f32 v[8:9], v[44:45], v[6:7], v[8:9] op_sel_hi:[0,1,1]
	v_mov_b32_e32 v4, v50
	v_pk_fma_f32 v[8:9], v[30:31], v[4:5], v[8:9] op_sel_hi:[0,1,1]
	v_mov_b32_e32 v7, v50
	v_pk_fma_f32 v[8:9], v[30:31], v[6:7], v[8:9] op_sel:[1,0,0]
	v_mov_b32_e32 v4, v51
	v_pk_fma_f32 v[8:9], v[32:33], v[4:5], v[8:9] op_sel_hi:[0,1,1]
	v_mov_b32_e32 v7, v51
	v_pk_fma_f32 v[22:23], v[46:47], v[6:7], v[8:9] op_sel_hi:[0,1,1]
	s_andn2_b64 exec, exec, s[14:15]
	s_cbranch_execnz .LBB122_17
; %bb.18:
	s_or_b64 exec, exec, s[14:15]
.LBB122_19:
	s_or_b64 exec, exec, s[10:11]
.LBB122_20:
	s_or_b64 exec, exec, s[8:9]
	s_cbranch_execz .LBB122_22
	s_branch .LBB122_33
.LBB122_21:
                                        ; implicit-def: $vgpr29
                                        ; implicit-def: $vgpr27
                                        ; implicit-def: $vgpr25
                                        ; implicit-def: $vgpr23
.LBB122_22:
	v_mov_b32_e32 v29, 0
	v_mov_b32_e32 v28, 0
	;; [unrolled: 1-line block ×8, first 2 shown]
	s_and_saveexec_b64 s[8:9], s[4:5]
	s_cbranch_execz .LBB122_32
; %bb.23:
	v_add_u32_e32 v0, v10, v17
	v_subrev_u32_e32 v0, s16, v0
	v_add_u32_e32 v0, 16, v0
	v_max_i32_e32 v0, v0, v34
	v_not_b32_e32 v1, v10
	v_add3_u32 v0, s16, v0, v1
	v_sub_u32_e32 v4, v0, v17
	v_and_b32_e32 v0, 48, v4
	v_mov_b32_e32 v1, 0
	v_cmp_ne_u32_e32 vcc, 48, v0
	v_mov_b32_e32 v0, v1
	v_mov_b64_e32 v[28:29], v[0:1]
	v_mov_b64_e32 v[26:27], v[0:1]
	;; [unrolled: 1-line block ×4, first 2 shown]
	s_and_saveexec_b64 s[4:5], vcc
	s_cbranch_execz .LBB122_27
; %bb.24:
	v_lshrrev_b32_e32 v0, 4, v4
	v_add_u32_e32 v0, 1, v0
	v_and_b32_e32 v0, 3, v0
	v_sub_u32_e32 v5, 0, v0
	s_mov_b64 s[10:11], 0
	s_mov_b64 s[14:15], 0x400
	v_bfrev_b32_e32 v2, 1
	v_mov_b32_e32 v22, v1
	v_mov_b32_e32 v23, v1
	v_mov_b32_e32 v24, v1
	v_mov_b32_e32 v25, v1
	v_mov_b32_e32 v26, v1
	v_mov_b32_e32 v27, v1
	v_mov_b32_e32 v28, v1
	v_mov_b32_e32 v29, v1
.LBB122_25:                             ; =>This Inner Loop Header: Depth=1
	v_ashrrev_i32_e32 v19, 31, v18
	v_lshl_add_u64 v[6:7], v[18:19], 2, s[12:13]
	global_load_dword v0, v[6:7], off
	global_load_dwordx4 v[40:43], v[20:21], off offset:32
	global_load_dwordx4 v[44:47], v[20:21], off offset:16
	global_load_dwordx4 v[48:51], v[20:21], off
	v_add_co_u32_e32 v5, vcc, 1, v5
	v_add_u32_e32 v18, 16, v18
	s_or_b64 s[10:11], vcc, s[10:11]
	s_waitcnt vmcnt(3)
	v_subrev_u32_e32 v0, s16, v0
	v_lshlrev_b32_e32 v6, 2, v0
	v_ashrrev_i32_e32 v7, 31, v6
	v_lshl_add_u64 v[10:11], v[6:7], 3, s[2:3]
	global_load_dwordx4 v[6:9], v[10:11], off
	global_load_dwordx4 v[30:33], v[10:11], off offset:16
	global_load_dwordx4 v[52:55], v[20:21], off offset:48
	s_waitcnt vmcnt(3)
	v_mov_b32_e32 v0, v48
	v_mov_b32_e32 v3, v48
	v_lshl_add_u64 v[20:21], v[20:21], 0, s[14:15]
	s_waitcnt vmcnt(2)
	v_pk_fma_f32 v[10:11], v[6:7], v[0:1], v[28:29] op_sel_hi:[0,1,1]
	v_mov_b32_e32 v0, v44
	v_pk_fma_f32 v[10:11], v[6:7], v[2:3], v[10:11] op_sel:[1,0,0]
	v_mov_b32_e32 v36, v9
	v_mov_b32_e32 v3, v44
	v_pk_fma_f32 v[10:11], v[8:9], v[0:1], v[10:11] op_sel_hi:[0,1,1]
	v_mov_b32_e32 v0, v40
	v_pk_fma_f32 v[10:11], v[36:37], v[2:3], v[10:11] op_sel_hi:[0,1,1]
	v_mov_b32_e32 v3, v40
	s_waitcnt vmcnt(1)
	v_pk_fma_f32 v[10:11], v[30:31], v[0:1], v[10:11] op_sel_hi:[0,1,1]
	s_waitcnt vmcnt(0)
	v_mov_b32_e32 v0, v52
	v_pk_fma_f32 v[10:11], v[30:31], v[2:3], v[10:11] op_sel:[1,0,0]
	v_mov_b32_e32 v38, v33
	v_mov_b32_e32 v3, v52
	v_pk_fma_f32 v[10:11], v[32:33], v[0:1], v[10:11] op_sel_hi:[0,1,1]
	v_mov_b32_e32 v0, v49
	v_pk_fma_f32 v[28:29], v[38:39], v[2:3], v[10:11] op_sel_hi:[0,1,1]
	v_pk_fma_f32 v[10:11], v[6:7], v[0:1], v[26:27] op_sel_hi:[0,1,1]
	v_mov_b32_e32 v3, v49
	v_mov_b32_e32 v0, v45
	v_pk_fma_f32 v[10:11], v[6:7], v[2:3], v[10:11] op_sel:[1,0,0]
	v_mov_b32_e32 v3, v45
	v_pk_fma_f32 v[10:11], v[8:9], v[0:1], v[10:11] op_sel_hi:[0,1,1]
	v_mov_b32_e32 v0, v41
	v_pk_fma_f32 v[10:11], v[36:37], v[2:3], v[10:11] op_sel_hi:[0,1,1]
	v_mov_b32_e32 v3, v41
	v_pk_fma_f32 v[10:11], v[30:31], v[0:1], v[10:11] op_sel_hi:[0,1,1]
	v_mov_b32_e32 v0, v53
	v_pk_fma_f32 v[10:11], v[30:31], v[2:3], v[10:11] op_sel:[1,0,0]
	v_mov_b32_e32 v3, v53
	v_pk_fma_f32 v[10:11], v[32:33], v[0:1], v[10:11] op_sel_hi:[0,1,1]
	v_mov_b32_e32 v0, v50
	v_pk_fma_f32 v[26:27], v[38:39], v[2:3], v[10:11] op_sel_hi:[0,1,1]
	v_pk_fma_f32 v[10:11], v[6:7], v[0:1], v[24:25] op_sel_hi:[0,1,1]
	v_mov_b32_e32 v3, v50
	v_mov_b32_e32 v0, v46
	v_pk_fma_f32 v[10:11], v[6:7], v[2:3], v[10:11] op_sel:[1,0,0]
	v_mov_b32_e32 v3, v46
	v_pk_fma_f32 v[10:11], v[8:9], v[0:1], v[10:11] op_sel_hi:[0,1,1]
	v_mov_b32_e32 v0, v42
	v_pk_fma_f32 v[10:11], v[36:37], v[2:3], v[10:11] op_sel_hi:[0,1,1]
	v_mov_b32_e32 v3, v42
	v_pk_fma_f32 v[10:11], v[30:31], v[0:1], v[10:11] op_sel_hi:[0,1,1]
	v_mov_b32_e32 v0, v54
	v_pk_fma_f32 v[10:11], v[30:31], v[2:3], v[10:11] op_sel:[1,0,0]
	;; [unrolled: 16-line block ×3, first 2 shown]
	v_mov_b32_e32 v3, v55
	v_pk_fma_f32 v[6:7], v[32:33], v[0:1], v[6:7] op_sel_hi:[0,1,1]
	v_pk_fma_f32 v[22:23], v[38:39], v[2:3], v[6:7] op_sel_hi:[0,1,1]
	s_andn2_b64 exec, exec, s[10:11]
	s_cbranch_execnz .LBB122_25
; %bb.26:
	s_or_b64 exec, exec, s[10:11]
.LBB122_27:
	s_or_b64 exec, exec, s[4:5]
	v_cmp_lt_u32_e32 vcc, 47, v4
	s_and_saveexec_b64 s[4:5], vcc
	s_cbranch_execz .LBB122_31
; %bb.28:
	s_mov_b64 s[10:11], 0
	v_mov_b32_e32 v31, 0
	s_mov_b64 s[14:15], 0x1000
	v_bfrev_b32_e32 v32, 1
.LBB122_29:                             ; =>This Inner Loop Header: Depth=1
	v_ashrrev_i32_e32 v19, 31, v18
	v_lshl_add_u64 v[0:1], v[18:19], 2, s[12:13]
	global_load_dwordx4 v[36:39], v[20:21], off offset:48
	global_load_dwordx4 v[40:43], v[20:21], off offset:32
	;; [unrolled: 1-line block ×3, first 2 shown]
	global_load_dwordx4 v[48:51], v[20:21], off
	global_load_dwordx4 v[52:55], v[20:21], off offset:1072
	global_load_dwordx4 v[56:59], v[20:21], off offset:1056
	;; [unrolled: 1-line block ×12, first 2 shown]
	global_load_dword v2, v[0:1], off
	global_load_dword v3, v[0:1], off offset:64
	global_load_dword v4, v[0:1], off offset:128
	;; [unrolled: 1-line block ×3, first 2 shown]
	v_add_u32_e32 v18, 64, v18
	v_cmp_ge_i32_e32 vcc, v18, v34
	v_lshl_add_u64 v[20:21], v[20:21], 0, s[14:15]
	s_or_b64 s[10:11], vcc, s[10:11]
	s_waitcnt vmcnt(16)
	v_mov_b32_e32 v30, v48
	v_mov_b32_e32 v33, v48
	s_waitcnt vmcnt(3)
	v_subrev_u32_e32 v0, s16, v2
	s_waitcnt vmcnt(2)
	v_subrev_u32_e32 v1, s16, v3
	;; [unrolled: 2-line block ×4, first 2 shown]
	v_lshlrev_b32_e32 v0, 2, v0
	v_lshlrev_b32_e32 v2, 2, v1
	;; [unrolled: 1-line block ×4, first 2 shown]
	v_ashrrev_i32_e32 v1, 31, v0
	v_ashrrev_i32_e32 v3, 31, v2
	;; [unrolled: 1-line block ×4, first 2 shown]
	v_lshl_add_u64 v[104:105], v[0:1], 3, s[2:3]
	v_lshl_add_u64 v[106:107], v[2:3], 3, s[2:3]
	;; [unrolled: 1-line block ×4, first 2 shown]
	global_load_dwordx4 v[84:87], v[104:105], off
	global_load_dwordx4 v[88:91], v[104:105], off offset:16
	global_load_dwordx4 v[92:95], v[106:107], off
	global_load_dwordx4 v[96:99], v[106:107], off offset:16
	global_load_dwordx4 v[100:103], v[108:109], off
	global_load_dwordx4 v[8:11], v[108:109], off offset:16
	global_load_dwordx4 v[4:7], v[110:111], off
	global_load_dwordx4 v[0:3], v[110:111], off offset:16
	s_waitcnt vmcnt(7)
	v_pk_fma_f32 v[28:29], v[84:85], v[30:31], v[28:29] op_sel_hi:[0,1,1]
	v_mov_b32_e32 v30, v44
	v_pk_fma_f32 v[28:29], v[84:85], v[32:33], v[28:29] op_sel:[1,0,0]
	v_mov_b32_e32 v48, v87
	v_mov_b32_e32 v33, v44
	v_pk_fma_f32 v[28:29], v[86:87], v[30:31], v[28:29] op_sel_hi:[0,1,1]
	v_mov_b32_e32 v30, v40
	v_pk_fma_f32 v[28:29], v[48:49], v[32:33], v[28:29] op_sel_hi:[0,1,1]
	v_mov_b32_e32 v33, v40
	s_waitcnt vmcnt(6)
	v_pk_fma_f32 v[28:29], v[88:89], v[30:31], v[28:29] op_sel_hi:[0,1,1]
	v_mov_b32_e32 v30, v36
	v_pk_fma_f32 v[28:29], v[88:89], v[32:33], v[28:29] op_sel:[1,0,0]
	v_mov_b32_e32 v104, v91
	v_mov_b32_e32 v33, v36
	v_pk_fma_f32 v[28:29], v[90:91], v[30:31], v[28:29] op_sel_hi:[0,1,1]
	v_mov_b32_e32 v30, v49
	v_pk_fma_f32 v[28:29], v[104:105], v[32:33], v[28:29] op_sel_hi:[0,1,1]
	v_pk_fma_f32 v[26:27], v[84:85], v[30:31], v[26:27] op_sel_hi:[0,1,1]
	v_mov_b32_e32 v33, v49
	v_mov_b32_e32 v30, v45
	v_pk_fma_f32 v[26:27], v[84:85], v[32:33], v[26:27] op_sel:[1,0,0]
	v_mov_b32_e32 v33, v45
	v_pk_fma_f32 v[26:27], v[86:87], v[30:31], v[26:27] op_sel_hi:[0,1,1]
	v_mov_b32_e32 v30, v41
	v_pk_fma_f32 v[26:27], v[48:49], v[32:33], v[26:27] op_sel_hi:[0,1,1]
	v_mov_b32_e32 v33, v41
	v_pk_fma_f32 v[26:27], v[88:89], v[30:31], v[26:27] op_sel_hi:[0,1,1]
	v_mov_b32_e32 v30, v37
	v_pk_fma_f32 v[26:27], v[88:89], v[32:33], v[26:27] op_sel:[1,0,0]
	v_mov_b32_e32 v33, v37
	v_pk_fma_f32 v[26:27], v[90:91], v[30:31], v[26:27] op_sel_hi:[0,1,1]
	v_mov_b32_e32 v30, v50
	v_pk_fma_f32 v[26:27], v[104:105], v[32:33], v[26:27] op_sel_hi:[0,1,1]
	v_pk_fma_f32 v[24:25], v[84:85], v[30:31], v[24:25] op_sel_hi:[0,1,1]
	v_mov_b32_e32 v33, v50
	v_mov_b32_e32 v30, v46
	v_pk_fma_f32 v[24:25], v[84:85], v[32:33], v[24:25] op_sel:[1,0,0]
	v_mov_b32_e32 v33, v46
	v_pk_fma_f32 v[24:25], v[86:87], v[30:31], v[24:25] op_sel_hi:[0,1,1]
	v_mov_b32_e32 v30, v42
	v_pk_fma_f32 v[24:25], v[48:49], v[32:33], v[24:25] op_sel_hi:[0,1,1]
	v_mov_b32_e32 v33, v42
	v_pk_fma_f32 v[24:25], v[88:89], v[30:31], v[24:25] op_sel_hi:[0,1,1]
	v_mov_b32_e32 v30, v38
	v_pk_fma_f32 v[24:25], v[88:89], v[32:33], v[24:25] op_sel:[1,0,0]
	;; [unrolled: 16-line block ×3, first 2 shown]
	v_mov_b32_e32 v33, v39
	v_pk_fma_f32 v[22:23], v[90:91], v[30:31], v[22:23] op_sel_hi:[0,1,1]
	v_mov_b32_e32 v30, v64
	v_pk_fma_f32 v[22:23], v[104:105], v[32:33], v[22:23] op_sel_hi:[0,1,1]
	s_waitcnt vmcnt(5)
	v_pk_fma_f32 v[28:29], v[92:93], v[30:31], v[28:29] op_sel_hi:[0,1,1]
	v_mov_b32_e32 v33, v64
	v_mov_b32_e32 v30, v60
	v_pk_fma_f32 v[28:29], v[92:93], v[32:33], v[28:29] op_sel:[1,0,0]
	v_mov_b32_e32 v106, v95
	v_mov_b32_e32 v33, v60
	v_pk_fma_f32 v[28:29], v[94:95], v[30:31], v[28:29] op_sel_hi:[0,1,1]
	v_mov_b32_e32 v30, v56
	v_pk_fma_f32 v[28:29], v[106:107], v[32:33], v[28:29] op_sel_hi:[0,1,1]
	v_mov_b32_e32 v33, v56
	s_waitcnt vmcnt(4)
	v_pk_fma_f32 v[28:29], v[96:97], v[30:31], v[28:29] op_sel_hi:[0,1,1]
	v_mov_b32_e32 v30, v52
	v_pk_fma_f32 v[28:29], v[96:97], v[32:33], v[28:29] op_sel:[1,0,0]
	v_mov_b32_e32 v108, v99
	v_mov_b32_e32 v33, v52
	v_pk_fma_f32 v[28:29], v[98:99], v[30:31], v[28:29] op_sel_hi:[0,1,1]
	v_mov_b32_e32 v30, v65
	v_pk_fma_f32 v[28:29], v[108:109], v[32:33], v[28:29] op_sel_hi:[0,1,1]
	v_pk_fma_f32 v[26:27], v[92:93], v[30:31], v[26:27] op_sel_hi:[0,1,1]
	v_mov_b32_e32 v33, v65
	v_mov_b32_e32 v30, v61
	v_pk_fma_f32 v[26:27], v[92:93], v[32:33], v[26:27] op_sel:[1,0,0]
	v_mov_b32_e32 v33, v61
	v_pk_fma_f32 v[26:27], v[94:95], v[30:31], v[26:27] op_sel_hi:[0,1,1]
	v_mov_b32_e32 v30, v57
	v_pk_fma_f32 v[26:27], v[106:107], v[32:33], v[26:27] op_sel_hi:[0,1,1]
	v_mov_b32_e32 v33, v57
	v_pk_fma_f32 v[26:27], v[96:97], v[30:31], v[26:27] op_sel_hi:[0,1,1]
	v_mov_b32_e32 v30, v53
	v_pk_fma_f32 v[26:27], v[96:97], v[32:33], v[26:27] op_sel:[1,0,0]
	v_mov_b32_e32 v33, v53
	v_pk_fma_f32 v[26:27], v[98:99], v[30:31], v[26:27] op_sel_hi:[0,1,1]
	v_mov_b32_e32 v30, v66
	v_pk_fma_f32 v[26:27], v[108:109], v[32:33], v[26:27] op_sel_hi:[0,1,1]
	v_pk_fma_f32 v[24:25], v[92:93], v[30:31], v[24:25] op_sel_hi:[0,1,1]
	v_mov_b32_e32 v33, v66
	v_mov_b32_e32 v30, v62
	v_pk_fma_f32 v[24:25], v[92:93], v[32:33], v[24:25] op_sel:[1,0,0]
	v_mov_b32_e32 v33, v62
	v_pk_fma_f32 v[24:25], v[94:95], v[30:31], v[24:25] op_sel_hi:[0,1,1]
	v_mov_b32_e32 v30, v58
	v_pk_fma_f32 v[24:25], v[106:107], v[32:33], v[24:25] op_sel_hi:[0,1,1]
	v_mov_b32_e32 v33, v58
	v_pk_fma_f32 v[24:25], v[96:97], v[30:31], v[24:25] op_sel_hi:[0,1,1]
	v_mov_b32_e32 v30, v54
	v_pk_fma_f32 v[24:25], v[96:97], v[32:33], v[24:25] op_sel:[1,0,0]
	;; [unrolled: 16-line block ×3, first 2 shown]
	v_mov_b32_e32 v33, v55
	v_pk_fma_f32 v[22:23], v[98:99], v[30:31], v[22:23] op_sel_hi:[0,1,1]
	v_mov_b32_e32 v30, v80
	v_pk_fma_f32 v[22:23], v[108:109], v[32:33], v[22:23] op_sel_hi:[0,1,1]
	s_waitcnt vmcnt(3)
	v_pk_fma_f32 v[28:29], v[100:101], v[30:31], v[28:29] op_sel_hi:[0,1,1]
	v_mov_b32_e32 v33, v80
	v_mov_b32_e32 v30, v76
	v_pk_fma_f32 v[28:29], v[100:101], v[32:33], v[28:29] op_sel:[1,0,0]
	v_mov_b32_e32 v110, v103
	v_mov_b32_e32 v33, v76
	v_pk_fma_f32 v[28:29], v[102:103], v[30:31], v[28:29] op_sel_hi:[0,1,1]
	v_mov_b32_e32 v30, v72
	v_pk_fma_f32 v[28:29], v[110:111], v[32:33], v[28:29] op_sel_hi:[0,1,1]
	v_mov_b32_e32 v33, v72
	s_waitcnt vmcnt(2)
	v_pk_fma_f32 v[28:29], v[8:9], v[30:31], v[28:29] op_sel_hi:[0,1,1]
	v_mov_b32_e32 v30, v68
	v_pk_fma_f32 v[28:29], v[8:9], v[32:33], v[28:29] op_sel:[1,0,0]
	v_mov_b32_e32 v112, v11
	v_mov_b32_e32 v33, v68
	v_pk_fma_f32 v[28:29], v[10:11], v[30:31], v[28:29] op_sel_hi:[0,1,1]
	v_mov_b32_e32 v30, v81
	v_pk_fma_f32 v[28:29], v[112:113], v[32:33], v[28:29] op_sel_hi:[0,1,1]
	v_pk_fma_f32 v[26:27], v[100:101], v[30:31], v[26:27] op_sel_hi:[0,1,1]
	v_mov_b32_e32 v33, v81
	v_mov_b32_e32 v30, v77
	v_pk_fma_f32 v[26:27], v[100:101], v[32:33], v[26:27] op_sel:[1,0,0]
	v_mov_b32_e32 v33, v77
	v_pk_fma_f32 v[26:27], v[102:103], v[30:31], v[26:27] op_sel_hi:[0,1,1]
	v_mov_b32_e32 v30, v73
	v_pk_fma_f32 v[26:27], v[110:111], v[32:33], v[26:27] op_sel_hi:[0,1,1]
	v_mov_b32_e32 v33, v73
	v_pk_fma_f32 v[26:27], v[8:9], v[30:31], v[26:27] op_sel_hi:[0,1,1]
	v_mov_b32_e32 v30, v69
	v_pk_fma_f32 v[26:27], v[8:9], v[32:33], v[26:27] op_sel:[1,0,0]
	v_mov_b32_e32 v33, v69
	v_pk_fma_f32 v[26:27], v[10:11], v[30:31], v[26:27] op_sel_hi:[0,1,1]
	v_mov_b32_e32 v30, v82
	v_pk_fma_f32 v[26:27], v[112:113], v[32:33], v[26:27] op_sel_hi:[0,1,1]
	v_pk_fma_f32 v[24:25], v[100:101], v[30:31], v[24:25] op_sel_hi:[0,1,1]
	v_mov_b32_e32 v33, v82
	v_mov_b32_e32 v30, v78
	v_pk_fma_f32 v[24:25], v[100:101], v[32:33], v[24:25] op_sel:[1,0,0]
	v_mov_b32_e32 v33, v78
	v_pk_fma_f32 v[24:25], v[102:103], v[30:31], v[24:25] op_sel_hi:[0,1,1]
	v_mov_b32_e32 v30, v74
	v_pk_fma_f32 v[24:25], v[110:111], v[32:33], v[24:25] op_sel_hi:[0,1,1]
	v_mov_b32_e32 v33, v74
	v_pk_fma_f32 v[24:25], v[8:9], v[30:31], v[24:25] op_sel_hi:[0,1,1]
	v_mov_b32_e32 v30, v70
	v_pk_fma_f32 v[24:25], v[8:9], v[32:33], v[24:25] op_sel:[1,0,0]
	;; [unrolled: 16-line block ×3, first 2 shown]
	v_mov_b32_e32 v33, v71
	v_pk_fma_f32 v[8:9], v[10:11], v[30:31], v[8:9] op_sel_hi:[0,1,1]
	v_mov_b32_e32 v30, v130
	v_pk_fma_f32 v[8:9], v[112:113], v[32:33], v[8:9] op_sel_hi:[0,1,1]
	s_waitcnt vmcnt(1)
	v_pk_fma_f32 v[10:11], v[4:5], v[30:31], v[28:29] op_sel_hi:[0,1,1]
	v_mov_b32_e32 v33, v130
	v_mov_b32_e32 v30, v126
	v_pk_fma_f32 v[10:11], v[4:5], v[32:33], v[10:11] op_sel:[1,0,0]
	v_mov_b32_e32 v114, v7
	v_mov_b32_e32 v33, v126
	v_pk_fma_f32 v[10:11], v[6:7], v[30:31], v[10:11] op_sel_hi:[0,1,1]
	v_mov_b32_e32 v30, v122
	v_pk_fma_f32 v[10:11], v[114:115], v[32:33], v[10:11] op_sel_hi:[0,1,1]
	v_mov_b32_e32 v33, v122
	s_waitcnt vmcnt(0)
	v_pk_fma_f32 v[10:11], v[0:1], v[30:31], v[10:11] op_sel_hi:[0,1,1]
	v_mov_b32_e32 v30, v118
	v_pk_fma_f32 v[10:11], v[0:1], v[32:33], v[10:11] op_sel:[1,0,0]
	v_mov_b32_e32 v116, v3
	v_mov_b32_e32 v33, v118
	v_pk_fma_f32 v[10:11], v[2:3], v[30:31], v[10:11] op_sel_hi:[0,1,1]
	v_mov_b32_e32 v30, v131
	v_pk_fma_f32 v[28:29], v[116:117], v[32:33], v[10:11] op_sel_hi:[0,1,1]
	v_pk_fma_f32 v[10:11], v[4:5], v[30:31], v[26:27] op_sel_hi:[0,1,1]
	v_mov_b32_e32 v33, v131
	v_mov_b32_e32 v30, v127
	v_pk_fma_f32 v[10:11], v[4:5], v[32:33], v[10:11] op_sel:[1,0,0]
	v_mov_b32_e32 v33, v127
	v_pk_fma_f32 v[10:11], v[6:7], v[30:31], v[10:11] op_sel_hi:[0,1,1]
	v_mov_b32_e32 v30, v123
	v_pk_fma_f32 v[10:11], v[114:115], v[32:33], v[10:11] op_sel_hi:[0,1,1]
	v_mov_b32_e32 v33, v123
	v_pk_fma_f32 v[10:11], v[0:1], v[30:31], v[10:11] op_sel_hi:[0,1,1]
	v_mov_b32_e32 v30, v119
	v_pk_fma_f32 v[10:11], v[0:1], v[32:33], v[10:11] op_sel:[1,0,0]
	v_mov_b32_e32 v33, v119
	v_pk_fma_f32 v[10:11], v[2:3], v[30:31], v[10:11] op_sel_hi:[0,1,1]
	v_mov_b32_e32 v30, v132
	v_pk_fma_f32 v[26:27], v[116:117], v[32:33], v[10:11] op_sel_hi:[0,1,1]
	v_pk_fma_f32 v[10:11], v[4:5], v[30:31], v[24:25] op_sel_hi:[0,1,1]
	v_mov_b32_e32 v33, v132
	v_mov_b32_e32 v30, v128
	v_pk_fma_f32 v[10:11], v[4:5], v[32:33], v[10:11] op_sel:[1,0,0]
	v_mov_b32_e32 v33, v128
	v_pk_fma_f32 v[10:11], v[6:7], v[30:31], v[10:11] op_sel_hi:[0,1,1]
	v_mov_b32_e32 v30, v124
	v_pk_fma_f32 v[10:11], v[114:115], v[32:33], v[10:11] op_sel_hi:[0,1,1]
	v_mov_b32_e32 v33, v124
	v_pk_fma_f32 v[10:11], v[0:1], v[30:31], v[10:11] op_sel_hi:[0,1,1]
	v_mov_b32_e32 v30, v120
	v_pk_fma_f32 v[10:11], v[0:1], v[32:33], v[10:11] op_sel:[1,0,0]
	v_mov_b32_e32 v33, v120
	v_pk_fma_f32 v[10:11], v[2:3], v[30:31], v[10:11] op_sel_hi:[0,1,1]
	v_mov_b32_e32 v30, v133
	v_pk_fma_f32 v[24:25], v[116:117], v[32:33], v[10:11] op_sel_hi:[0,1,1]
	v_pk_fma_f32 v[8:9], v[4:5], v[30:31], v[8:9] op_sel_hi:[0,1,1]
	v_mov_b32_e32 v33, v133
	v_mov_b32_e32 v30, v129
	v_pk_fma_f32 v[4:5], v[4:5], v[32:33], v[8:9] op_sel:[1,0,0]
	v_mov_b32_e32 v33, v129
	v_pk_fma_f32 v[4:5], v[6:7], v[30:31], v[4:5] op_sel_hi:[0,1,1]
	v_mov_b32_e32 v30, v125
	v_pk_fma_f32 v[4:5], v[114:115], v[32:33], v[4:5] op_sel_hi:[0,1,1]
	v_mov_b32_e32 v33, v125
	v_pk_fma_f32 v[4:5], v[0:1], v[30:31], v[4:5] op_sel_hi:[0,1,1]
	v_mov_b32_e32 v30, v121
	v_pk_fma_f32 v[0:1], v[0:1], v[32:33], v[4:5] op_sel:[1,0,0]
	v_mov_b32_e32 v33, v121
	v_pk_fma_f32 v[0:1], v[2:3], v[30:31], v[0:1] op_sel_hi:[0,1,1]
	v_pk_fma_f32 v[22:23], v[116:117], v[32:33], v[0:1] op_sel_hi:[0,1,1]
	s_andn2_b64 exec, exec, s[10:11]
	s_cbranch_execnz .LBB122_29
; %bb.30:
	s_or_b64 exec, exec, s[10:11]
.LBB122_31:
	s_or_b64 exec, exec, s[4:5]
.LBB122_32:
	s_or_b64 exec, exec, s[8:9]
.LBB122_33:
	v_mov_b32_dpp v6, v27 row_shr:1 row_mask:0xf bank_mask:0xf
	v_add_f32_e32 v6, v27, v6
	v_mov_b32_dpp v0, v28 row_shr:1 row_mask:0xf bank_mask:0xf
	v_mov_b32_dpp v2, v29 row_shr:1 row_mask:0xf bank_mask:0xf
	;; [unrolled: 1-line block ×3, first 2 shown]
	v_add_f32_e32 v6, v6, v7
	v_mov_b32_dpp v4, v26 row_shr:1 row_mask:0xf bank_mask:0xf
	v_add_f32_e32 v0, v28, v0
	v_mov_b32_dpp v7, v6 row_shr:4 row_mask:0xf bank_mask:0xe
	;; [unrolled: 2-line block ×3, first 2 shown]
	v_add_f32_e32 v6, v24, v6
	v_add_f32_e32 v2, v29, v2
	;; [unrolled: 1-line block ×3, first 2 shown]
	v_mov_b32_dpp v9, v6 row_shr:2 row_mask:0xf bank_mask:0xf
	v_add_f32_e32 v6, v6, v9
	v_mov_b32_dpp v1, v0 row_shr:2 row_mask:0xf bank_mask:0xf
	v_mov_b32_dpp v3, v2 row_shr:2 row_mask:0xf bank_mask:0xf
	;; [unrolled: 1-line block ×3, first 2 shown]
	v_add_f32_e32 v9, v6, v9
	v_mov_b32_dpp v6, v25 row_shr:1 row_mask:0xf bank_mask:0xf
	v_add_f32_e32 v6, v25, v6
	v_mov_b32_dpp v5, v4 row_shr:2 row_mask:0xf bank_mask:0xf
	;; [unrolled: 2-line block ×3, first 2 shown]
	v_add_f32_e32 v6, v6, v11
	v_add_f32_e32 v2, v2, v3
	;; [unrolled: 1-line block ×3, first 2 shown]
	v_mov_b32_dpp v11, v6 row_shr:4 row_mask:0xf bank_mask:0xe
	v_add_f32_e32 v11, v6, v11
	v_mov_b32_dpp v6, v22 row_shr:1 row_mask:0xf bank_mask:0xf
	v_add_f32_e32 v6, v22, v6
	v_mov_b32_dpp v1, v0 row_shr:4 row_mask:0xf bank_mask:0xe
	v_mov_b32_dpp v3, v2 row_shr:4 row_mask:0xf bank_mask:0xe
	v_mov_b32_dpp v18, v6 row_shr:2 row_mask:0xf bank_mask:0xf
	v_add_f32_e32 v6, v6, v18
	v_mov_b32_dpp v5, v4 row_shr:4 row_mask:0xf bank_mask:0xe
	v_add_f32_e32 v0, v0, v1
	v_mov_b32_dpp v18, v6 row_shr:4 row_mask:0xf bank_mask:0xe
	v_add_f32_e32 v21, v6, v18
	v_mov_b32_dpp v6, v23 row_shr:1 row_mask:0xf bank_mask:0xf
	v_add_f32_e32 v6, v23, v6
	v_add_f32_e32 v2, v2, v3
	;; [unrolled: 1-line block ×3, first 2 shown]
	v_mov_b32_dpp v18, v6 row_shr:2 row_mask:0xf bank_mask:0xf
	v_add_f32_e32 v6, v6, v18
	v_mov_b32_dpp v1, v0 row_shr:8 row_mask:0xf bank_mask:0xc
	v_mov_b32_dpp v3, v2 row_shr:8 row_mask:0xf bank_mask:0xc
	;; [unrolled: 1-line block ×3, first 2 shown]
	v_add_f32_e32 v23, v6, v18
	v_mov_b32_dpp v5, v4 row_shr:8 row_mask:0xf bank_mask:0xc
	v_mov_b32_dpp v8, v7 row_shr:8 row_mask:0xf bank_mask:0xc
	;; [unrolled: 1-line block ×6, first 2 shown]
	v_cmp_eq_u32_e32 vcc, 15, v17
	s_and_b64 exec, exec, vcc
	s_cbranch_execz .LBB122_6
; %bb.34:
	s_load_dwordx2 s[0:1], s[0:1], 0x50
	v_cmp_eq_f32_e32 vcc, 0, v14
	s_xor_b64 s[2:3], s[6:7], -1
	v_add_f32_e32 v6, v0, v1
	v_add_f32_e32 v20, v2, v3
	v_add_f32_e32 v4, v4, v5
	v_add_f32_e32 v18, v7, v8
	v_add_f32_e32 v2, v9, v10
	v_add_f32_e32 v10, v11, v19
	v_add_f32_e32 v0, v21, v22
	v_add_f32_e32 v8, v23, v24
	s_and_b64 s[2:3], vcc, s[2:3]
	v_lshlrev_b32_e32 v16, 2, v16
	s_and_saveexec_b64 s[4:5], s[2:3]
	s_xor_b64 s[2:3], exec, s[4:5]
	s_cbranch_execz .LBB122_36
; %bb.35:
	v_xor_b32_e32 v22, 0x80000000, v13
	v_mov_b32_e32 v23, v12
	v_pk_mul_f32 v[14:15], v[20:21], v[22:23] op_sel_hi:[0,1]
	v_ashrrev_i32_e32 v17, 31, v16
	v_pk_fma_f32 v[14:15], v[12:13], v[6:7], v[14:15] op_sel_hi:[1,0,1]
	v_pk_mul_f32 v[6:7], v[18:19], v[22:23] op_sel_hi:[0,1]
	s_waitcnt lgkmcnt(0)
	v_lshl_add_u64 v[24:25], v[16:17], 3, s[0:1]
	v_pk_fma_f32 v[16:17], v[12:13], v[4:5], v[6:7] op_sel_hi:[1,0,1]
	v_pk_mul_f32 v[4:5], v[10:11], v[22:23] op_sel_hi:[0,1]
	v_pk_fma_f32 v[2:3], v[12:13], v[2:3], v[4:5] op_sel_hi:[1,0,1]
	v_pk_mul_f32 v[4:5], v[8:9], v[22:23] op_sel_hi:[0,1]
	v_pk_fma_f32 v[4:5], v[12:13], v[0:1], v[4:5] op_sel_hi:[1,0,1]
	global_store_dwordx4 v[24:25], v[14:17], off
	global_store_dwordx4 v[24:25], v[2:5], off offset:16
                                        ; implicit-def: $vgpr6
                                        ; implicit-def: $vgpr20
                                        ; implicit-def: $vgpr4
                                        ; implicit-def: $vgpr18
                                        ; implicit-def: $vgpr2
                                        ; implicit-def: $vgpr10
                                        ; implicit-def: $vgpr0
                                        ; implicit-def: $vgpr8
                                        ; implicit-def: $vgpr12_vgpr13
                                        ; implicit-def: $vgpr14_vgpr15
                                        ; implicit-def: $vgpr16
.LBB122_36:
	s_andn2_saveexec_b64 s[2:3], s[2:3]
	s_cbranch_execz .LBB122_6
; %bb.37:
	v_ashrrev_i32_e32 v17, 31, v16
	s_waitcnt lgkmcnt(0)
	v_lshl_add_u64 v[16:17], v[16:17], 3, s[0:1]
	global_load_dwordx4 v[22:25], v[16:17], off
	global_load_dwordx4 v[26:29], v[16:17], off offset:16
	v_xor_b32_e32 v30, 0x80000000, v13
	v_mov_b32_e32 v31, v12
	v_pk_mul_f32 v[20:21], v[20:21], v[30:31] op_sel_hi:[0,1]
	v_pk_mul_f32 v[18:19], v[18:19], v[30:31] op_sel_hi:[0,1]
	;; [unrolled: 1-line block ×4, first 2 shown]
	v_pk_fma_f32 v[6:7], v[12:13], v[6:7], v[20:21] op_sel_hi:[1,0,1]
	v_pk_fma_f32 v[4:5], v[12:13], v[4:5], v[18:19] op_sel_hi:[1,0,1]
	v_xor_b32_e32 v32, 0x80000000, v15
	v_mov_b32_e32 v33, v14
	v_pk_fma_f32 v[2:3], v[12:13], v[2:3], v[10:11] op_sel_hi:[1,0,1]
	v_pk_fma_f32 v[0:1], v[12:13], v[0:1], v[8:9] op_sel_hi:[1,0,1]
	s_waitcnt vmcnt(1)
	v_pk_fma_f32 v[6:7], v[14:15], v[22:23], v[6:7] op_sel_hi:[1,0,1]
	v_pk_fma_f32 v[4:5], v[14:15], v[24:25], v[4:5] op_sel_hi:[1,0,1]
	v_mov_b32_e32 v8, v25
	s_waitcnt vmcnt(0)
	v_pk_fma_f32 v[10:11], v[14:15], v[26:27], v[2:3] op_sel_hi:[1,0,1]
	v_pk_fma_f32 v[12:13], v[14:15], v[28:29], v[0:1] op_sel_hi:[1,0,1]
	v_mov_b32_e32 v14, v29
	v_pk_fma_f32 v[0:1], v[32:33], v[22:23], v[6:7] op_sel:[0,1,0]
	v_pk_fma_f32 v[2:3], v[32:33], v[8:9], v[4:5] op_sel_hi:[1,0,1]
	v_pk_fma_f32 v[4:5], v[32:33], v[26:27], v[10:11] op_sel:[0,1,0]
	v_pk_fma_f32 v[6:7], v[32:33], v[14:15], v[12:13] op_sel_hi:[1,0,1]
	global_store_dwordx4 v[16:17], v[0:3], off
	global_store_dwordx4 v[16:17], v[4:7], off offset:16
	s_endpgm
	.section	.rodata,"a",@progbits
	.p2align	6, 0x0
	.amdhsa_kernel _ZN9rocsparseL18bsrxmvn_4x4_kernelILj128ELj16E21rocsparse_complex_numIfEiifS2_S2_EEvT3_20rocsparse_direction_NS_24const_host_device_scalarIT1_EES3_PKS3_PKT2_SC_S9_PKT4_PKT5_S7_PT6_21rocsparse_index_base_b
		.amdhsa_group_segment_fixed_size 0
		.amdhsa_private_segment_fixed_size 0
		.amdhsa_kernarg_size 96
		.amdhsa_user_sgpr_count 2
		.amdhsa_user_sgpr_dispatch_ptr 0
		.amdhsa_user_sgpr_queue_ptr 0
		.amdhsa_user_sgpr_kernarg_segment_ptr 1
		.amdhsa_user_sgpr_dispatch_id 0
		.amdhsa_user_sgpr_kernarg_preload_length 0
		.amdhsa_user_sgpr_kernarg_preload_offset 0
		.amdhsa_user_sgpr_private_segment_size 0
		.amdhsa_uses_dynamic_stack 0
		.amdhsa_enable_private_segment 0
		.amdhsa_system_sgpr_workgroup_id_x 1
		.amdhsa_system_sgpr_workgroup_id_y 0
		.amdhsa_system_sgpr_workgroup_id_z 0
		.amdhsa_system_sgpr_workgroup_info 0
		.amdhsa_system_vgpr_workitem_id 0
		.amdhsa_next_free_vgpr 134
		.amdhsa_next_free_sgpr 20
		.amdhsa_accum_offset 136
		.amdhsa_reserve_vcc 1
		.amdhsa_float_round_mode_32 0
		.amdhsa_float_round_mode_16_64 0
		.amdhsa_float_denorm_mode_32 3
		.amdhsa_float_denorm_mode_16_64 3
		.amdhsa_dx10_clamp 1
		.amdhsa_ieee_mode 1
		.amdhsa_fp16_overflow 0
		.amdhsa_tg_split 0
		.amdhsa_exception_fp_ieee_invalid_op 0
		.amdhsa_exception_fp_denorm_src 0
		.amdhsa_exception_fp_ieee_div_zero 0
		.amdhsa_exception_fp_ieee_overflow 0
		.amdhsa_exception_fp_ieee_underflow 0
		.amdhsa_exception_fp_ieee_inexact 0
		.amdhsa_exception_int_div_zero 0
	.end_amdhsa_kernel
	.section	.text._ZN9rocsparseL18bsrxmvn_4x4_kernelILj128ELj16E21rocsparse_complex_numIfEiifS2_S2_EEvT3_20rocsparse_direction_NS_24const_host_device_scalarIT1_EES3_PKS3_PKT2_SC_S9_PKT4_PKT5_S7_PT6_21rocsparse_index_base_b,"axG",@progbits,_ZN9rocsparseL18bsrxmvn_4x4_kernelILj128ELj16E21rocsparse_complex_numIfEiifS2_S2_EEvT3_20rocsparse_direction_NS_24const_host_device_scalarIT1_EES3_PKS3_PKT2_SC_S9_PKT4_PKT5_S7_PT6_21rocsparse_index_base_b,comdat
.Lfunc_end122:
	.size	_ZN9rocsparseL18bsrxmvn_4x4_kernelILj128ELj16E21rocsparse_complex_numIfEiifS2_S2_EEvT3_20rocsparse_direction_NS_24const_host_device_scalarIT1_EES3_PKS3_PKT2_SC_S9_PKT4_PKT5_S7_PT6_21rocsparse_index_base_b, .Lfunc_end122-_ZN9rocsparseL18bsrxmvn_4x4_kernelILj128ELj16E21rocsparse_complex_numIfEiifS2_S2_EEvT3_20rocsparse_direction_NS_24const_host_device_scalarIT1_EES3_PKS3_PKT2_SC_S9_PKT4_PKT5_S7_PT6_21rocsparse_index_base_b
                                        ; -- End function
	.set _ZN9rocsparseL18bsrxmvn_4x4_kernelILj128ELj16E21rocsparse_complex_numIfEiifS2_S2_EEvT3_20rocsparse_direction_NS_24const_host_device_scalarIT1_EES3_PKS3_PKT2_SC_S9_PKT4_PKT5_S7_PT6_21rocsparse_index_base_b.num_vgpr, 134
	.set _ZN9rocsparseL18bsrxmvn_4x4_kernelILj128ELj16E21rocsparse_complex_numIfEiifS2_S2_EEvT3_20rocsparse_direction_NS_24const_host_device_scalarIT1_EES3_PKS3_PKT2_SC_S9_PKT4_PKT5_S7_PT6_21rocsparse_index_base_b.num_agpr, 0
	.set _ZN9rocsparseL18bsrxmvn_4x4_kernelILj128ELj16E21rocsparse_complex_numIfEiifS2_S2_EEvT3_20rocsparse_direction_NS_24const_host_device_scalarIT1_EES3_PKS3_PKT2_SC_S9_PKT4_PKT5_S7_PT6_21rocsparse_index_base_b.numbered_sgpr, 20
	.set _ZN9rocsparseL18bsrxmvn_4x4_kernelILj128ELj16E21rocsparse_complex_numIfEiifS2_S2_EEvT3_20rocsparse_direction_NS_24const_host_device_scalarIT1_EES3_PKS3_PKT2_SC_S9_PKT4_PKT5_S7_PT6_21rocsparse_index_base_b.num_named_barrier, 0
	.set _ZN9rocsparseL18bsrxmvn_4x4_kernelILj128ELj16E21rocsparse_complex_numIfEiifS2_S2_EEvT3_20rocsparse_direction_NS_24const_host_device_scalarIT1_EES3_PKS3_PKT2_SC_S9_PKT4_PKT5_S7_PT6_21rocsparse_index_base_b.private_seg_size, 0
	.set _ZN9rocsparseL18bsrxmvn_4x4_kernelILj128ELj16E21rocsparse_complex_numIfEiifS2_S2_EEvT3_20rocsparse_direction_NS_24const_host_device_scalarIT1_EES3_PKS3_PKT2_SC_S9_PKT4_PKT5_S7_PT6_21rocsparse_index_base_b.uses_vcc, 1
	.set _ZN9rocsparseL18bsrxmvn_4x4_kernelILj128ELj16E21rocsparse_complex_numIfEiifS2_S2_EEvT3_20rocsparse_direction_NS_24const_host_device_scalarIT1_EES3_PKS3_PKT2_SC_S9_PKT4_PKT5_S7_PT6_21rocsparse_index_base_b.uses_flat_scratch, 0
	.set _ZN9rocsparseL18bsrxmvn_4x4_kernelILj128ELj16E21rocsparse_complex_numIfEiifS2_S2_EEvT3_20rocsparse_direction_NS_24const_host_device_scalarIT1_EES3_PKS3_PKT2_SC_S9_PKT4_PKT5_S7_PT6_21rocsparse_index_base_b.has_dyn_sized_stack, 0
	.set _ZN9rocsparseL18bsrxmvn_4x4_kernelILj128ELj16E21rocsparse_complex_numIfEiifS2_S2_EEvT3_20rocsparse_direction_NS_24const_host_device_scalarIT1_EES3_PKS3_PKT2_SC_S9_PKT4_PKT5_S7_PT6_21rocsparse_index_base_b.has_recursion, 0
	.set _ZN9rocsparseL18bsrxmvn_4x4_kernelILj128ELj16E21rocsparse_complex_numIfEiifS2_S2_EEvT3_20rocsparse_direction_NS_24const_host_device_scalarIT1_EES3_PKS3_PKT2_SC_S9_PKT4_PKT5_S7_PT6_21rocsparse_index_base_b.has_indirect_call, 0
	.section	.AMDGPU.csdata,"",@progbits
; Kernel info:
; codeLenInByte = 6688
; TotalNumSgprs: 26
; NumVgprs: 134
; NumAgprs: 0
; TotalNumVgprs: 134
; ScratchSize: 0
; MemoryBound: 0
; FloatMode: 240
; IeeeMode: 1
; LDSByteSize: 0 bytes/workgroup (compile time only)
; SGPRBlocks: 3
; VGPRBlocks: 16
; NumSGPRsForWavesPerEU: 26
; NumVGPRsForWavesPerEU: 134
; AccumOffset: 136
; Occupancy: 3
; WaveLimiterHint : 1
; COMPUTE_PGM_RSRC2:SCRATCH_EN: 0
; COMPUTE_PGM_RSRC2:USER_SGPR: 2
; COMPUTE_PGM_RSRC2:TRAP_HANDLER: 0
; COMPUTE_PGM_RSRC2:TGID_X_EN: 1
; COMPUTE_PGM_RSRC2:TGID_Y_EN: 0
; COMPUTE_PGM_RSRC2:TGID_Z_EN: 0
; COMPUTE_PGM_RSRC2:TIDIG_COMP_CNT: 0
; COMPUTE_PGM_RSRC3_GFX90A:ACCUM_OFFSET: 33
; COMPUTE_PGM_RSRC3_GFX90A:TG_SPLIT: 0
	.section	.text._ZN9rocsparseL18bsrxmvn_4x4_kernelILj128ELj32E21rocsparse_complex_numIfEiifS2_S2_EEvT3_20rocsparse_direction_NS_24const_host_device_scalarIT1_EES3_PKS3_PKT2_SC_S9_PKT4_PKT5_S7_PT6_21rocsparse_index_base_b,"axG",@progbits,_ZN9rocsparseL18bsrxmvn_4x4_kernelILj128ELj32E21rocsparse_complex_numIfEiifS2_S2_EEvT3_20rocsparse_direction_NS_24const_host_device_scalarIT1_EES3_PKS3_PKT2_SC_S9_PKT4_PKT5_S7_PT6_21rocsparse_index_base_b,comdat
	.globl	_ZN9rocsparseL18bsrxmvn_4x4_kernelILj128ELj32E21rocsparse_complex_numIfEiifS2_S2_EEvT3_20rocsparse_direction_NS_24const_host_device_scalarIT1_EES3_PKS3_PKT2_SC_S9_PKT4_PKT5_S7_PT6_21rocsparse_index_base_b ; -- Begin function _ZN9rocsparseL18bsrxmvn_4x4_kernelILj128ELj32E21rocsparse_complex_numIfEiifS2_S2_EEvT3_20rocsparse_direction_NS_24const_host_device_scalarIT1_EES3_PKS3_PKT2_SC_S9_PKT4_PKT5_S7_PT6_21rocsparse_index_base_b
	.p2align	8
	.type	_ZN9rocsparseL18bsrxmvn_4x4_kernelILj128ELj32E21rocsparse_complex_numIfEiifS2_S2_EEvT3_20rocsparse_direction_NS_24const_host_device_scalarIT1_EES3_PKS3_PKT2_SC_S9_PKT4_PKT5_S7_PT6_21rocsparse_index_base_b,@function
_ZN9rocsparseL18bsrxmvn_4x4_kernelILj128ELj32E21rocsparse_complex_numIfEiifS2_S2_EEvT3_20rocsparse_direction_NS_24const_host_device_scalarIT1_EES3_PKS3_PKT2_SC_S9_PKT4_PKT5_S7_PT6_21rocsparse_index_base_b: ; @_ZN9rocsparseL18bsrxmvn_4x4_kernelILj128ELj32E21rocsparse_complex_numIfEiifS2_S2_EEvT3_20rocsparse_direction_NS_24const_host_device_scalarIT1_EES3_PKS3_PKT2_SC_S9_PKT4_PKT5_S7_PT6_21rocsparse_index_base_b
; %bb.0:
	s_load_dwordx2 s[4:5], s[0:1], 0x8
	s_load_dwordx2 s[16:17], s[0:1], 0x58
	s_add_u32 s3, s0, 8
	s_addc_u32 s8, s1, 0
	s_load_dwordx2 s[6:7], s[0:1], 0x48
	s_add_u32 s9, s0, 0x48
	s_addc_u32 s10, s1, 0
	s_waitcnt lgkmcnt(0)
	s_bitcmp1_b32 s17, 0
	s_cselect_b32 s3, s3, s4
	s_cselect_b32 s5, s8, s5
	v_mov_b32_e32 v2, s3
	s_cselect_b32 s3, s10, s7
	s_cselect_b32 s4, s9, s6
	v_mov_b32_e32 v3, s5
	v_mov_b32_e32 v4, s4
	;; [unrolled: 1-line block ×3, first 2 shown]
	flat_load_dwordx2 v[12:13], v[2:3]
	flat_load_dwordx2 v[14:15], v[4:5]
	s_waitcnt vmcnt(0) lgkmcnt(0)
	v_cmp_neq_f32_e32 vcc, 0, v12
	v_cmp_neq_f32_e64 s[4:5], 0, v13
	v_cmp_neq_f32_e64 s[8:9], 1.0, v14
	v_cmp_neq_f32_e64 s[6:7], 0, v15
	s_or_b64 s[4:5], vcc, s[4:5]
	s_or_b64 s[8:9], s[8:9], s[6:7]
	s_or_b64 s[4:5], s[4:5], s[8:9]
	s_and_saveexec_b64 s[8:9], s[4:5]
	s_cbranch_execz .LBB123_6
; %bb.1:
	s_load_dwordx2 s[8:9], s[0:1], 0x18
	s_load_dwordx2 s[4:5], s[0:1], 0x0
	v_lshrrev_b32_e32 v1, 5, v0
	v_lshl_or_b32 v16, s2, 2, v1
	s_mov_b64 s[2:3], 0
	s_waitcnt lgkmcnt(0)
	s_cmp_lg_u64 s[8:9], 0
	s_cbranch_scc0 .LBB123_7
; %bb.2:
	s_load_dword s10, s[0:1], 0x10
                                        ; implicit-def: $vgpr1
	s_waitcnt lgkmcnt(0)
	v_cmp_gt_i32_e32 vcc, s10, v16
	s_and_saveexec_b64 s[10:11], vcc
	s_xor_b64 s[10:11], exec, s[10:11]
	s_cbranch_execz .LBB123_4
; %bb.3:
	v_ashrrev_i32_e32 v17, 31, v16
	v_lshl_add_u64 v[2:3], v[16:17], 2, s[8:9]
	global_load_dword v1, v[2:3], off
	s_mov_b64 s[2:3], exec
	s_waitcnt vmcnt(0)
	v_subrev_u32_e32 v1, s16, v1
.LBB123_4:
	s_or_b64 exec, exec, s[10:11]
	s_branch .LBB123_8
.LBB123_5:
	v_cmp_gt_i32_e32 vcc, s4, v16
	s_andn2_b64 s[2:3], s[2:3], exec
	s_and_b64 s[8:9], vcc, exec
	s_or_b64 s[2:3], s[2:3], s[8:9]
	s_and_b64 exec, exec, s[2:3]
	s_cbranch_execnz .LBB123_9
.LBB123_6:
	s_endpgm
.LBB123_7:
                                        ; implicit-def: $vgpr1
	s_cbranch_execnz .LBB123_5
.LBB123_8:
	v_mov_b32_e32 v16, v1
	s_and_b64 exec, exec, s[2:3]
	s_cbranch_execz .LBB123_6
.LBB123_9:
	s_load_dwordx8 s[8:15], s[0:1], 0x20
	v_ashrrev_i32_e32 v17, 31, v16
	v_lshlrev_b64 v[2:3], 2, v[16:17]
	s_load_dwordx2 s[2:3], s[0:1], 0x40
	v_and_b32_e32 v17, 31, v0
	s_waitcnt lgkmcnt(0)
	v_lshl_add_u64 v[4:5], s[8:9], 0, v[2:3]
	s_cmp_eq_u64 s[10:11], 0
	global_load_dword v10, v[4:5], off
	v_lshl_add_u64 v[4:5], v[4:5], 0, 4
	v_lshl_add_u64 v[2:3], s[10:11], 0, v[2:3]
	s_cselect_b64 vcc, -1, 0
	v_cndmask_b32_e32 v3, v3, v5, vcc
	v_cndmask_b32_e32 v2, v2, v4, vcc
	global_load_dword v1, v[2:3], off
	s_cmp_eq_u32 s5, 1
	s_waitcnt vmcnt(1)
	v_subrev_u32_e32 v0, s16, v10
	v_add_u32_e32 v18, v0, v17
	v_ashrrev_i32_e32 v19, 31, v18
	s_waitcnt vmcnt(0)
	v_subrev_u32_e32 v34, s16, v1
	v_lshlrev_b64 v[0:1], 6, v[18:19]
	v_lshl_add_u64 v[20:21], s[14:15], 0, v[0:1]
	v_cmp_lt_i32_e64 s[4:5], v18, v34
	s_cbranch_scc1 .LBB123_21
; %bb.10:
	v_mov_b32_e32 v29, 0
	v_mov_b32_e32 v28, 0
	;; [unrolled: 1-line block ×8, first 2 shown]
	s_and_saveexec_b64 s[8:9], s[4:5]
	s_cbranch_execz .LBB123_20
; %bb.11:
	v_add_u32_e32 v0, v10, v17
	v_subrev_u32_e32 v0, s16, v0
	v_add_u32_e32 v0, 32, v0
	v_max_i32_e32 v0, v0, v34
	v_not_b32_e32 v1, v10
	v_add3_u32 v0, s16, v0, v1
	v_sub_u32_e32 v8, v0, v17
	v_mov_b32_e32 v5, 0
	s_movk_i32 s10, 0x60
	v_and_b32_e32 v0, 0x60, v8
	v_mov_b32_e32 v4, v5
	v_cmp_ne_u32_e32 vcc, s10, v0
	v_mov_b64_e32 v[28:29], v[4:5]
	v_mov_b64_e32 v[26:27], v[4:5]
	;; [unrolled: 1-line block ×5, first 2 shown]
	v_mov_b32_e32 v0, v18
	s_and_saveexec_b64 s[10:11], vcc
	s_cbranch_execz .LBB123_15
; %bb.12:
	v_lshrrev_b32_e32 v0, 5, v8
	v_add_u32_e32 v0, 1, v0
	v_and_b32_e32 v0, 3, v0
	v_sub_u32_e32 v9, 0, v0
	s_mov_b64 s[14:15], 0
	s_mov_b64 s[18:19], 0x800
	v_bfrev_b32_e32 v6, 1
	v_mov_b32_e32 v0, v18
	v_mov_b64_e32 v[2:3], v[20:21]
	v_mov_b32_e32 v22, v5
	v_mov_b32_e32 v23, v5
	;; [unrolled: 1-line block ×8, first 2 shown]
.LBB123_13:                             ; =>This Inner Loop Header: Depth=1
	v_ashrrev_i32_e32 v1, 31, v0
	v_lshl_add_u64 v[30:31], v[0:1], 2, s[12:13]
	global_load_dword v1, v[30:31], off
	global_load_dwordx4 v[44:47], v[2:3], off offset:16
	global_load_dwordx4 v[48:51], v[2:3], off
	v_add_co_u32_e32 v9, vcc, 1, v9
	v_add_u32_e32 v0, 32, v0
	s_or_b64 s[14:15], vcc, s[14:15]
	s_waitcnt vmcnt(2)
	v_subrev_u32_e32 v1, s16, v1
	v_lshlrev_b32_e32 v30, 2, v1
	v_ashrrev_i32_e32 v31, 31, v30
	v_lshl_add_u64 v[40:41], v[30:31], 3, s[2:3]
	global_load_dwordx4 v[30:33], v[40:41], off
	global_load_dwordx4 v[36:39], v[40:41], off offset:16
	global_load_dwordx4 v[52:55], v[2:3], off offset:32
	;; [unrolled: 1-line block ×3, first 2 shown]
	s_waitcnt vmcnt(4)
	v_mov_b32_e32 v4, v48
	v_mov_b32_e32 v7, v48
	v_lshl_add_u64 v[2:3], v[2:3], 0, s[18:19]
	s_waitcnt vmcnt(3)
	v_pk_fma_f32 v[28:29], v[30:31], v[4:5], v[28:29] op_sel_hi:[0,1,1]
	v_mov_b32_e32 v4, v49
	v_pk_fma_f32 v[28:29], v[30:31], v[6:7], v[28:29] op_sel:[1,0,0]
	v_mov_b32_e32 v40, v33
	v_mov_b32_e32 v7, v49
	v_pk_fma_f32 v[28:29], v[32:33], v[4:5], v[28:29] op_sel_hi:[0,1,1]
	v_mov_b32_e32 v4, v50
	v_pk_fma_f32 v[28:29], v[40:41], v[6:7], v[28:29] op_sel_hi:[0,1,1]
	v_mov_b32_e32 v7, v50
	s_waitcnt vmcnt(2)
	v_pk_fma_f32 v[28:29], v[36:37], v[4:5], v[28:29] op_sel_hi:[0,1,1]
	v_mov_b32_e32 v4, v51
	v_pk_fma_f32 v[28:29], v[36:37], v[6:7], v[28:29] op_sel:[1,0,0]
	v_mov_b32_e32 v42, v39
	v_mov_b32_e32 v7, v51
	v_pk_fma_f32 v[28:29], v[38:39], v[4:5], v[28:29] op_sel_hi:[0,1,1]
	v_mov_b32_e32 v4, v44
	v_pk_fma_f32 v[28:29], v[42:43], v[6:7], v[28:29] op_sel_hi:[0,1,1]
	v_pk_fma_f32 v[26:27], v[30:31], v[4:5], v[26:27] op_sel_hi:[0,1,1]
	v_mov_b32_e32 v7, v44
	v_mov_b32_e32 v4, v45
	v_pk_fma_f32 v[26:27], v[30:31], v[6:7], v[26:27] op_sel:[1,0,0]
	v_mov_b32_e32 v7, v45
	v_pk_fma_f32 v[26:27], v[32:33], v[4:5], v[26:27] op_sel_hi:[0,1,1]
	v_mov_b32_e32 v4, v46
	v_pk_fma_f32 v[26:27], v[40:41], v[6:7], v[26:27] op_sel_hi:[0,1,1]
	;; [unrolled: 2-line block ×3, first 2 shown]
	v_mov_b32_e32 v4, v47
	v_pk_fma_f32 v[26:27], v[36:37], v[6:7], v[26:27] op_sel:[1,0,0]
	v_mov_b32_e32 v7, v47
	v_pk_fma_f32 v[26:27], v[38:39], v[4:5], v[26:27] op_sel_hi:[0,1,1]
	s_waitcnt vmcnt(1)
	v_mov_b32_e32 v4, v52
	v_pk_fma_f32 v[26:27], v[42:43], v[6:7], v[26:27] op_sel_hi:[0,1,1]
	v_pk_fma_f32 v[24:25], v[30:31], v[4:5], v[24:25] op_sel_hi:[0,1,1]
	v_mov_b32_e32 v7, v52
	v_mov_b32_e32 v4, v53
	v_pk_fma_f32 v[24:25], v[30:31], v[6:7], v[24:25] op_sel:[1,0,0]
	v_mov_b32_e32 v7, v53
	v_pk_fma_f32 v[24:25], v[32:33], v[4:5], v[24:25] op_sel_hi:[0,1,1]
	v_mov_b32_e32 v4, v54
	v_pk_fma_f32 v[24:25], v[40:41], v[6:7], v[24:25] op_sel_hi:[0,1,1]
	;; [unrolled: 2-line block ×3, first 2 shown]
	v_mov_b32_e32 v4, v55
	v_pk_fma_f32 v[24:25], v[36:37], v[6:7], v[24:25] op_sel:[1,0,0]
	v_mov_b32_e32 v7, v55
	v_pk_fma_f32 v[24:25], v[38:39], v[4:5], v[24:25] op_sel_hi:[0,1,1]
	s_waitcnt vmcnt(0)
	v_mov_b32_e32 v4, v56
	v_pk_fma_f32 v[24:25], v[42:43], v[6:7], v[24:25] op_sel_hi:[0,1,1]
	v_pk_fma_f32 v[22:23], v[30:31], v[4:5], v[22:23] op_sel_hi:[0,1,1]
	v_mov_b32_e32 v7, v56
	v_mov_b32_e32 v4, v57
	v_pk_fma_f32 v[22:23], v[30:31], v[6:7], v[22:23] op_sel:[1,0,0]
	v_mov_b32_e32 v7, v57
	v_pk_fma_f32 v[22:23], v[32:33], v[4:5], v[22:23] op_sel_hi:[0,1,1]
	v_mov_b32_e32 v4, v58
	v_pk_fma_f32 v[22:23], v[40:41], v[6:7], v[22:23] op_sel_hi:[0,1,1]
	;; [unrolled: 2-line block ×3, first 2 shown]
	v_mov_b32_e32 v4, v59
	v_pk_fma_f32 v[22:23], v[36:37], v[6:7], v[22:23] op_sel:[1,0,0]
	v_mov_b32_e32 v7, v59
	v_pk_fma_f32 v[22:23], v[38:39], v[4:5], v[22:23] op_sel_hi:[0,1,1]
	v_pk_fma_f32 v[22:23], v[42:43], v[6:7], v[22:23] op_sel_hi:[0,1,1]
	s_andn2_b64 exec, exec, s[14:15]
	s_cbranch_execnz .LBB123_13
; %bb.14:
	s_or_b64 exec, exec, s[14:15]
.LBB123_15:
	s_or_b64 exec, exec, s[10:11]
	s_movk_i32 s10, 0x5f
	v_cmp_lt_u32_e32 vcc, s10, v8
	s_and_saveexec_b64 s[10:11], vcc
	s_cbranch_execz .LBB123_19
; %bb.16:
	s_mov_b64 s[14:15], 0
	v_mov_b32_e32 v5, 0
	s_mov_b64 s[18:19], 0x1000
	s_movk_i32 s17, 0x1000
	s_mov_b64 s[20:21], 0x2000
	v_bfrev_b32_e32 v6, 1
.LBB123_17:                             ; =>This Inner Loop Header: Depth=1
	v_ashrrev_i32_e32 v1, 31, v0
	v_lshl_add_u64 v[8:9], v[0:1], 2, s[12:13]
	global_load_dword v1, v[8:9], off
	v_add_u32_e32 v0, 0x80, v0
	s_waitcnt vmcnt(0)
	v_subrev_u32_e32 v1, s16, v1
	v_lshlrev_b32_e32 v30, 2, v1
	v_ashrrev_i32_e32 v31, 31, v30
	v_lshl_add_u64 v[40:41], v[30:31], 3, s[2:3]
	global_load_dwordx4 v[30:33], v[40:41], off offset:16
	global_load_dwordx4 v[36:39], v[40:41], off
	global_load_dwordx4 v[50:53], v[2:3], off offset:48
	global_load_dwordx4 v[54:57], v[2:3], off offset:32
	;; [unrolled: 1-line block ×3, first 2 shown]
	global_load_dwordx4 v[42:45], v[2:3], off
	global_load_dword v1, v[8:9], off offset:128
	s_waitcnt vmcnt(5)
	v_mov_b32_e32 v40, v39
	s_waitcnt vmcnt(1)
	v_mov_b32_e32 v4, v42
	v_pk_fma_f32 v[28:29], v[36:37], v[4:5], v[28:29] op_sel_hi:[0,1,1]
	v_mov_b32_e32 v7, v42
	v_pk_fma_f32 v[28:29], v[36:37], v[6:7], v[28:29] op_sel:[1,0,0]
	v_mov_b32_e32 v4, v43
	v_pk_fma_f32 v[28:29], v[38:39], v[4:5], v[28:29] op_sel_hi:[0,1,1]
	v_mov_b32_e32 v7, v43
	v_pk_fma_f32 v[28:29], v[40:41], v[6:7], v[28:29] op_sel_hi:[0,1,1]
	;; [unrolled: 2-line block ×3, first 2 shown]
	v_mov_b32_e32 v7, v44
	v_pk_fma_f32 v[28:29], v[30:31], v[6:7], v[28:29] op_sel:[1,0,0]
	v_mov_b32_e32 v4, v45
	v_pk_fma_f32 v[28:29], v[32:33], v[4:5], v[28:29] op_sel_hi:[0,1,1]
	v_mov_b32_e32 v42, v33
	v_mov_b32_e32 v7, v45
	;; [unrolled: 1-line block ×3, first 2 shown]
	v_pk_fma_f32 v[44:45], v[42:43], v[6:7], v[28:29] op_sel_hi:[0,1,1]
	v_pk_fma_f32 v[26:27], v[36:37], v[4:5], v[26:27] op_sel_hi:[0,1,1]
	v_mov_b32_e32 v7, v46
	v_pk_fma_f32 v[26:27], v[36:37], v[6:7], v[26:27] op_sel:[1,0,0]
	v_mov_b32_e32 v4, v47
	v_pk_fma_f32 v[26:27], v[38:39], v[4:5], v[26:27] op_sel_hi:[0,1,1]
	v_mov_b32_e32 v7, v47
	v_pk_fma_f32 v[26:27], v[40:41], v[6:7], v[26:27] op_sel_hi:[0,1,1]
	v_mov_b32_e32 v4, v48
	v_pk_fma_f32 v[26:27], v[30:31], v[4:5], v[26:27] op_sel_hi:[0,1,1]
	v_mov_b32_e32 v7, v48
	v_pk_fma_f32 v[26:27], v[30:31], v[6:7], v[26:27] op_sel:[1,0,0]
	v_mov_b32_e32 v4, v49
	v_pk_fma_f32 v[26:27], v[32:33], v[4:5], v[26:27] op_sel_hi:[0,1,1]
	v_mov_b32_e32 v7, v49
	v_mov_b32_e32 v4, v54
	v_pk_fma_f32 v[46:47], v[42:43], v[6:7], v[26:27] op_sel_hi:[0,1,1]
	v_pk_fma_f32 v[24:25], v[36:37], v[4:5], v[24:25] op_sel_hi:[0,1,1]
	v_mov_b32_e32 v7, v54
	v_pk_fma_f32 v[24:25], v[36:37], v[6:7], v[24:25] op_sel:[1,0,0]
	v_mov_b32_e32 v4, v55
	v_pk_fma_f32 v[24:25], v[38:39], v[4:5], v[24:25] op_sel_hi:[0,1,1]
	v_mov_b32_e32 v7, v55
	v_pk_fma_f32 v[24:25], v[40:41], v[6:7], v[24:25] op_sel_hi:[0,1,1]
	;; [unrolled: 2-line block ×3, first 2 shown]
	v_mov_b32_e32 v7, v56
	v_pk_fma_f32 v[24:25], v[30:31], v[6:7], v[24:25] op_sel:[1,0,0]
	v_mov_b32_e32 v4, v57
	v_pk_fma_f32 v[24:25], v[32:33], v[4:5], v[24:25] op_sel_hi:[0,1,1]
	v_mov_b32_e32 v7, v57
	v_mov_b32_e32 v4, v50
	v_pk_fma_f32 v[48:49], v[42:43], v[6:7], v[24:25] op_sel_hi:[0,1,1]
	v_pk_fma_f32 v[22:23], v[36:37], v[4:5], v[22:23] op_sel_hi:[0,1,1]
	v_mov_b32_e32 v7, v50
	v_pk_fma_f32 v[22:23], v[36:37], v[6:7], v[22:23] op_sel:[1,0,0]
	v_mov_b32_e32 v4, v51
	v_pk_fma_f32 v[22:23], v[38:39], v[4:5], v[22:23] op_sel_hi:[0,1,1]
	v_mov_b32_e32 v7, v51
	v_pk_fma_f32 v[22:23], v[40:41], v[6:7], v[22:23] op_sel_hi:[0,1,1]
	v_mov_b32_e32 v4, v52
	v_pk_fma_f32 v[22:23], v[30:31], v[4:5], v[22:23] op_sel_hi:[0,1,1]
	v_mov_b32_e32 v7, v52
	v_pk_fma_f32 v[22:23], v[30:31], v[6:7], v[22:23] op_sel:[1,0,0]
	v_mov_b32_e32 v4, v53
	v_pk_fma_f32 v[22:23], v[32:33], v[4:5], v[22:23] op_sel_hi:[0,1,1]
	v_mov_b32_e32 v7, v53
	s_waitcnt vmcnt(0)
	v_subrev_u32_e32 v1, s16, v1
	v_pk_fma_f32 v[30:31], v[42:43], v[6:7], v[22:23] op_sel_hi:[0,1,1]
	v_lshlrev_b32_e32 v22, 2, v1
	v_ashrrev_i32_e32 v23, 31, v22
	v_lshl_add_u64 v[32:33], v[22:23], 3, s[2:3]
	global_load_dwordx4 v[22:25], v[32:33], off offset:16
	global_load_dwordx4 v[26:29], v[32:33], off
	global_load_dwordx4 v[50:53], v[2:3], off offset:2096
	global_load_dwordx4 v[54:57], v[2:3], off offset:2080
	;; [unrolled: 1-line block ×4, first 2 shown]
	global_load_dword v1, v[8:9], off offset:256
	s_waitcnt vmcnt(1)
	v_mov_b32_e32 v4, v36
	v_pk_fma_f32 v[32:33], v[26:27], v[4:5], v[44:45] op_sel_hi:[0,1,1]
	v_mov_b32_e32 v7, v36
	v_pk_fma_f32 v[32:33], v[26:27], v[6:7], v[32:33] op_sel:[1,0,0]
	v_mov_b32_e32 v4, v37
	v_pk_fma_f32 v[32:33], v[28:29], v[4:5], v[32:33] op_sel_hi:[0,1,1]
	v_mov_b32_e32 v36, v29
	v_mov_b32_e32 v7, v37
	v_pk_fma_f32 v[32:33], v[36:37], v[6:7], v[32:33] op_sel_hi:[0,1,1]
	v_mov_b32_e32 v4, v38
	v_pk_fma_f32 v[32:33], v[22:23], v[4:5], v[32:33] op_sel_hi:[0,1,1]
	v_mov_b32_e32 v7, v38
	v_pk_fma_f32 v[32:33], v[22:23], v[6:7], v[32:33] op_sel:[1,0,0]
	v_mov_b32_e32 v4, v39
	v_pk_fma_f32 v[32:33], v[24:25], v[4:5], v[32:33] op_sel_hi:[0,1,1]
	v_mov_b32_e32 v38, v25
	v_mov_b32_e32 v7, v39
	;; [unrolled: 1-line block ×3, first 2 shown]
	v_pk_fma_f32 v[32:33], v[38:39], v[6:7], v[32:33] op_sel_hi:[0,1,1]
	v_pk_fma_f32 v[40:41], v[26:27], v[4:5], v[46:47] op_sel_hi:[0,1,1]
	v_mov_b32_e32 v7, v58
	v_pk_fma_f32 v[40:41], v[26:27], v[6:7], v[40:41] op_sel:[1,0,0]
	v_mov_b32_e32 v4, v59
	v_pk_fma_f32 v[40:41], v[28:29], v[4:5], v[40:41] op_sel_hi:[0,1,1]
	v_mov_b32_e32 v7, v59
	v_pk_fma_f32 v[40:41], v[36:37], v[6:7], v[40:41] op_sel_hi:[0,1,1]
	;; [unrolled: 2-line block ×3, first 2 shown]
	v_mov_b32_e32 v7, v60
	v_pk_fma_f32 v[40:41], v[22:23], v[6:7], v[40:41] op_sel:[1,0,0]
	v_mov_b32_e32 v4, v61
	v_pk_fma_f32 v[40:41], v[24:25], v[4:5], v[40:41] op_sel_hi:[0,1,1]
	v_mov_b32_e32 v7, v61
	v_mov_b32_e32 v4, v54
	v_pk_fma_f32 v[40:41], v[38:39], v[6:7], v[40:41] op_sel_hi:[0,1,1]
	v_pk_fma_f32 v[42:43], v[26:27], v[4:5], v[48:49] op_sel_hi:[0,1,1]
	v_mov_b32_e32 v7, v54
	v_pk_fma_f32 v[42:43], v[26:27], v[6:7], v[42:43] op_sel:[1,0,0]
	v_mov_b32_e32 v4, v55
	v_pk_fma_f32 v[42:43], v[28:29], v[4:5], v[42:43] op_sel_hi:[0,1,1]
	v_mov_b32_e32 v7, v55
	v_pk_fma_f32 v[42:43], v[36:37], v[6:7], v[42:43] op_sel_hi:[0,1,1]
	;; [unrolled: 2-line block ×3, first 2 shown]
	v_mov_b32_e32 v7, v56
	v_pk_fma_f32 v[42:43], v[22:23], v[6:7], v[42:43] op_sel:[1,0,0]
	v_mov_b32_e32 v4, v57
	v_pk_fma_f32 v[42:43], v[24:25], v[4:5], v[42:43] op_sel_hi:[0,1,1]
	v_mov_b32_e32 v7, v57
	v_mov_b32_e32 v4, v50
	v_pk_fma_f32 v[42:43], v[38:39], v[6:7], v[42:43] op_sel_hi:[0,1,1]
	v_pk_fma_f32 v[30:31], v[26:27], v[4:5], v[30:31] op_sel_hi:[0,1,1]
	v_mov_b32_e32 v7, v50
	v_pk_fma_f32 v[26:27], v[26:27], v[6:7], v[30:31] op_sel:[1,0,0]
	v_mov_b32_e32 v4, v51
	v_pk_fma_f32 v[26:27], v[28:29], v[4:5], v[26:27] op_sel_hi:[0,1,1]
	v_mov_b32_e32 v7, v51
	v_pk_fma_f32 v[26:27], v[36:37], v[6:7], v[26:27] op_sel_hi:[0,1,1]
	;; [unrolled: 2-line block ×3, first 2 shown]
	v_mov_b32_e32 v7, v52
	v_pk_fma_f32 v[22:23], v[22:23], v[6:7], v[26:27] op_sel:[1,0,0]
	v_mov_b32_e32 v4, v53
	v_pk_fma_f32 v[22:23], v[24:25], v[4:5], v[22:23] op_sel_hi:[0,1,1]
	v_mov_b32_e32 v7, v53
	s_waitcnt vmcnt(0)
	v_subrev_u32_e32 v1, s16, v1
	v_pk_fma_f32 v[30:31], v[38:39], v[6:7], v[22:23] op_sel_hi:[0,1,1]
	v_lshlrev_b32_e32 v22, 2, v1
	v_ashrrev_i32_e32 v23, 31, v22
	v_lshl_add_u64 v[36:37], v[22:23], 3, s[2:3]
	global_load_dwordx4 v[22:25], v[36:37], off offset:16
	global_load_dwordx4 v[26:29], v[36:37], off
	v_add_co_u32_e32 v36, vcc, s17, v2
	v_lshl_add_u64 v[44:45], v[2:3], 0, s[18:19]
	s_nop 0
	v_addc_co_u32_e32 v37, vcc, 0, v3, vcc
	global_load_dwordx4 v[46:49], v[36:37], off
	global_load_dwordx4 v[50:53], v[44:45], off offset:48
	global_load_dwordx4 v[54:57], v[44:45], off offset:32
	;; [unrolled: 1-line block ×3, first 2 shown]
	global_load_dword v1, v[8:9], off offset:384
	v_cmp_ge_i32_e32 vcc, v0, v34
	v_lshl_add_u64 v[2:3], v[2:3], 0, s[20:21]
	s_or_b64 s[14:15], vcc, s[14:15]
	s_waitcnt vmcnt(6)
	v_mov_b32_e32 v38, v25
	s_waitcnt vmcnt(5)
	v_mov_b32_e32 v36, v29
	;; [unrolled: 2-line block ×3, first 2 shown]
	v_pk_fma_f32 v[32:33], v[26:27], v[4:5], v[32:33] op_sel_hi:[0,1,1]
	v_mov_b32_e32 v7, v46
	v_pk_fma_f32 v[32:33], v[26:27], v[6:7], v[32:33] op_sel:[1,0,0]
	v_mov_b32_e32 v4, v47
	v_pk_fma_f32 v[32:33], v[28:29], v[4:5], v[32:33] op_sel_hi:[0,1,1]
	v_mov_b32_e32 v7, v47
	v_pk_fma_f32 v[32:33], v[36:37], v[6:7], v[32:33] op_sel_hi:[0,1,1]
	;; [unrolled: 2-line block ×3, first 2 shown]
	v_mov_b32_e32 v7, v48
	v_pk_fma_f32 v[32:33], v[22:23], v[6:7], v[32:33] op_sel:[1,0,0]
	v_mov_b32_e32 v4, v49
	v_pk_fma_f32 v[32:33], v[24:25], v[4:5], v[32:33] op_sel_hi:[0,1,1]
	v_mov_b32_e32 v7, v49
	s_waitcnt vmcnt(1)
	v_mov_b32_e32 v4, v58
	v_pk_fma_f32 v[46:47], v[38:39], v[6:7], v[32:33] op_sel_hi:[0,1,1]
	v_pk_fma_f32 v[32:33], v[26:27], v[4:5], v[40:41] op_sel_hi:[0,1,1]
	v_mov_b32_e32 v7, v58
	v_pk_fma_f32 v[32:33], v[26:27], v[6:7], v[32:33] op_sel:[1,0,0]
	v_mov_b32_e32 v4, v59
	v_pk_fma_f32 v[32:33], v[28:29], v[4:5], v[32:33] op_sel_hi:[0,1,1]
	v_mov_b32_e32 v7, v59
	v_pk_fma_f32 v[32:33], v[36:37], v[6:7], v[32:33] op_sel_hi:[0,1,1]
	;; [unrolled: 2-line block ×3, first 2 shown]
	v_mov_b32_e32 v7, v60
	v_pk_fma_f32 v[32:33], v[22:23], v[6:7], v[32:33] op_sel:[1,0,0]
	v_mov_b32_e32 v4, v61
	v_pk_fma_f32 v[32:33], v[24:25], v[4:5], v[32:33] op_sel_hi:[0,1,1]
	v_mov_b32_e32 v7, v61
	v_mov_b32_e32 v4, v54
	v_pk_fma_f32 v[40:41], v[38:39], v[6:7], v[32:33] op_sel_hi:[0,1,1]
	v_pk_fma_f32 v[32:33], v[26:27], v[4:5], v[42:43] op_sel_hi:[0,1,1]
	v_mov_b32_e32 v7, v54
	v_pk_fma_f32 v[32:33], v[26:27], v[6:7], v[32:33] op_sel:[1,0,0]
	v_mov_b32_e32 v4, v55
	v_pk_fma_f32 v[32:33], v[28:29], v[4:5], v[32:33] op_sel_hi:[0,1,1]
	v_mov_b32_e32 v7, v55
	v_pk_fma_f32 v[32:33], v[36:37], v[6:7], v[32:33] op_sel_hi:[0,1,1]
	;; [unrolled: 2-line block ×3, first 2 shown]
	v_mov_b32_e32 v7, v56
	v_pk_fma_f32 v[32:33], v[22:23], v[6:7], v[32:33] op_sel:[1,0,0]
	v_mov_b32_e32 v4, v57
	v_pk_fma_f32 v[32:33], v[24:25], v[4:5], v[32:33] op_sel_hi:[0,1,1]
	v_mov_b32_e32 v7, v57
	v_mov_b32_e32 v4, v50
	v_pk_fma_f32 v[42:43], v[38:39], v[6:7], v[32:33] op_sel_hi:[0,1,1]
	v_pk_fma_f32 v[30:31], v[26:27], v[4:5], v[30:31] op_sel_hi:[0,1,1]
	v_mov_b32_e32 v7, v50
	v_pk_fma_f32 v[26:27], v[26:27], v[6:7], v[30:31] op_sel:[1,0,0]
	v_mov_b32_e32 v4, v51
	v_pk_fma_f32 v[26:27], v[28:29], v[4:5], v[26:27] op_sel_hi:[0,1,1]
	v_mov_b32_e32 v7, v51
	v_pk_fma_f32 v[26:27], v[36:37], v[6:7], v[26:27] op_sel_hi:[0,1,1]
	v_mov_b32_e32 v4, v52
	s_waitcnt vmcnt(0)
	v_subrev_u32_e32 v1, s16, v1
	v_pk_fma_f32 v[26:27], v[22:23], v[4:5], v[26:27] op_sel_hi:[0,1,1]
	v_mov_b32_e32 v7, v52
	v_lshlrev_b32_e32 v8, 2, v1
	v_pk_fma_f32 v[22:23], v[22:23], v[6:7], v[26:27] op_sel:[1,0,0]
	v_mov_b32_e32 v4, v53
	v_ashrrev_i32_e32 v9, 31, v8
	v_pk_fma_f32 v[22:23], v[24:25], v[4:5], v[22:23] op_sel_hi:[0,1,1]
	v_mov_b32_e32 v7, v53
	v_lshl_add_u64 v[8:9], v[8:9], 3, s[2:3]
	v_pk_fma_f32 v[22:23], v[38:39], v[6:7], v[22:23] op_sel_hi:[0,1,1]
	global_load_dwordx4 v[30:33], v[8:9], off offset:16
	global_load_dwordx4 v[36:39], v[8:9], off
	global_load_dwordx4 v[48:51], v[44:45], off offset:2096
	global_load_dwordx4 v[52:55], v[44:45], off offset:2080
	;; [unrolled: 1-line block ×4, first 2 shown]
	s_waitcnt vmcnt(4)
	v_mov_b32_e32 v44, v39
	s_waitcnt vmcnt(0)
	v_mov_b32_e32 v4, v56
	v_pk_fma_f32 v[8:9], v[36:37], v[4:5], v[46:47] op_sel_hi:[0,1,1]
	v_mov_b32_e32 v7, v56
	v_pk_fma_f32 v[8:9], v[36:37], v[6:7], v[8:9] op_sel:[1,0,0]
	v_mov_b32_e32 v4, v57
	v_pk_fma_f32 v[8:9], v[38:39], v[4:5], v[8:9] op_sel_hi:[0,1,1]
	v_mov_b32_e32 v7, v57
	v_pk_fma_f32 v[8:9], v[44:45], v[6:7], v[8:9] op_sel_hi:[0,1,1]
	v_mov_b32_e32 v4, v58
	v_pk_fma_f32 v[8:9], v[30:31], v[4:5], v[8:9] op_sel_hi:[0,1,1]
	v_mov_b32_e32 v7, v58
	v_pk_fma_f32 v[8:9], v[30:31], v[6:7], v[8:9] op_sel:[1,0,0]
	v_mov_b32_e32 v4, v59
	v_pk_fma_f32 v[8:9], v[32:33], v[4:5], v[8:9] op_sel_hi:[0,1,1]
	v_mov_b32_e32 v46, v33
	v_mov_b32_e32 v7, v59
	;; [unrolled: 1-line block ×3, first 2 shown]
	v_pk_fma_f32 v[28:29], v[46:47], v[6:7], v[8:9] op_sel_hi:[0,1,1]
	v_pk_fma_f32 v[8:9], v[36:37], v[4:5], v[40:41] op_sel_hi:[0,1,1]
	v_mov_b32_e32 v7, v24
	v_pk_fma_f32 v[8:9], v[36:37], v[6:7], v[8:9] op_sel:[1,0,0]
	v_mov_b32_e32 v4, v25
	v_pk_fma_f32 v[8:9], v[38:39], v[4:5], v[8:9] op_sel_hi:[0,1,1]
	v_mov_b32_e32 v7, v25
	v_pk_fma_f32 v[8:9], v[44:45], v[6:7], v[8:9] op_sel_hi:[0,1,1]
	;; [unrolled: 2-line block ×3, first 2 shown]
	v_mov_b32_e32 v7, v26
	v_pk_fma_f32 v[8:9], v[30:31], v[6:7], v[8:9] op_sel:[1,0,0]
	v_mov_b32_e32 v4, v27
	v_pk_fma_f32 v[8:9], v[32:33], v[4:5], v[8:9] op_sel_hi:[0,1,1]
	v_mov_b32_e32 v7, v27
	v_mov_b32_e32 v4, v52
	v_pk_fma_f32 v[26:27], v[46:47], v[6:7], v[8:9] op_sel_hi:[0,1,1]
	v_pk_fma_f32 v[8:9], v[36:37], v[4:5], v[42:43] op_sel_hi:[0,1,1]
	v_mov_b32_e32 v7, v52
	v_pk_fma_f32 v[8:9], v[36:37], v[6:7], v[8:9] op_sel:[1,0,0]
	v_mov_b32_e32 v4, v53
	v_pk_fma_f32 v[8:9], v[38:39], v[4:5], v[8:9] op_sel_hi:[0,1,1]
	v_mov_b32_e32 v7, v53
	v_pk_fma_f32 v[8:9], v[44:45], v[6:7], v[8:9] op_sel_hi:[0,1,1]
	;; [unrolled: 2-line block ×3, first 2 shown]
	v_mov_b32_e32 v7, v54
	v_pk_fma_f32 v[8:9], v[30:31], v[6:7], v[8:9] op_sel:[1,0,0]
	v_mov_b32_e32 v4, v55
	v_pk_fma_f32 v[8:9], v[32:33], v[4:5], v[8:9] op_sel_hi:[0,1,1]
	v_mov_b32_e32 v7, v55
	v_mov_b32_e32 v4, v48
	v_pk_fma_f32 v[24:25], v[46:47], v[6:7], v[8:9] op_sel_hi:[0,1,1]
	v_pk_fma_f32 v[8:9], v[36:37], v[4:5], v[22:23] op_sel_hi:[0,1,1]
	v_mov_b32_e32 v7, v48
	v_pk_fma_f32 v[8:9], v[36:37], v[6:7], v[8:9] op_sel:[1,0,0]
	v_mov_b32_e32 v4, v49
	v_pk_fma_f32 v[8:9], v[38:39], v[4:5], v[8:9] op_sel_hi:[0,1,1]
	v_mov_b32_e32 v7, v49
	v_pk_fma_f32 v[8:9], v[44:45], v[6:7], v[8:9] op_sel_hi:[0,1,1]
	;; [unrolled: 2-line block ×3, first 2 shown]
	v_mov_b32_e32 v7, v50
	v_pk_fma_f32 v[8:9], v[30:31], v[6:7], v[8:9] op_sel:[1,0,0]
	v_mov_b32_e32 v4, v51
	v_pk_fma_f32 v[8:9], v[32:33], v[4:5], v[8:9] op_sel_hi:[0,1,1]
	v_mov_b32_e32 v7, v51
	v_pk_fma_f32 v[22:23], v[46:47], v[6:7], v[8:9] op_sel_hi:[0,1,1]
	s_andn2_b64 exec, exec, s[14:15]
	s_cbranch_execnz .LBB123_17
; %bb.18:
	s_or_b64 exec, exec, s[14:15]
.LBB123_19:
	s_or_b64 exec, exec, s[10:11]
.LBB123_20:
	s_or_b64 exec, exec, s[8:9]
	s_cbranch_execz .LBB123_22
	s_branch .LBB123_33
.LBB123_21:
                                        ; implicit-def: $vgpr29
                                        ; implicit-def: $vgpr27
                                        ; implicit-def: $vgpr25
                                        ; implicit-def: $vgpr23
.LBB123_22:
	v_mov_b32_e32 v29, 0
	v_mov_b32_e32 v28, 0
	;; [unrolled: 1-line block ×8, first 2 shown]
	s_and_saveexec_b64 s[8:9], s[4:5]
	s_cbranch_execz .LBB123_32
; %bb.23:
	v_add_u32_e32 v0, v10, v17
	v_subrev_u32_e32 v0, s16, v0
	v_add_u32_e32 v0, 32, v0
	v_max_i32_e32 v0, v0, v34
	v_not_b32_e32 v1, v10
	v_add3_u32 v0, s16, v0, v1
	v_sub_u32_e32 v4, v0, v17
	s_movk_i32 s4, 0x60
	v_and_b32_e32 v0, 0x60, v4
	v_mov_b32_e32 v1, 0
	v_cmp_ne_u32_e32 vcc, s4, v0
	v_mov_b32_e32 v0, v1
	v_mov_b64_e32 v[28:29], v[0:1]
	v_mov_b64_e32 v[26:27], v[0:1]
	;; [unrolled: 1-line block ×4, first 2 shown]
	s_and_saveexec_b64 s[4:5], vcc
	s_cbranch_execz .LBB123_27
; %bb.24:
	v_lshrrev_b32_e32 v0, 5, v4
	v_add_u32_e32 v0, 1, v0
	v_and_b32_e32 v0, 3, v0
	v_sub_u32_e32 v5, 0, v0
	s_mov_b64 s[10:11], 0
	s_mov_b64 s[14:15], 0x800
	v_bfrev_b32_e32 v2, 1
	v_mov_b32_e32 v22, v1
	v_mov_b32_e32 v23, v1
	;; [unrolled: 1-line block ×8, first 2 shown]
.LBB123_25:                             ; =>This Inner Loop Header: Depth=1
	v_ashrrev_i32_e32 v19, 31, v18
	v_lshl_add_u64 v[6:7], v[18:19], 2, s[12:13]
	global_load_dword v0, v[6:7], off
	global_load_dwordx4 v[40:43], v[20:21], off offset:32
	global_load_dwordx4 v[44:47], v[20:21], off offset:16
	global_load_dwordx4 v[48:51], v[20:21], off
	v_add_co_u32_e32 v5, vcc, 1, v5
	v_add_u32_e32 v18, 32, v18
	s_or_b64 s[10:11], vcc, s[10:11]
	s_waitcnt vmcnt(3)
	v_subrev_u32_e32 v0, s16, v0
	v_lshlrev_b32_e32 v6, 2, v0
	v_ashrrev_i32_e32 v7, 31, v6
	v_lshl_add_u64 v[10:11], v[6:7], 3, s[2:3]
	global_load_dwordx4 v[6:9], v[10:11], off
	global_load_dwordx4 v[30:33], v[10:11], off offset:16
	global_load_dwordx4 v[52:55], v[20:21], off offset:48
	s_waitcnt vmcnt(3)
	v_mov_b32_e32 v0, v48
	v_mov_b32_e32 v3, v48
	v_lshl_add_u64 v[20:21], v[20:21], 0, s[14:15]
	s_waitcnt vmcnt(2)
	v_pk_fma_f32 v[10:11], v[6:7], v[0:1], v[28:29] op_sel_hi:[0,1,1]
	v_mov_b32_e32 v0, v44
	v_pk_fma_f32 v[10:11], v[6:7], v[2:3], v[10:11] op_sel:[1,0,0]
	v_mov_b32_e32 v36, v9
	v_mov_b32_e32 v3, v44
	v_pk_fma_f32 v[10:11], v[8:9], v[0:1], v[10:11] op_sel_hi:[0,1,1]
	v_mov_b32_e32 v0, v40
	v_pk_fma_f32 v[10:11], v[36:37], v[2:3], v[10:11] op_sel_hi:[0,1,1]
	v_mov_b32_e32 v3, v40
	s_waitcnt vmcnt(1)
	v_pk_fma_f32 v[10:11], v[30:31], v[0:1], v[10:11] op_sel_hi:[0,1,1]
	s_waitcnt vmcnt(0)
	v_mov_b32_e32 v0, v52
	v_pk_fma_f32 v[10:11], v[30:31], v[2:3], v[10:11] op_sel:[1,0,0]
	v_mov_b32_e32 v38, v33
	v_mov_b32_e32 v3, v52
	v_pk_fma_f32 v[10:11], v[32:33], v[0:1], v[10:11] op_sel_hi:[0,1,1]
	v_mov_b32_e32 v0, v49
	v_pk_fma_f32 v[28:29], v[38:39], v[2:3], v[10:11] op_sel_hi:[0,1,1]
	v_pk_fma_f32 v[10:11], v[6:7], v[0:1], v[26:27] op_sel_hi:[0,1,1]
	v_mov_b32_e32 v3, v49
	v_mov_b32_e32 v0, v45
	v_pk_fma_f32 v[10:11], v[6:7], v[2:3], v[10:11] op_sel:[1,0,0]
	v_mov_b32_e32 v3, v45
	v_pk_fma_f32 v[10:11], v[8:9], v[0:1], v[10:11] op_sel_hi:[0,1,1]
	v_mov_b32_e32 v0, v41
	v_pk_fma_f32 v[10:11], v[36:37], v[2:3], v[10:11] op_sel_hi:[0,1,1]
	v_mov_b32_e32 v3, v41
	v_pk_fma_f32 v[10:11], v[30:31], v[0:1], v[10:11] op_sel_hi:[0,1,1]
	v_mov_b32_e32 v0, v53
	v_pk_fma_f32 v[10:11], v[30:31], v[2:3], v[10:11] op_sel:[1,0,0]
	v_mov_b32_e32 v3, v53
	v_pk_fma_f32 v[10:11], v[32:33], v[0:1], v[10:11] op_sel_hi:[0,1,1]
	v_mov_b32_e32 v0, v50
	v_pk_fma_f32 v[26:27], v[38:39], v[2:3], v[10:11] op_sel_hi:[0,1,1]
	v_pk_fma_f32 v[10:11], v[6:7], v[0:1], v[24:25] op_sel_hi:[0,1,1]
	v_mov_b32_e32 v3, v50
	v_mov_b32_e32 v0, v46
	v_pk_fma_f32 v[10:11], v[6:7], v[2:3], v[10:11] op_sel:[1,0,0]
	v_mov_b32_e32 v3, v46
	v_pk_fma_f32 v[10:11], v[8:9], v[0:1], v[10:11] op_sel_hi:[0,1,1]
	v_mov_b32_e32 v0, v42
	v_pk_fma_f32 v[10:11], v[36:37], v[2:3], v[10:11] op_sel_hi:[0,1,1]
	v_mov_b32_e32 v3, v42
	v_pk_fma_f32 v[10:11], v[30:31], v[0:1], v[10:11] op_sel_hi:[0,1,1]
	v_mov_b32_e32 v0, v54
	v_pk_fma_f32 v[10:11], v[30:31], v[2:3], v[10:11] op_sel:[1,0,0]
	;; [unrolled: 16-line block ×3, first 2 shown]
	v_mov_b32_e32 v3, v55
	v_pk_fma_f32 v[6:7], v[32:33], v[0:1], v[6:7] op_sel_hi:[0,1,1]
	v_pk_fma_f32 v[22:23], v[38:39], v[2:3], v[6:7] op_sel_hi:[0,1,1]
	s_andn2_b64 exec, exec, s[10:11]
	s_cbranch_execnz .LBB123_25
; %bb.26:
	s_or_b64 exec, exec, s[10:11]
.LBB123_27:
	s_or_b64 exec, exec, s[4:5]
	s_movk_i32 s4, 0x5f
	v_cmp_lt_u32_e32 vcc, s4, v4
	s_and_saveexec_b64 s[4:5], vcc
	s_cbranch_execz .LBB123_31
; %bb.28:
	s_mov_b64 s[10:11], 0
	v_mov_b32_e32 v31, 0
	s_mov_b64 s[14:15], 0x1000
	s_movk_i32 s17, 0x1000
	s_mov_b64 s[18:19], 0x2000
	v_bfrev_b32_e32 v32, 1
.LBB123_29:                             ; =>This Inner Loop Header: Depth=1
	v_ashrrev_i32_e32 v19, 31, v18
	v_lshl_add_u64 v[0:1], v[20:21], 0, s[14:15]
	v_add_co_u32_e32 v2, vcc, s17, v20
	global_load_dwordx4 v[36:39], v[20:21], off offset:48
	global_load_dwordx4 v[40:43], v[20:21], off offset:32
	;; [unrolled: 1-line block ×3, first 2 shown]
	global_load_dwordx4 v[48:51], v[20:21], off
	global_load_dwordx4 v[52:55], v[20:21], off offset:2096
	global_load_dwordx4 v[56:59], v[20:21], off offset:2080
	;; [unrolled: 1-line block ×4, first 2 shown]
	v_addc_co_u32_e32 v3, vcc, 0, v21, vcc
	v_lshl_add_u64 v[4:5], v[18:19], 2, s[12:13]
	global_load_dwordx4 v[102:105], v[0:1], off offset:32
	global_load_dwordx4 v[106:109], v[0:1], off offset:16
	;; [unrolled: 1-line block ×7, first 2 shown]
	global_load_dwordx4 v[130:133], v[2:3], off
	global_load_dword v6, v[4:5], off
	global_load_dword v7, v[4:5], off offset:128
	global_load_dword v8, v[4:5], off offset:256
	;; [unrolled: 1-line block ×3, first 2 shown]
	v_add_u32_e32 v18, 0x80, v18
	v_cmp_ge_i32_e32 vcc, v18, v34
	v_lshl_add_u64 v[20:21], v[20:21], 0, s[18:19]
	s_or_b64 s[10:11], vcc, s[10:11]
	s_waitcnt vmcnt(16)
	v_mov_b32_e32 v30, v48
	v_mov_b32_e32 v33, v48
	s_waitcnt vmcnt(3)
	v_subrev_u32_e32 v0, s16, v6
	s_waitcnt vmcnt(2)
	v_subrev_u32_e32 v1, s16, v7
	;; [unrolled: 2-line block ×4, first 2 shown]
	v_lshlrev_b32_e32 v0, 2, v0
	v_lshlrev_b32_e32 v2, 2, v1
	;; [unrolled: 1-line block ×4, first 2 shown]
	v_ashrrev_i32_e32 v1, 31, v0
	v_ashrrev_i32_e32 v3, 31, v2
	;; [unrolled: 1-line block ×4, first 2 shown]
	v_lshl_add_u64 v[88:89], v[0:1], 3, s[2:3]
	v_lshl_add_u64 v[90:91], v[2:3], 3, s[2:3]
	;; [unrolled: 1-line block ×4, first 2 shown]
	global_load_dwordx4 v[68:71], v[88:89], off
	global_load_dwordx4 v[72:75], v[88:89], off offset:16
	global_load_dwordx4 v[76:79], v[90:91], off
	global_load_dwordx4 v[80:83], v[90:91], off offset:16
	global_load_dwordx4 v[84:87], v[92:93], off
	global_load_dwordx4 v[8:11], v[92:93], off offset:16
	global_load_dwordx4 v[4:7], v[94:95], off
	global_load_dwordx4 v[0:3], v[94:95], off offset:16
	s_waitcnt vmcnt(7)
	v_pk_fma_f32 v[28:29], v[68:69], v[30:31], v[28:29] op_sel_hi:[0,1,1]
	v_mov_b32_e32 v30, v44
	v_pk_fma_f32 v[28:29], v[68:69], v[32:33], v[28:29] op_sel:[1,0,0]
	v_mov_b32_e32 v48, v71
	v_mov_b32_e32 v33, v44
	v_pk_fma_f32 v[28:29], v[70:71], v[30:31], v[28:29] op_sel_hi:[0,1,1]
	v_mov_b32_e32 v30, v40
	v_pk_fma_f32 v[28:29], v[48:49], v[32:33], v[28:29] op_sel_hi:[0,1,1]
	v_mov_b32_e32 v33, v40
	s_waitcnt vmcnt(6)
	v_pk_fma_f32 v[28:29], v[72:73], v[30:31], v[28:29] op_sel_hi:[0,1,1]
	v_mov_b32_e32 v30, v36
	v_pk_fma_f32 v[28:29], v[72:73], v[32:33], v[28:29] op_sel:[1,0,0]
	v_mov_b32_e32 v88, v75
	v_mov_b32_e32 v33, v36
	v_pk_fma_f32 v[28:29], v[74:75], v[30:31], v[28:29] op_sel_hi:[0,1,1]
	v_mov_b32_e32 v30, v49
	v_pk_fma_f32 v[28:29], v[88:89], v[32:33], v[28:29] op_sel_hi:[0,1,1]
	v_pk_fma_f32 v[26:27], v[68:69], v[30:31], v[26:27] op_sel_hi:[0,1,1]
	v_mov_b32_e32 v33, v49
	v_mov_b32_e32 v30, v45
	v_pk_fma_f32 v[26:27], v[68:69], v[32:33], v[26:27] op_sel:[1,0,0]
	v_mov_b32_e32 v33, v45
	v_pk_fma_f32 v[26:27], v[70:71], v[30:31], v[26:27] op_sel_hi:[0,1,1]
	v_mov_b32_e32 v30, v41
	v_pk_fma_f32 v[26:27], v[48:49], v[32:33], v[26:27] op_sel_hi:[0,1,1]
	v_mov_b32_e32 v33, v41
	v_pk_fma_f32 v[26:27], v[72:73], v[30:31], v[26:27] op_sel_hi:[0,1,1]
	v_mov_b32_e32 v30, v37
	v_pk_fma_f32 v[26:27], v[72:73], v[32:33], v[26:27] op_sel:[1,0,0]
	v_mov_b32_e32 v33, v37
	v_pk_fma_f32 v[26:27], v[74:75], v[30:31], v[26:27] op_sel_hi:[0,1,1]
	v_mov_b32_e32 v30, v50
	v_pk_fma_f32 v[26:27], v[88:89], v[32:33], v[26:27] op_sel_hi:[0,1,1]
	v_pk_fma_f32 v[24:25], v[68:69], v[30:31], v[24:25] op_sel_hi:[0,1,1]
	v_mov_b32_e32 v33, v50
	v_mov_b32_e32 v30, v46
	v_pk_fma_f32 v[24:25], v[68:69], v[32:33], v[24:25] op_sel:[1,0,0]
	v_mov_b32_e32 v33, v46
	v_pk_fma_f32 v[24:25], v[70:71], v[30:31], v[24:25] op_sel_hi:[0,1,1]
	v_mov_b32_e32 v30, v42
	v_pk_fma_f32 v[24:25], v[48:49], v[32:33], v[24:25] op_sel_hi:[0,1,1]
	v_mov_b32_e32 v33, v42
	v_pk_fma_f32 v[24:25], v[72:73], v[30:31], v[24:25] op_sel_hi:[0,1,1]
	v_mov_b32_e32 v30, v38
	v_pk_fma_f32 v[24:25], v[72:73], v[32:33], v[24:25] op_sel:[1,0,0]
	;; [unrolled: 16-line block ×3, first 2 shown]
	v_mov_b32_e32 v33, v39
	v_pk_fma_f32 v[22:23], v[74:75], v[30:31], v[22:23] op_sel_hi:[0,1,1]
	v_mov_b32_e32 v30, v64
	v_pk_fma_f32 v[22:23], v[88:89], v[32:33], v[22:23] op_sel_hi:[0,1,1]
	s_waitcnt vmcnt(5)
	v_pk_fma_f32 v[28:29], v[76:77], v[30:31], v[28:29] op_sel_hi:[0,1,1]
	v_mov_b32_e32 v33, v64
	v_mov_b32_e32 v30, v60
	v_pk_fma_f32 v[28:29], v[76:77], v[32:33], v[28:29] op_sel:[1,0,0]
	v_mov_b32_e32 v90, v79
	v_mov_b32_e32 v33, v60
	v_pk_fma_f32 v[28:29], v[78:79], v[30:31], v[28:29] op_sel_hi:[0,1,1]
	v_mov_b32_e32 v30, v56
	v_pk_fma_f32 v[28:29], v[90:91], v[32:33], v[28:29] op_sel_hi:[0,1,1]
	v_mov_b32_e32 v33, v56
	s_waitcnt vmcnt(4)
	v_pk_fma_f32 v[28:29], v[80:81], v[30:31], v[28:29] op_sel_hi:[0,1,1]
	v_mov_b32_e32 v30, v52
	v_pk_fma_f32 v[28:29], v[80:81], v[32:33], v[28:29] op_sel:[1,0,0]
	v_mov_b32_e32 v92, v83
	v_mov_b32_e32 v33, v52
	v_pk_fma_f32 v[28:29], v[82:83], v[30:31], v[28:29] op_sel_hi:[0,1,1]
	v_mov_b32_e32 v30, v65
	v_pk_fma_f32 v[28:29], v[92:93], v[32:33], v[28:29] op_sel_hi:[0,1,1]
	v_pk_fma_f32 v[26:27], v[76:77], v[30:31], v[26:27] op_sel_hi:[0,1,1]
	v_mov_b32_e32 v33, v65
	v_mov_b32_e32 v30, v61
	v_pk_fma_f32 v[26:27], v[76:77], v[32:33], v[26:27] op_sel:[1,0,0]
	v_mov_b32_e32 v33, v61
	v_pk_fma_f32 v[26:27], v[78:79], v[30:31], v[26:27] op_sel_hi:[0,1,1]
	v_mov_b32_e32 v30, v57
	v_pk_fma_f32 v[26:27], v[90:91], v[32:33], v[26:27] op_sel_hi:[0,1,1]
	v_mov_b32_e32 v33, v57
	v_pk_fma_f32 v[26:27], v[80:81], v[30:31], v[26:27] op_sel_hi:[0,1,1]
	v_mov_b32_e32 v30, v53
	v_pk_fma_f32 v[26:27], v[80:81], v[32:33], v[26:27] op_sel:[1,0,0]
	v_mov_b32_e32 v33, v53
	v_pk_fma_f32 v[26:27], v[82:83], v[30:31], v[26:27] op_sel_hi:[0,1,1]
	v_mov_b32_e32 v30, v66
	v_pk_fma_f32 v[26:27], v[92:93], v[32:33], v[26:27] op_sel_hi:[0,1,1]
	v_pk_fma_f32 v[24:25], v[76:77], v[30:31], v[24:25] op_sel_hi:[0,1,1]
	v_mov_b32_e32 v33, v66
	v_mov_b32_e32 v30, v62
	v_pk_fma_f32 v[24:25], v[76:77], v[32:33], v[24:25] op_sel:[1,0,0]
	v_mov_b32_e32 v33, v62
	v_pk_fma_f32 v[24:25], v[78:79], v[30:31], v[24:25] op_sel_hi:[0,1,1]
	v_mov_b32_e32 v30, v58
	v_pk_fma_f32 v[24:25], v[90:91], v[32:33], v[24:25] op_sel_hi:[0,1,1]
	v_mov_b32_e32 v33, v58
	v_pk_fma_f32 v[24:25], v[80:81], v[30:31], v[24:25] op_sel_hi:[0,1,1]
	v_mov_b32_e32 v30, v54
	v_pk_fma_f32 v[24:25], v[80:81], v[32:33], v[24:25] op_sel:[1,0,0]
	;; [unrolled: 16-line block ×3, first 2 shown]
	v_mov_b32_e32 v33, v55
	v_pk_fma_f32 v[22:23], v[82:83], v[30:31], v[22:23] op_sel_hi:[0,1,1]
	v_mov_b32_e32 v30, v130
	v_pk_fma_f32 v[22:23], v[92:93], v[32:33], v[22:23] op_sel_hi:[0,1,1]
	s_waitcnt vmcnt(3)
	v_pk_fma_f32 v[28:29], v[84:85], v[30:31], v[28:29] op_sel_hi:[0,1,1]
	v_mov_b32_e32 v33, v130
	v_mov_b32_e32 v30, v106
	v_pk_fma_f32 v[28:29], v[84:85], v[32:33], v[28:29] op_sel:[1,0,0]
	v_mov_b32_e32 v94, v87
	v_mov_b32_e32 v33, v106
	v_pk_fma_f32 v[28:29], v[86:87], v[30:31], v[28:29] op_sel_hi:[0,1,1]
	v_mov_b32_e32 v30, v102
	v_pk_fma_f32 v[28:29], v[94:95], v[32:33], v[28:29] op_sel_hi:[0,1,1]
	v_mov_b32_e32 v33, v102
	s_waitcnt vmcnt(2)
	v_pk_fma_f32 v[28:29], v[8:9], v[30:31], v[28:29] op_sel_hi:[0,1,1]
	v_mov_b32_e32 v30, v118
	v_pk_fma_f32 v[28:29], v[8:9], v[32:33], v[28:29] op_sel:[1,0,0]
	v_mov_b32_e32 v96, v11
	v_mov_b32_e32 v33, v118
	v_pk_fma_f32 v[28:29], v[10:11], v[30:31], v[28:29] op_sel_hi:[0,1,1]
	v_mov_b32_e32 v30, v131
	v_pk_fma_f32 v[28:29], v[96:97], v[32:33], v[28:29] op_sel_hi:[0,1,1]
	v_pk_fma_f32 v[26:27], v[84:85], v[30:31], v[26:27] op_sel_hi:[0,1,1]
	v_mov_b32_e32 v33, v131
	v_mov_b32_e32 v30, v107
	v_pk_fma_f32 v[26:27], v[84:85], v[32:33], v[26:27] op_sel:[1,0,0]
	v_mov_b32_e32 v33, v107
	v_pk_fma_f32 v[26:27], v[86:87], v[30:31], v[26:27] op_sel_hi:[0,1,1]
	v_mov_b32_e32 v30, v103
	v_pk_fma_f32 v[26:27], v[94:95], v[32:33], v[26:27] op_sel_hi:[0,1,1]
	v_mov_b32_e32 v33, v103
	v_pk_fma_f32 v[26:27], v[8:9], v[30:31], v[26:27] op_sel_hi:[0,1,1]
	v_mov_b32_e32 v30, v119
	v_pk_fma_f32 v[26:27], v[8:9], v[32:33], v[26:27] op_sel:[1,0,0]
	v_mov_b32_e32 v33, v119
	v_pk_fma_f32 v[26:27], v[10:11], v[30:31], v[26:27] op_sel_hi:[0,1,1]
	v_mov_b32_e32 v30, v132
	v_pk_fma_f32 v[26:27], v[96:97], v[32:33], v[26:27] op_sel_hi:[0,1,1]
	v_pk_fma_f32 v[24:25], v[84:85], v[30:31], v[24:25] op_sel_hi:[0,1,1]
	v_mov_b32_e32 v33, v132
	v_mov_b32_e32 v30, v108
	v_pk_fma_f32 v[24:25], v[84:85], v[32:33], v[24:25] op_sel:[1,0,0]
	v_mov_b32_e32 v33, v108
	v_pk_fma_f32 v[24:25], v[86:87], v[30:31], v[24:25] op_sel_hi:[0,1,1]
	v_mov_b32_e32 v30, v104
	v_pk_fma_f32 v[24:25], v[94:95], v[32:33], v[24:25] op_sel_hi:[0,1,1]
	v_mov_b32_e32 v33, v104
	v_pk_fma_f32 v[24:25], v[8:9], v[30:31], v[24:25] op_sel_hi:[0,1,1]
	v_mov_b32_e32 v30, v120
	v_pk_fma_f32 v[24:25], v[8:9], v[32:33], v[24:25] op_sel:[1,0,0]
	;; [unrolled: 16-line block ×3, first 2 shown]
	v_mov_b32_e32 v33, v121
	v_pk_fma_f32 v[8:9], v[10:11], v[30:31], v[8:9] op_sel_hi:[0,1,1]
	v_mov_b32_e32 v30, v122
	v_pk_fma_f32 v[8:9], v[96:97], v[32:33], v[8:9] op_sel_hi:[0,1,1]
	s_waitcnt vmcnt(1)
	v_pk_fma_f32 v[10:11], v[4:5], v[30:31], v[28:29] op_sel_hi:[0,1,1]
	v_mov_b32_e32 v33, v122
	v_mov_b32_e32 v30, v114
	v_pk_fma_f32 v[10:11], v[4:5], v[32:33], v[10:11] op_sel:[1,0,0]
	v_mov_b32_e32 v98, v7
	v_mov_b32_e32 v33, v114
	v_pk_fma_f32 v[10:11], v[6:7], v[30:31], v[10:11] op_sel_hi:[0,1,1]
	v_mov_b32_e32 v30, v110
	v_pk_fma_f32 v[10:11], v[98:99], v[32:33], v[10:11] op_sel_hi:[0,1,1]
	v_mov_b32_e32 v33, v110
	s_waitcnt vmcnt(0)
	v_pk_fma_f32 v[10:11], v[0:1], v[30:31], v[10:11] op_sel_hi:[0,1,1]
	v_mov_b32_e32 v30, v126
	v_pk_fma_f32 v[10:11], v[0:1], v[32:33], v[10:11] op_sel:[1,0,0]
	v_mov_b32_e32 v100, v3
	v_mov_b32_e32 v33, v126
	v_pk_fma_f32 v[10:11], v[2:3], v[30:31], v[10:11] op_sel_hi:[0,1,1]
	v_mov_b32_e32 v30, v123
	v_pk_fma_f32 v[28:29], v[100:101], v[32:33], v[10:11] op_sel_hi:[0,1,1]
	v_pk_fma_f32 v[10:11], v[4:5], v[30:31], v[26:27] op_sel_hi:[0,1,1]
	v_mov_b32_e32 v33, v123
	v_mov_b32_e32 v30, v115
	v_pk_fma_f32 v[10:11], v[4:5], v[32:33], v[10:11] op_sel:[1,0,0]
	v_mov_b32_e32 v33, v115
	v_pk_fma_f32 v[10:11], v[6:7], v[30:31], v[10:11] op_sel_hi:[0,1,1]
	v_mov_b32_e32 v30, v111
	v_pk_fma_f32 v[10:11], v[98:99], v[32:33], v[10:11] op_sel_hi:[0,1,1]
	v_mov_b32_e32 v33, v111
	v_pk_fma_f32 v[10:11], v[0:1], v[30:31], v[10:11] op_sel_hi:[0,1,1]
	v_mov_b32_e32 v30, v127
	v_pk_fma_f32 v[10:11], v[0:1], v[32:33], v[10:11] op_sel:[1,0,0]
	v_mov_b32_e32 v33, v127
	v_pk_fma_f32 v[10:11], v[2:3], v[30:31], v[10:11] op_sel_hi:[0,1,1]
	v_mov_b32_e32 v30, v124
	v_pk_fma_f32 v[26:27], v[100:101], v[32:33], v[10:11] op_sel_hi:[0,1,1]
	v_pk_fma_f32 v[10:11], v[4:5], v[30:31], v[24:25] op_sel_hi:[0,1,1]
	v_mov_b32_e32 v33, v124
	v_mov_b32_e32 v30, v116
	v_pk_fma_f32 v[10:11], v[4:5], v[32:33], v[10:11] op_sel:[1,0,0]
	v_mov_b32_e32 v33, v116
	v_pk_fma_f32 v[10:11], v[6:7], v[30:31], v[10:11] op_sel_hi:[0,1,1]
	v_mov_b32_e32 v30, v112
	v_pk_fma_f32 v[10:11], v[98:99], v[32:33], v[10:11] op_sel_hi:[0,1,1]
	v_mov_b32_e32 v33, v112
	v_pk_fma_f32 v[10:11], v[0:1], v[30:31], v[10:11] op_sel_hi:[0,1,1]
	v_mov_b32_e32 v30, v128
	v_pk_fma_f32 v[10:11], v[0:1], v[32:33], v[10:11] op_sel:[1,0,0]
	;; [unrolled: 16-line block ×3, first 2 shown]
	v_mov_b32_e32 v33, v129
	v_pk_fma_f32 v[0:1], v[2:3], v[30:31], v[0:1] op_sel_hi:[0,1,1]
	v_pk_fma_f32 v[22:23], v[100:101], v[32:33], v[0:1] op_sel_hi:[0,1,1]
	s_andn2_b64 exec, exec, s[10:11]
	s_cbranch_execnz .LBB123_29
; %bb.30:
	s_or_b64 exec, exec, s[10:11]
.LBB123_31:
	s_or_b64 exec, exec, s[4:5]
.LBB123_32:
	s_or_b64 exec, exec, s[8:9]
.LBB123_33:
	v_mov_b32_dpp v6, v27 row_shr:1 row_mask:0xf bank_mask:0xf
	v_add_f32_e32 v6, v27, v6
	v_mov_b32_dpp v0, v28 row_shr:1 row_mask:0xf bank_mask:0xf
	v_mov_b32_dpp v2, v29 row_shr:1 row_mask:0xf bank_mask:0xf
	v_mov_b32_dpp v7, v6 row_shr:2 row_mask:0xf bank_mask:0xf
	v_add_f32_e32 v6, v6, v7
	v_mov_b32_dpp v4, v26 row_shr:1 row_mask:0xf bank_mask:0xf
	v_add_f32_e32 v0, v28, v0
	v_mov_b32_dpp v7, v6 row_shr:4 row_mask:0xf bank_mask:0xe
	v_add_f32_e32 v6, v6, v7
	v_add_f32_e32 v2, v29, v2
	v_add_f32_e32 v4, v26, v4
	v_mov_b32_dpp v7, v6 row_shr:8 row_mask:0xf bank_mask:0xc
	v_add_f32_e32 v7, v6, v7
	v_mov_b32_dpp v6, v24 row_shr:1 row_mask:0xf bank_mask:0xf
	v_add_f32_e32 v6, v24, v6
	v_mov_b32_dpp v1, v0 row_shr:2 row_mask:0xf bank_mask:0xf
	v_mov_b32_dpp v3, v2 row_shr:2 row_mask:0xf bank_mask:0xf
	v_mov_b32_dpp v9, v6 row_shr:2 row_mask:0xf bank_mask:0xf
	v_add_f32_e32 v6, v6, v9
	v_mov_b32_dpp v5, v4 row_shr:2 row_mask:0xf bank_mask:0xf
	v_add_f32_e32 v0, v0, v1
	v_mov_b32_dpp v9, v6 row_shr:4 row_mask:0xf bank_mask:0xe
	v_add_f32_e32 v6, v6, v9
	v_add_f32_e32 v2, v2, v3
	v_add_f32_e32 v4, v4, v5
	v_mov_b32_dpp v9, v6 row_shr:8 row_mask:0xf bank_mask:0xc
	v_add_f32_e32 v9, v6, v9
	;; [unrolled: 14-line block ×4, first 2 shown]
	v_mov_b32_dpp v6, v23 row_shr:1 row_mask:0xf bank_mask:0xf
	v_add_f32_e32 v6, v23, v6
	v_mov_b32_dpp v1, v0 row_bcast:15 row_mask:0xa bank_mask:0xf
	v_mov_b32_dpp v3, v2 row_bcast:15 row_mask:0xa bank_mask:0xf
	v_mov_b32_dpp v18, v6 row_shr:2 row_mask:0xf bank_mask:0xf
	v_add_f32_e32 v6, v6, v18
	v_mov_b32_dpp v5, v4 row_bcast:15 row_mask:0xa bank_mask:0xf
	v_mov_b32_dpp v8, v7 row_bcast:15 row_mask:0xa bank_mask:0xf
	;; [unrolled: 4-line block ×3, first 2 shown]
	v_mov_b32_dpp v18, v6 row_shr:8 row_mask:0xf bank_mask:0xc
	v_add_f32_e32 v23, v6, v18
	v_mov_b32_dpp v22, v21 row_bcast:15 row_mask:0xa bank_mask:0xf
	v_cmp_eq_u32_e32 vcc, 31, v17
	v_mov_b32_dpp v24, v23 row_bcast:15 row_mask:0xa bank_mask:0xf
	s_and_b64 exec, exec, vcc
	s_cbranch_execz .LBB123_6
; %bb.34:
	s_load_dwordx2 s[0:1], s[0:1], 0x50
	v_cmp_eq_f32_e32 vcc, 0, v14
	s_xor_b64 s[2:3], s[6:7], -1
	v_add_f32_e32 v6, v0, v1
	v_add_f32_e32 v20, v2, v3
	;; [unrolled: 1-line block ×8, first 2 shown]
	s_and_b64 s[2:3], vcc, s[2:3]
	v_lshlrev_b32_e32 v16, 2, v16
	s_and_saveexec_b64 s[4:5], s[2:3]
	s_xor_b64 s[2:3], exec, s[4:5]
	s_cbranch_execz .LBB123_36
; %bb.35:
	v_xor_b32_e32 v22, 0x80000000, v13
	v_mov_b32_e32 v23, v12
	v_pk_mul_f32 v[14:15], v[20:21], v[22:23] op_sel_hi:[0,1]
	v_ashrrev_i32_e32 v17, 31, v16
	v_pk_fma_f32 v[14:15], v[12:13], v[6:7], v[14:15] op_sel_hi:[1,0,1]
	v_pk_mul_f32 v[6:7], v[18:19], v[22:23] op_sel_hi:[0,1]
	s_waitcnt lgkmcnt(0)
	v_lshl_add_u64 v[24:25], v[16:17], 3, s[0:1]
	v_pk_fma_f32 v[16:17], v[12:13], v[4:5], v[6:7] op_sel_hi:[1,0,1]
	v_pk_mul_f32 v[4:5], v[10:11], v[22:23] op_sel_hi:[0,1]
	v_pk_fma_f32 v[2:3], v[12:13], v[2:3], v[4:5] op_sel_hi:[1,0,1]
	v_pk_mul_f32 v[4:5], v[8:9], v[22:23] op_sel_hi:[0,1]
	v_pk_fma_f32 v[4:5], v[12:13], v[0:1], v[4:5] op_sel_hi:[1,0,1]
	global_store_dwordx4 v[24:25], v[14:17], off
	global_store_dwordx4 v[24:25], v[2:5], off offset:16
                                        ; implicit-def: $vgpr6
                                        ; implicit-def: $vgpr20
                                        ; implicit-def: $vgpr4
                                        ; implicit-def: $vgpr18
                                        ; implicit-def: $vgpr2
                                        ; implicit-def: $vgpr10
                                        ; implicit-def: $vgpr0
                                        ; implicit-def: $vgpr8
                                        ; implicit-def: $vgpr12_vgpr13
                                        ; implicit-def: $vgpr14_vgpr15
                                        ; implicit-def: $vgpr16
.LBB123_36:
	s_andn2_saveexec_b64 s[2:3], s[2:3]
	s_cbranch_execz .LBB123_6
; %bb.37:
	v_ashrrev_i32_e32 v17, 31, v16
	s_waitcnt lgkmcnt(0)
	v_lshl_add_u64 v[16:17], v[16:17], 3, s[0:1]
	global_load_dwordx4 v[22:25], v[16:17], off
	global_load_dwordx4 v[26:29], v[16:17], off offset:16
	v_xor_b32_e32 v30, 0x80000000, v13
	v_mov_b32_e32 v31, v12
	v_pk_mul_f32 v[20:21], v[20:21], v[30:31] op_sel_hi:[0,1]
	v_pk_mul_f32 v[18:19], v[18:19], v[30:31] op_sel_hi:[0,1]
	;; [unrolled: 1-line block ×4, first 2 shown]
	v_pk_fma_f32 v[6:7], v[12:13], v[6:7], v[20:21] op_sel_hi:[1,0,1]
	v_pk_fma_f32 v[4:5], v[12:13], v[4:5], v[18:19] op_sel_hi:[1,0,1]
	v_xor_b32_e32 v32, 0x80000000, v15
	v_mov_b32_e32 v33, v14
	v_pk_fma_f32 v[2:3], v[12:13], v[2:3], v[10:11] op_sel_hi:[1,0,1]
	v_pk_fma_f32 v[0:1], v[12:13], v[0:1], v[8:9] op_sel_hi:[1,0,1]
	s_waitcnt vmcnt(1)
	v_pk_fma_f32 v[6:7], v[14:15], v[22:23], v[6:7] op_sel_hi:[1,0,1]
	v_pk_fma_f32 v[4:5], v[14:15], v[24:25], v[4:5] op_sel_hi:[1,0,1]
	v_mov_b32_e32 v8, v25
	s_waitcnt vmcnt(0)
	v_pk_fma_f32 v[10:11], v[14:15], v[26:27], v[2:3] op_sel_hi:[1,0,1]
	v_pk_fma_f32 v[12:13], v[14:15], v[28:29], v[0:1] op_sel_hi:[1,0,1]
	v_mov_b32_e32 v14, v29
	v_pk_fma_f32 v[0:1], v[32:33], v[22:23], v[6:7] op_sel:[0,1,0]
	v_pk_fma_f32 v[2:3], v[32:33], v[8:9], v[4:5] op_sel_hi:[1,0,1]
	v_pk_fma_f32 v[4:5], v[32:33], v[26:27], v[10:11] op_sel:[0,1,0]
	v_pk_fma_f32 v[6:7], v[32:33], v[14:15], v[12:13] op_sel_hi:[1,0,1]
	global_store_dwordx4 v[16:17], v[0:3], off
	global_store_dwordx4 v[16:17], v[4:7], off offset:16
	s_endpgm
	.section	.rodata,"a",@progbits
	.p2align	6, 0x0
	.amdhsa_kernel _ZN9rocsparseL18bsrxmvn_4x4_kernelILj128ELj32E21rocsparse_complex_numIfEiifS2_S2_EEvT3_20rocsparse_direction_NS_24const_host_device_scalarIT1_EES3_PKS3_PKT2_SC_S9_PKT4_PKT5_S7_PT6_21rocsparse_index_base_b
		.amdhsa_group_segment_fixed_size 0
		.amdhsa_private_segment_fixed_size 0
		.amdhsa_kernarg_size 96
		.amdhsa_user_sgpr_count 2
		.amdhsa_user_sgpr_dispatch_ptr 0
		.amdhsa_user_sgpr_queue_ptr 0
		.amdhsa_user_sgpr_kernarg_segment_ptr 1
		.amdhsa_user_sgpr_dispatch_id 0
		.amdhsa_user_sgpr_kernarg_preload_length 0
		.amdhsa_user_sgpr_kernarg_preload_offset 0
		.amdhsa_user_sgpr_private_segment_size 0
		.amdhsa_uses_dynamic_stack 0
		.amdhsa_enable_private_segment 0
		.amdhsa_system_sgpr_workgroup_id_x 1
		.amdhsa_system_sgpr_workgroup_id_y 0
		.amdhsa_system_sgpr_workgroup_id_z 0
		.amdhsa_system_sgpr_workgroup_info 0
		.amdhsa_system_vgpr_workitem_id 0
		.amdhsa_next_free_vgpr 134
		.amdhsa_next_free_sgpr 22
		.amdhsa_accum_offset 136
		.amdhsa_reserve_vcc 1
		.amdhsa_float_round_mode_32 0
		.amdhsa_float_round_mode_16_64 0
		.amdhsa_float_denorm_mode_32 3
		.amdhsa_float_denorm_mode_16_64 3
		.amdhsa_dx10_clamp 1
		.amdhsa_ieee_mode 1
		.amdhsa_fp16_overflow 0
		.amdhsa_tg_split 0
		.amdhsa_exception_fp_ieee_invalid_op 0
		.amdhsa_exception_fp_denorm_src 0
		.amdhsa_exception_fp_ieee_div_zero 0
		.amdhsa_exception_fp_ieee_overflow 0
		.amdhsa_exception_fp_ieee_underflow 0
		.amdhsa_exception_fp_ieee_inexact 0
		.amdhsa_exception_int_div_zero 0
	.end_amdhsa_kernel
	.section	.text._ZN9rocsparseL18bsrxmvn_4x4_kernelILj128ELj32E21rocsparse_complex_numIfEiifS2_S2_EEvT3_20rocsparse_direction_NS_24const_host_device_scalarIT1_EES3_PKS3_PKT2_SC_S9_PKT4_PKT5_S7_PT6_21rocsparse_index_base_b,"axG",@progbits,_ZN9rocsparseL18bsrxmvn_4x4_kernelILj128ELj32E21rocsparse_complex_numIfEiifS2_S2_EEvT3_20rocsparse_direction_NS_24const_host_device_scalarIT1_EES3_PKS3_PKT2_SC_S9_PKT4_PKT5_S7_PT6_21rocsparse_index_base_b,comdat
.Lfunc_end123:
	.size	_ZN9rocsparseL18bsrxmvn_4x4_kernelILj128ELj32E21rocsparse_complex_numIfEiifS2_S2_EEvT3_20rocsparse_direction_NS_24const_host_device_scalarIT1_EES3_PKS3_PKT2_SC_S9_PKT4_PKT5_S7_PT6_21rocsparse_index_base_b, .Lfunc_end123-_ZN9rocsparseL18bsrxmvn_4x4_kernelILj128ELj32E21rocsparse_complex_numIfEiifS2_S2_EEvT3_20rocsparse_direction_NS_24const_host_device_scalarIT1_EES3_PKS3_PKT2_SC_S9_PKT4_PKT5_S7_PT6_21rocsparse_index_base_b
                                        ; -- End function
	.set _ZN9rocsparseL18bsrxmvn_4x4_kernelILj128ELj32E21rocsparse_complex_numIfEiifS2_S2_EEvT3_20rocsparse_direction_NS_24const_host_device_scalarIT1_EES3_PKS3_PKT2_SC_S9_PKT4_PKT5_S7_PT6_21rocsparse_index_base_b.num_vgpr, 134
	.set _ZN9rocsparseL18bsrxmvn_4x4_kernelILj128ELj32E21rocsparse_complex_numIfEiifS2_S2_EEvT3_20rocsparse_direction_NS_24const_host_device_scalarIT1_EES3_PKS3_PKT2_SC_S9_PKT4_PKT5_S7_PT6_21rocsparse_index_base_b.num_agpr, 0
	.set _ZN9rocsparseL18bsrxmvn_4x4_kernelILj128ELj32E21rocsparse_complex_numIfEiifS2_S2_EEvT3_20rocsparse_direction_NS_24const_host_device_scalarIT1_EES3_PKS3_PKT2_SC_S9_PKT4_PKT5_S7_PT6_21rocsparse_index_base_b.numbered_sgpr, 22
	.set _ZN9rocsparseL18bsrxmvn_4x4_kernelILj128ELj32E21rocsparse_complex_numIfEiifS2_S2_EEvT3_20rocsparse_direction_NS_24const_host_device_scalarIT1_EES3_PKS3_PKT2_SC_S9_PKT4_PKT5_S7_PT6_21rocsparse_index_base_b.num_named_barrier, 0
	.set _ZN9rocsparseL18bsrxmvn_4x4_kernelILj128ELj32E21rocsparse_complex_numIfEiifS2_S2_EEvT3_20rocsparse_direction_NS_24const_host_device_scalarIT1_EES3_PKS3_PKT2_SC_S9_PKT4_PKT5_S7_PT6_21rocsparse_index_base_b.private_seg_size, 0
	.set _ZN9rocsparseL18bsrxmvn_4x4_kernelILj128ELj32E21rocsparse_complex_numIfEiifS2_S2_EEvT3_20rocsparse_direction_NS_24const_host_device_scalarIT1_EES3_PKS3_PKT2_SC_S9_PKT4_PKT5_S7_PT6_21rocsparse_index_base_b.uses_vcc, 1
	.set _ZN9rocsparseL18bsrxmvn_4x4_kernelILj128ELj32E21rocsparse_complex_numIfEiifS2_S2_EEvT3_20rocsparse_direction_NS_24const_host_device_scalarIT1_EES3_PKS3_PKT2_SC_S9_PKT4_PKT5_S7_PT6_21rocsparse_index_base_b.uses_flat_scratch, 0
	.set _ZN9rocsparseL18bsrxmvn_4x4_kernelILj128ELj32E21rocsparse_complex_numIfEiifS2_S2_EEvT3_20rocsparse_direction_NS_24const_host_device_scalarIT1_EES3_PKS3_PKT2_SC_S9_PKT4_PKT5_S7_PT6_21rocsparse_index_base_b.has_dyn_sized_stack, 0
	.set _ZN9rocsparseL18bsrxmvn_4x4_kernelILj128ELj32E21rocsparse_complex_numIfEiifS2_S2_EEvT3_20rocsparse_direction_NS_24const_host_device_scalarIT1_EES3_PKS3_PKT2_SC_S9_PKT4_PKT5_S7_PT6_21rocsparse_index_base_b.has_recursion, 0
	.set _ZN9rocsparseL18bsrxmvn_4x4_kernelILj128ELj32E21rocsparse_complex_numIfEiifS2_S2_EEvT3_20rocsparse_direction_NS_24const_host_device_scalarIT1_EES3_PKS3_PKT2_SC_S9_PKT4_PKT5_S7_PT6_21rocsparse_index_base_b.has_indirect_call, 0
	.section	.AMDGPU.csdata,"",@progbits
; Kernel info:
; codeLenInByte = 6880
; TotalNumSgprs: 28
; NumVgprs: 134
; NumAgprs: 0
; TotalNumVgprs: 134
; ScratchSize: 0
; MemoryBound: 0
; FloatMode: 240
; IeeeMode: 1
; LDSByteSize: 0 bytes/workgroup (compile time only)
; SGPRBlocks: 3
; VGPRBlocks: 16
; NumSGPRsForWavesPerEU: 28
; NumVGPRsForWavesPerEU: 134
; AccumOffset: 136
; Occupancy: 3
; WaveLimiterHint : 1
; COMPUTE_PGM_RSRC2:SCRATCH_EN: 0
; COMPUTE_PGM_RSRC2:USER_SGPR: 2
; COMPUTE_PGM_RSRC2:TRAP_HANDLER: 0
; COMPUTE_PGM_RSRC2:TGID_X_EN: 1
; COMPUTE_PGM_RSRC2:TGID_Y_EN: 0
; COMPUTE_PGM_RSRC2:TGID_Z_EN: 0
; COMPUTE_PGM_RSRC2:TIDIG_COMP_CNT: 0
; COMPUTE_PGM_RSRC3_GFX90A:ACCUM_OFFSET: 33
; COMPUTE_PGM_RSRC3_GFX90A:TG_SPLIT: 0
	.section	.text._ZN9rocsparseL18bsrxmvn_4x4_kernelILj128ELj64E21rocsparse_complex_numIfEiifS2_S2_EEvT3_20rocsparse_direction_NS_24const_host_device_scalarIT1_EES3_PKS3_PKT2_SC_S9_PKT4_PKT5_S7_PT6_21rocsparse_index_base_b,"axG",@progbits,_ZN9rocsparseL18bsrxmvn_4x4_kernelILj128ELj64E21rocsparse_complex_numIfEiifS2_S2_EEvT3_20rocsparse_direction_NS_24const_host_device_scalarIT1_EES3_PKS3_PKT2_SC_S9_PKT4_PKT5_S7_PT6_21rocsparse_index_base_b,comdat
	.globl	_ZN9rocsparseL18bsrxmvn_4x4_kernelILj128ELj64E21rocsparse_complex_numIfEiifS2_S2_EEvT3_20rocsparse_direction_NS_24const_host_device_scalarIT1_EES3_PKS3_PKT2_SC_S9_PKT4_PKT5_S7_PT6_21rocsparse_index_base_b ; -- Begin function _ZN9rocsparseL18bsrxmvn_4x4_kernelILj128ELj64E21rocsparse_complex_numIfEiifS2_S2_EEvT3_20rocsparse_direction_NS_24const_host_device_scalarIT1_EES3_PKS3_PKT2_SC_S9_PKT4_PKT5_S7_PT6_21rocsparse_index_base_b
	.p2align	8
	.type	_ZN9rocsparseL18bsrxmvn_4x4_kernelILj128ELj64E21rocsparse_complex_numIfEiifS2_S2_EEvT3_20rocsparse_direction_NS_24const_host_device_scalarIT1_EES3_PKS3_PKT2_SC_S9_PKT4_PKT5_S7_PT6_21rocsparse_index_base_b,@function
_ZN9rocsparseL18bsrxmvn_4x4_kernelILj128ELj64E21rocsparse_complex_numIfEiifS2_S2_EEvT3_20rocsparse_direction_NS_24const_host_device_scalarIT1_EES3_PKS3_PKT2_SC_S9_PKT4_PKT5_S7_PT6_21rocsparse_index_base_b: ; @_ZN9rocsparseL18bsrxmvn_4x4_kernelILj128ELj64E21rocsparse_complex_numIfEiifS2_S2_EEvT3_20rocsparse_direction_NS_24const_host_device_scalarIT1_EES3_PKS3_PKT2_SC_S9_PKT4_PKT5_S7_PT6_21rocsparse_index_base_b
; %bb.0:
	s_load_dwordx2 s[4:5], s[0:1], 0x8
	s_load_dwordx2 s[16:17], s[0:1], 0x58
	s_add_u32 s3, s0, 8
	s_addc_u32 s8, s1, 0
	s_load_dwordx2 s[6:7], s[0:1], 0x48
	s_add_u32 s9, s0, 0x48
	s_addc_u32 s10, s1, 0
	s_waitcnt lgkmcnt(0)
	s_bitcmp1_b32 s17, 0
	s_cselect_b32 s3, s3, s4
	s_cselect_b32 s5, s8, s5
	v_mov_b32_e32 v2, s3
	s_cselect_b32 s3, s10, s7
	s_cselect_b32 s4, s9, s6
	v_mov_b32_e32 v3, s5
	v_mov_b32_e32 v4, s4
	v_mov_b32_e32 v5, s3
	flat_load_dwordx2 v[12:13], v[2:3]
	flat_load_dwordx2 v[14:15], v[4:5]
	s_waitcnt vmcnt(0) lgkmcnt(0)
	v_cmp_neq_f32_e32 vcc, 0, v12
	v_cmp_neq_f32_e64 s[4:5], 0, v13
	v_cmp_neq_f32_e64 s[8:9], 1.0, v14
	v_cmp_neq_f32_e64 s[6:7], 0, v15
	s_or_b64 s[4:5], vcc, s[4:5]
	s_or_b64 s[8:9], s[8:9], s[6:7]
	s_or_b64 s[4:5], s[4:5], s[8:9]
	s_and_saveexec_b64 s[8:9], s[4:5]
	s_cbranch_execz .LBB124_6
; %bb.1:
	s_load_dwordx2 s[8:9], s[0:1], 0x18
	s_load_dwordx2 s[4:5], s[0:1], 0x0
	v_lshrrev_b32_e32 v1, 6, v0
	v_lshl_or_b32 v16, s2, 1, v1
	s_mov_b64 s[2:3], 0
	s_waitcnt lgkmcnt(0)
	s_cmp_lg_u64 s[8:9], 0
	s_cbranch_scc0 .LBB124_7
; %bb.2:
	s_load_dword s10, s[0:1], 0x10
                                        ; implicit-def: $vgpr1
	s_waitcnt lgkmcnt(0)
	v_cmp_gt_i32_e32 vcc, s10, v16
	s_and_saveexec_b64 s[10:11], vcc
	s_xor_b64 s[10:11], exec, s[10:11]
	s_cbranch_execz .LBB124_4
; %bb.3:
	v_ashrrev_i32_e32 v17, 31, v16
	v_lshl_add_u64 v[2:3], v[16:17], 2, s[8:9]
	global_load_dword v1, v[2:3], off
	s_mov_b64 s[2:3], exec
	s_waitcnt vmcnt(0)
	v_subrev_u32_e32 v1, s16, v1
.LBB124_4:
	s_or_b64 exec, exec, s[10:11]
	s_branch .LBB124_8
.LBB124_5:
	v_cmp_gt_i32_e32 vcc, s4, v16
	s_andn2_b64 s[2:3], s[2:3], exec
	s_and_b64 s[8:9], vcc, exec
	s_or_b64 s[2:3], s[2:3], s[8:9]
	s_and_b64 exec, exec, s[2:3]
	s_cbranch_execnz .LBB124_9
.LBB124_6:
	s_endpgm
.LBB124_7:
                                        ; implicit-def: $vgpr1
	s_cbranch_execnz .LBB124_5
.LBB124_8:
	v_mov_b32_e32 v16, v1
	s_and_b64 exec, exec, s[2:3]
	s_cbranch_execz .LBB124_6
.LBB124_9:
	s_load_dwordx8 s[8:15], s[0:1], 0x20
	v_ashrrev_i32_e32 v17, 31, v16
	v_lshlrev_b64 v[2:3], 2, v[16:17]
	s_load_dwordx2 s[2:3], s[0:1], 0x40
	v_and_b32_e32 v17, 63, v0
	s_waitcnt lgkmcnt(0)
	v_lshl_add_u64 v[4:5], s[8:9], 0, v[2:3]
	s_cmp_eq_u64 s[10:11], 0
	global_load_dword v10, v[4:5], off
	v_lshl_add_u64 v[4:5], v[4:5], 0, 4
	v_lshl_add_u64 v[2:3], s[10:11], 0, v[2:3]
	s_cselect_b64 vcc, -1, 0
	v_cndmask_b32_e32 v3, v3, v5, vcc
	v_cndmask_b32_e32 v2, v2, v4, vcc
	global_load_dword v1, v[2:3], off
	s_cmp_eq_u32 s5, 1
	s_waitcnt vmcnt(1)
	v_subrev_u32_e32 v0, s16, v10
	v_add_u32_e32 v18, v0, v17
	v_ashrrev_i32_e32 v19, 31, v18
	s_waitcnt vmcnt(0)
	v_subrev_u32_e32 v34, s16, v1
	v_lshlrev_b64 v[0:1], 6, v[18:19]
	v_lshl_add_u64 v[20:21], s[14:15], 0, v[0:1]
	v_cmp_lt_i32_e64 s[4:5], v18, v34
	s_cbranch_scc1 .LBB124_21
; %bb.10:
	v_mov_b32_e32 v29, 0
	v_mov_b32_e32 v28, 0
	;; [unrolled: 1-line block ×8, first 2 shown]
	s_and_saveexec_b64 s[8:9], s[4:5]
	s_cbranch_execz .LBB124_20
; %bb.11:
	v_add_u32_e32 v0, v10, v17
	v_subrev_u32_e32 v0, s16, v0
	v_add_u32_e32 v0, 64, v0
	v_max_i32_e32 v0, v0, v34
	v_not_b32_e32 v1, v10
	v_add3_u32 v0, s16, v0, v1
	v_sub_u32_e32 v8, v0, v17
	v_mov_b32_e32 v5, 0
	s_movk_i32 s10, 0xc0
	v_and_b32_e32 v0, 0xc0, v8
	v_mov_b32_e32 v4, v5
	v_cmp_ne_u32_e32 vcc, s10, v0
	v_mov_b64_e32 v[28:29], v[4:5]
	v_mov_b64_e32 v[26:27], v[4:5]
	;; [unrolled: 1-line block ×5, first 2 shown]
	v_mov_b32_e32 v0, v18
	s_and_saveexec_b64 s[10:11], vcc
	s_cbranch_execz .LBB124_15
; %bb.12:
	v_lshrrev_b32_e32 v0, 6, v8
	v_add_u32_e32 v0, 1, v0
	v_and_b32_e32 v0, 3, v0
	v_sub_u32_e32 v9, 0, v0
	s_mov_b64 s[14:15], 0
	s_mov_b64 s[18:19], 0x1000
	v_bfrev_b32_e32 v6, 1
	v_mov_b32_e32 v0, v18
	v_mov_b64_e32 v[2:3], v[20:21]
	v_mov_b32_e32 v22, v5
	v_mov_b32_e32 v23, v5
	;; [unrolled: 1-line block ×8, first 2 shown]
.LBB124_13:                             ; =>This Inner Loop Header: Depth=1
	v_ashrrev_i32_e32 v1, 31, v0
	v_lshl_add_u64 v[30:31], v[0:1], 2, s[12:13]
	global_load_dword v1, v[30:31], off
	global_load_dwordx4 v[44:47], v[2:3], off offset:16
	global_load_dwordx4 v[48:51], v[2:3], off
	v_add_co_u32_e32 v9, vcc, 1, v9
	v_add_u32_e32 v0, 64, v0
	s_or_b64 s[14:15], vcc, s[14:15]
	s_waitcnt vmcnt(2)
	v_subrev_u32_e32 v1, s16, v1
	v_lshlrev_b32_e32 v30, 2, v1
	v_ashrrev_i32_e32 v31, 31, v30
	v_lshl_add_u64 v[40:41], v[30:31], 3, s[2:3]
	global_load_dwordx4 v[30:33], v[40:41], off
	global_load_dwordx4 v[36:39], v[40:41], off offset:16
	global_load_dwordx4 v[52:55], v[2:3], off offset:32
	;; [unrolled: 1-line block ×3, first 2 shown]
	s_waitcnt vmcnt(4)
	v_mov_b32_e32 v4, v48
	v_mov_b32_e32 v7, v48
	v_lshl_add_u64 v[2:3], v[2:3], 0, s[18:19]
	s_waitcnt vmcnt(3)
	v_pk_fma_f32 v[28:29], v[30:31], v[4:5], v[28:29] op_sel_hi:[0,1,1]
	v_mov_b32_e32 v4, v49
	v_pk_fma_f32 v[28:29], v[30:31], v[6:7], v[28:29] op_sel:[1,0,0]
	v_mov_b32_e32 v40, v33
	v_mov_b32_e32 v7, v49
	v_pk_fma_f32 v[28:29], v[32:33], v[4:5], v[28:29] op_sel_hi:[0,1,1]
	v_mov_b32_e32 v4, v50
	v_pk_fma_f32 v[28:29], v[40:41], v[6:7], v[28:29] op_sel_hi:[0,1,1]
	v_mov_b32_e32 v7, v50
	s_waitcnt vmcnt(2)
	v_pk_fma_f32 v[28:29], v[36:37], v[4:5], v[28:29] op_sel_hi:[0,1,1]
	v_mov_b32_e32 v4, v51
	v_pk_fma_f32 v[28:29], v[36:37], v[6:7], v[28:29] op_sel:[1,0,0]
	v_mov_b32_e32 v42, v39
	v_mov_b32_e32 v7, v51
	v_pk_fma_f32 v[28:29], v[38:39], v[4:5], v[28:29] op_sel_hi:[0,1,1]
	v_mov_b32_e32 v4, v44
	v_pk_fma_f32 v[28:29], v[42:43], v[6:7], v[28:29] op_sel_hi:[0,1,1]
	v_pk_fma_f32 v[26:27], v[30:31], v[4:5], v[26:27] op_sel_hi:[0,1,1]
	v_mov_b32_e32 v7, v44
	v_mov_b32_e32 v4, v45
	v_pk_fma_f32 v[26:27], v[30:31], v[6:7], v[26:27] op_sel:[1,0,0]
	v_mov_b32_e32 v7, v45
	v_pk_fma_f32 v[26:27], v[32:33], v[4:5], v[26:27] op_sel_hi:[0,1,1]
	v_mov_b32_e32 v4, v46
	v_pk_fma_f32 v[26:27], v[40:41], v[6:7], v[26:27] op_sel_hi:[0,1,1]
	;; [unrolled: 2-line block ×3, first 2 shown]
	v_mov_b32_e32 v4, v47
	v_pk_fma_f32 v[26:27], v[36:37], v[6:7], v[26:27] op_sel:[1,0,0]
	v_mov_b32_e32 v7, v47
	v_pk_fma_f32 v[26:27], v[38:39], v[4:5], v[26:27] op_sel_hi:[0,1,1]
	s_waitcnt vmcnt(1)
	v_mov_b32_e32 v4, v52
	v_pk_fma_f32 v[26:27], v[42:43], v[6:7], v[26:27] op_sel_hi:[0,1,1]
	v_pk_fma_f32 v[24:25], v[30:31], v[4:5], v[24:25] op_sel_hi:[0,1,1]
	v_mov_b32_e32 v7, v52
	v_mov_b32_e32 v4, v53
	v_pk_fma_f32 v[24:25], v[30:31], v[6:7], v[24:25] op_sel:[1,0,0]
	v_mov_b32_e32 v7, v53
	v_pk_fma_f32 v[24:25], v[32:33], v[4:5], v[24:25] op_sel_hi:[0,1,1]
	v_mov_b32_e32 v4, v54
	v_pk_fma_f32 v[24:25], v[40:41], v[6:7], v[24:25] op_sel_hi:[0,1,1]
	;; [unrolled: 2-line block ×3, first 2 shown]
	v_mov_b32_e32 v4, v55
	v_pk_fma_f32 v[24:25], v[36:37], v[6:7], v[24:25] op_sel:[1,0,0]
	v_mov_b32_e32 v7, v55
	v_pk_fma_f32 v[24:25], v[38:39], v[4:5], v[24:25] op_sel_hi:[0,1,1]
	s_waitcnt vmcnt(0)
	v_mov_b32_e32 v4, v56
	v_pk_fma_f32 v[24:25], v[42:43], v[6:7], v[24:25] op_sel_hi:[0,1,1]
	v_pk_fma_f32 v[22:23], v[30:31], v[4:5], v[22:23] op_sel_hi:[0,1,1]
	v_mov_b32_e32 v7, v56
	v_mov_b32_e32 v4, v57
	v_pk_fma_f32 v[22:23], v[30:31], v[6:7], v[22:23] op_sel:[1,0,0]
	v_mov_b32_e32 v7, v57
	v_pk_fma_f32 v[22:23], v[32:33], v[4:5], v[22:23] op_sel_hi:[0,1,1]
	v_mov_b32_e32 v4, v58
	v_pk_fma_f32 v[22:23], v[40:41], v[6:7], v[22:23] op_sel_hi:[0,1,1]
	;; [unrolled: 2-line block ×3, first 2 shown]
	v_mov_b32_e32 v4, v59
	v_pk_fma_f32 v[22:23], v[36:37], v[6:7], v[22:23] op_sel:[1,0,0]
	v_mov_b32_e32 v7, v59
	v_pk_fma_f32 v[22:23], v[38:39], v[4:5], v[22:23] op_sel_hi:[0,1,1]
	v_pk_fma_f32 v[22:23], v[42:43], v[6:7], v[22:23] op_sel_hi:[0,1,1]
	s_andn2_b64 exec, exec, s[14:15]
	s_cbranch_execnz .LBB124_13
; %bb.14:
	s_or_b64 exec, exec, s[14:15]
.LBB124_15:
	s_or_b64 exec, exec, s[10:11]
	s_movk_i32 s10, 0xbf
	v_cmp_lt_u32_e32 vcc, s10, v8
	s_and_saveexec_b64 s[10:11], vcc
	s_cbranch_execz .LBB124_19
; %bb.16:
	s_mov_b64 s[14:15], 0
	v_mov_b32_e32 v5, 0
	s_mov_b64 s[18:19], 0x1000
	s_mov_b64 s[20:21], 0x2000
	s_movk_i32 s17, 0x2000
	s_mov_b64 s[22:23], 0x3000
	s_movk_i32 s26, 0x3000
	s_mov_b64 s[24:25], 0x4000
	v_bfrev_b32_e32 v6, 1
.LBB124_17:                             ; =>This Inner Loop Header: Depth=1
	v_ashrrev_i32_e32 v1, 31, v0
	v_lshl_add_u64 v[8:9], v[0:1], 2, s[12:13]
	global_load_dword v1, v[8:9], off
	v_add_u32_e32 v0, 0x100, v0
	s_waitcnt vmcnt(0)
	v_subrev_u32_e32 v1, s16, v1
	v_lshlrev_b32_e32 v30, 2, v1
	v_ashrrev_i32_e32 v31, 31, v30
	v_lshl_add_u64 v[40:41], v[30:31], 3, s[2:3]
	global_load_dwordx4 v[30:33], v[40:41], off offset:16
	global_load_dwordx4 v[36:39], v[40:41], off
	global_load_dwordx4 v[50:53], v[2:3], off offset:48
	global_load_dwordx4 v[54:57], v[2:3], off offset:32
	;; [unrolled: 1-line block ×3, first 2 shown]
	global_load_dwordx4 v[42:45], v[2:3], off
	global_load_dword v1, v[8:9], off offset:256
	s_waitcnt vmcnt(5)
	v_mov_b32_e32 v40, v39
	s_waitcnt vmcnt(1)
	v_mov_b32_e32 v4, v42
	v_pk_fma_f32 v[28:29], v[36:37], v[4:5], v[28:29] op_sel_hi:[0,1,1]
	v_mov_b32_e32 v7, v42
	v_pk_fma_f32 v[28:29], v[36:37], v[6:7], v[28:29] op_sel:[1,0,0]
	v_mov_b32_e32 v4, v43
	v_pk_fma_f32 v[28:29], v[38:39], v[4:5], v[28:29] op_sel_hi:[0,1,1]
	v_mov_b32_e32 v7, v43
	v_pk_fma_f32 v[28:29], v[40:41], v[6:7], v[28:29] op_sel_hi:[0,1,1]
	;; [unrolled: 2-line block ×3, first 2 shown]
	v_mov_b32_e32 v7, v44
	v_pk_fma_f32 v[28:29], v[30:31], v[6:7], v[28:29] op_sel:[1,0,0]
	v_mov_b32_e32 v4, v45
	v_pk_fma_f32 v[28:29], v[32:33], v[4:5], v[28:29] op_sel_hi:[0,1,1]
	v_mov_b32_e32 v42, v33
	v_mov_b32_e32 v7, v45
	;; [unrolled: 1-line block ×3, first 2 shown]
	v_pk_fma_f32 v[44:45], v[42:43], v[6:7], v[28:29] op_sel_hi:[0,1,1]
	v_pk_fma_f32 v[26:27], v[36:37], v[4:5], v[26:27] op_sel_hi:[0,1,1]
	v_mov_b32_e32 v7, v46
	v_pk_fma_f32 v[26:27], v[36:37], v[6:7], v[26:27] op_sel:[1,0,0]
	v_mov_b32_e32 v4, v47
	v_pk_fma_f32 v[26:27], v[38:39], v[4:5], v[26:27] op_sel_hi:[0,1,1]
	v_mov_b32_e32 v7, v47
	v_pk_fma_f32 v[26:27], v[40:41], v[6:7], v[26:27] op_sel_hi:[0,1,1]
	;; [unrolled: 2-line block ×3, first 2 shown]
	v_mov_b32_e32 v7, v48
	v_pk_fma_f32 v[26:27], v[30:31], v[6:7], v[26:27] op_sel:[1,0,0]
	v_mov_b32_e32 v4, v49
	v_pk_fma_f32 v[26:27], v[32:33], v[4:5], v[26:27] op_sel_hi:[0,1,1]
	v_mov_b32_e32 v7, v49
	v_mov_b32_e32 v4, v54
	v_pk_fma_f32 v[46:47], v[42:43], v[6:7], v[26:27] op_sel_hi:[0,1,1]
	v_pk_fma_f32 v[24:25], v[36:37], v[4:5], v[24:25] op_sel_hi:[0,1,1]
	v_mov_b32_e32 v7, v54
	v_pk_fma_f32 v[24:25], v[36:37], v[6:7], v[24:25] op_sel:[1,0,0]
	v_mov_b32_e32 v4, v55
	v_pk_fma_f32 v[24:25], v[38:39], v[4:5], v[24:25] op_sel_hi:[0,1,1]
	v_mov_b32_e32 v7, v55
	v_pk_fma_f32 v[24:25], v[40:41], v[6:7], v[24:25] op_sel_hi:[0,1,1]
	;; [unrolled: 2-line block ×3, first 2 shown]
	v_mov_b32_e32 v7, v56
	v_pk_fma_f32 v[24:25], v[30:31], v[6:7], v[24:25] op_sel:[1,0,0]
	v_mov_b32_e32 v4, v57
	v_pk_fma_f32 v[24:25], v[32:33], v[4:5], v[24:25] op_sel_hi:[0,1,1]
	v_mov_b32_e32 v7, v57
	v_mov_b32_e32 v4, v50
	v_pk_fma_f32 v[48:49], v[42:43], v[6:7], v[24:25] op_sel_hi:[0,1,1]
	v_pk_fma_f32 v[22:23], v[36:37], v[4:5], v[22:23] op_sel_hi:[0,1,1]
	v_mov_b32_e32 v7, v50
	v_pk_fma_f32 v[22:23], v[36:37], v[6:7], v[22:23] op_sel:[1,0,0]
	v_mov_b32_e32 v4, v51
	v_pk_fma_f32 v[22:23], v[38:39], v[4:5], v[22:23] op_sel_hi:[0,1,1]
	v_mov_b32_e32 v7, v51
	v_pk_fma_f32 v[22:23], v[40:41], v[6:7], v[22:23] op_sel_hi:[0,1,1]
	;; [unrolled: 2-line block ×3, first 2 shown]
	v_mov_b32_e32 v7, v52
	v_pk_fma_f32 v[22:23], v[30:31], v[6:7], v[22:23] op_sel:[1,0,0]
	v_mov_b32_e32 v4, v53
	v_pk_fma_f32 v[22:23], v[32:33], v[4:5], v[22:23] op_sel_hi:[0,1,1]
	v_mov_b32_e32 v7, v53
	s_waitcnt vmcnt(0)
	v_subrev_u32_e32 v1, s16, v1
	v_pk_fma_f32 v[30:31], v[42:43], v[6:7], v[22:23] op_sel_hi:[0,1,1]
	v_lshlrev_b32_e32 v22, 2, v1
	v_ashrrev_i32_e32 v23, 31, v22
	v_lshl_add_u64 v[32:33], v[22:23], 3, s[2:3]
	global_load_dwordx4 v[22:25], v[32:33], off offset:16
	global_load_dwordx4 v[26:29], v[32:33], off
	v_add_co_u32_e32 v36, vcc, s17, v2
	v_lshl_add_u64 v[32:33], v[2:3], 0, s[18:19]
	s_nop 0
	v_addc_co_u32_e32 v37, vcc, 0, v3, vcc
	global_load_dwordx4 v[38:41], v[36:37], off offset:-4096
	global_load_dwordx4 v[50:53], v[32:33], off offset:48
	global_load_dwordx4 v[54:57], v[32:33], off offset:32
	;; [unrolled: 1-line block ×3, first 2 shown]
	global_load_dword v1, v[8:9], off offset:512
	s_waitcnt vmcnt(4)
	v_mov_b32_e32 v4, v38
	v_pk_fma_f32 v[32:33], v[26:27], v[4:5], v[44:45] op_sel_hi:[0,1,1]
	v_mov_b32_e32 v7, v38
	v_pk_fma_f32 v[32:33], v[26:27], v[6:7], v[32:33] op_sel:[1,0,0]
	v_mov_b32_e32 v4, v39
	v_pk_fma_f32 v[32:33], v[28:29], v[4:5], v[32:33] op_sel_hi:[0,1,1]
	v_mov_b32_e32 v38, v29
	v_mov_b32_e32 v7, v39
	v_pk_fma_f32 v[32:33], v[38:39], v[6:7], v[32:33] op_sel_hi:[0,1,1]
	v_mov_b32_e32 v4, v40
	v_pk_fma_f32 v[32:33], v[22:23], v[4:5], v[32:33] op_sel_hi:[0,1,1]
	v_mov_b32_e32 v7, v40
	v_pk_fma_f32 v[32:33], v[22:23], v[6:7], v[32:33] op_sel:[1,0,0]
	v_mov_b32_e32 v4, v41
	v_pk_fma_f32 v[32:33], v[24:25], v[4:5], v[32:33] op_sel_hi:[0,1,1]
	v_mov_b32_e32 v40, v25
	v_mov_b32_e32 v7, v41
	s_waitcnt vmcnt(1)
	v_mov_b32_e32 v4, v58
	v_pk_fma_f32 v[32:33], v[40:41], v[6:7], v[32:33] op_sel_hi:[0,1,1]
	v_pk_fma_f32 v[42:43], v[26:27], v[4:5], v[46:47] op_sel_hi:[0,1,1]
	v_mov_b32_e32 v7, v58
	v_pk_fma_f32 v[42:43], v[26:27], v[6:7], v[42:43] op_sel:[1,0,0]
	v_mov_b32_e32 v4, v59
	v_pk_fma_f32 v[42:43], v[28:29], v[4:5], v[42:43] op_sel_hi:[0,1,1]
	v_mov_b32_e32 v7, v59
	v_pk_fma_f32 v[42:43], v[38:39], v[6:7], v[42:43] op_sel_hi:[0,1,1]
	v_mov_b32_e32 v4, v60
	v_pk_fma_f32 v[42:43], v[22:23], v[4:5], v[42:43] op_sel_hi:[0,1,1]
	v_mov_b32_e32 v7, v60
	v_pk_fma_f32 v[42:43], v[22:23], v[6:7], v[42:43] op_sel:[1,0,0]
	v_mov_b32_e32 v4, v61
	v_pk_fma_f32 v[42:43], v[24:25], v[4:5], v[42:43] op_sel_hi:[0,1,1]
	v_mov_b32_e32 v7, v61
	v_mov_b32_e32 v4, v54
	v_pk_fma_f32 v[42:43], v[40:41], v[6:7], v[42:43] op_sel_hi:[0,1,1]
	v_pk_fma_f32 v[44:45], v[26:27], v[4:5], v[48:49] op_sel_hi:[0,1,1]
	v_mov_b32_e32 v7, v54
	v_pk_fma_f32 v[44:45], v[26:27], v[6:7], v[44:45] op_sel:[1,0,0]
	v_mov_b32_e32 v4, v55
	v_pk_fma_f32 v[44:45], v[28:29], v[4:5], v[44:45] op_sel_hi:[0,1,1]
	v_mov_b32_e32 v7, v55
	v_pk_fma_f32 v[44:45], v[38:39], v[6:7], v[44:45] op_sel_hi:[0,1,1]
	v_mov_b32_e32 v4, v56
	v_pk_fma_f32 v[44:45], v[22:23], v[4:5], v[44:45] op_sel_hi:[0,1,1]
	v_mov_b32_e32 v7, v56
	v_pk_fma_f32 v[44:45], v[22:23], v[6:7], v[44:45] op_sel:[1,0,0]
	v_mov_b32_e32 v4, v57
	v_pk_fma_f32 v[44:45], v[24:25], v[4:5], v[44:45] op_sel_hi:[0,1,1]
	v_mov_b32_e32 v7, v57
	;; [unrolled: 16-line block ×3, first 2 shown]
	s_waitcnt vmcnt(0)
	v_subrev_u32_e32 v1, s16, v1
	v_pk_fma_f32 v[30:31], v[40:41], v[6:7], v[22:23] op_sel_hi:[0,1,1]
	v_lshlrev_b32_e32 v22, 2, v1
	v_ashrrev_i32_e32 v23, 31, v22
	v_lshl_add_u64 v[38:39], v[22:23], 3, s[2:3]
	global_load_dwordx4 v[22:25], v[38:39], off offset:16
	global_load_dwordx4 v[26:29], v[38:39], off
	v_lshl_add_u64 v[38:39], v[2:3], 0, s[20:21]
	global_load_dwordx4 v[46:49], v[36:37], off
	global_load_dwordx4 v[50:53], v[38:39], off offset:48
	global_load_dwordx4 v[54:57], v[38:39], off offset:32
	;; [unrolled: 1-line block ×3, first 2 shown]
	global_load_dword v1, v[8:9], off offset:768
	s_waitcnt vmcnt(4)
	v_mov_b32_e32 v4, v46
	v_pk_fma_f32 v[32:33], v[26:27], v[4:5], v[32:33] op_sel_hi:[0,1,1]
	v_mov_b32_e32 v7, v46
	v_pk_fma_f32 v[32:33], v[26:27], v[6:7], v[32:33] op_sel:[1,0,0]
	v_mov_b32_e32 v4, v47
	v_pk_fma_f32 v[32:33], v[28:29], v[4:5], v[32:33] op_sel_hi:[0,1,1]
	v_mov_b32_e32 v36, v29
	v_mov_b32_e32 v7, v47
	v_pk_fma_f32 v[32:33], v[36:37], v[6:7], v[32:33] op_sel_hi:[0,1,1]
	v_mov_b32_e32 v4, v48
	v_pk_fma_f32 v[32:33], v[22:23], v[4:5], v[32:33] op_sel_hi:[0,1,1]
	v_mov_b32_e32 v7, v48
	v_pk_fma_f32 v[32:33], v[22:23], v[6:7], v[32:33] op_sel:[1,0,0]
	v_mov_b32_e32 v4, v49
	v_pk_fma_f32 v[32:33], v[24:25], v[4:5], v[32:33] op_sel_hi:[0,1,1]
	v_mov_b32_e32 v38, v25
	v_mov_b32_e32 v7, v49
	s_waitcnt vmcnt(1)
	v_mov_b32_e32 v4, v58
	v_pk_fma_f32 v[40:41], v[38:39], v[6:7], v[32:33] op_sel_hi:[0,1,1]
	v_pk_fma_f32 v[32:33], v[26:27], v[4:5], v[42:43] op_sel_hi:[0,1,1]
	v_mov_b32_e32 v7, v58
	v_pk_fma_f32 v[32:33], v[26:27], v[6:7], v[32:33] op_sel:[1,0,0]
	v_mov_b32_e32 v4, v59
	v_pk_fma_f32 v[32:33], v[28:29], v[4:5], v[32:33] op_sel_hi:[0,1,1]
	v_mov_b32_e32 v7, v59
	v_pk_fma_f32 v[32:33], v[36:37], v[6:7], v[32:33] op_sel_hi:[0,1,1]
	;; [unrolled: 2-line block ×3, first 2 shown]
	v_mov_b32_e32 v7, v60
	v_pk_fma_f32 v[32:33], v[22:23], v[6:7], v[32:33] op_sel:[1,0,0]
	v_mov_b32_e32 v4, v61
	v_pk_fma_f32 v[32:33], v[24:25], v[4:5], v[32:33] op_sel_hi:[0,1,1]
	v_mov_b32_e32 v7, v61
	v_mov_b32_e32 v4, v54
	v_pk_fma_f32 v[42:43], v[38:39], v[6:7], v[32:33] op_sel_hi:[0,1,1]
	v_pk_fma_f32 v[32:33], v[26:27], v[4:5], v[44:45] op_sel_hi:[0,1,1]
	v_mov_b32_e32 v7, v54
	v_pk_fma_f32 v[32:33], v[26:27], v[6:7], v[32:33] op_sel:[1,0,0]
	v_mov_b32_e32 v4, v55
	v_pk_fma_f32 v[32:33], v[28:29], v[4:5], v[32:33] op_sel_hi:[0,1,1]
	v_mov_b32_e32 v7, v55
	v_pk_fma_f32 v[32:33], v[36:37], v[6:7], v[32:33] op_sel_hi:[0,1,1]
	;; [unrolled: 2-line block ×3, first 2 shown]
	v_mov_b32_e32 v7, v56
	v_pk_fma_f32 v[32:33], v[22:23], v[6:7], v[32:33] op_sel:[1,0,0]
	v_mov_b32_e32 v4, v57
	v_pk_fma_f32 v[32:33], v[24:25], v[4:5], v[32:33] op_sel_hi:[0,1,1]
	v_mov_b32_e32 v7, v57
	v_mov_b32_e32 v4, v50
	v_pk_fma_f32 v[44:45], v[38:39], v[6:7], v[32:33] op_sel_hi:[0,1,1]
	v_pk_fma_f32 v[30:31], v[26:27], v[4:5], v[30:31] op_sel_hi:[0,1,1]
	v_mov_b32_e32 v7, v50
	v_pk_fma_f32 v[26:27], v[26:27], v[6:7], v[30:31] op_sel:[1,0,0]
	v_mov_b32_e32 v4, v51
	v_pk_fma_f32 v[26:27], v[28:29], v[4:5], v[26:27] op_sel_hi:[0,1,1]
	v_mov_b32_e32 v7, v51
	v_pk_fma_f32 v[26:27], v[36:37], v[6:7], v[26:27] op_sel_hi:[0,1,1]
	v_mov_b32_e32 v4, v52
	s_waitcnt vmcnt(0)
	v_subrev_u32_e32 v1, s16, v1
	v_pk_fma_f32 v[26:27], v[22:23], v[4:5], v[26:27] op_sel_hi:[0,1,1]
	v_mov_b32_e32 v7, v52
	v_lshlrev_b32_e32 v8, 2, v1
	v_pk_fma_f32 v[22:23], v[22:23], v[6:7], v[26:27] op_sel:[1,0,0]
	v_mov_b32_e32 v4, v53
	v_ashrrev_i32_e32 v9, 31, v8
	v_pk_fma_f32 v[22:23], v[24:25], v[4:5], v[22:23] op_sel_hi:[0,1,1]
	v_mov_b32_e32 v7, v53
	v_lshl_add_u64 v[8:9], v[8:9], 3, s[2:3]
	v_pk_fma_f32 v[22:23], v[38:39], v[6:7], v[22:23] op_sel_hi:[0,1,1]
	global_load_dwordx4 v[30:33], v[8:9], off offset:16
	global_load_dwordx4 v[36:39], v[8:9], off
	v_add_co_u32_e32 v24, vcc, s26, v2
	v_lshl_add_u64 v[8:9], v[2:3], 0, s[22:23]
	s_nop 0
	v_addc_co_u32_e32 v25, vcc, 0, v3, vcc
	global_load_dwordx4 v[26:29], v[24:25], off
	global_load_dwordx4 v[48:51], v[8:9], off offset:48
	global_load_dwordx4 v[52:55], v[8:9], off offset:32
	;; [unrolled: 1-line block ×3, first 2 shown]
	v_cmp_ge_i32_e32 vcc, v0, v34
	v_lshl_add_u64 v[2:3], v[2:3], 0, s[24:25]
	s_or_b64 s[14:15], vcc, s[14:15]
	s_waitcnt vmcnt(5)
	v_mov_b32_e32 v46, v33
	s_waitcnt vmcnt(3)
	v_mov_b32_e32 v4, v26
	v_pk_fma_f32 v[8:9], v[36:37], v[4:5], v[40:41] op_sel_hi:[0,1,1]
	v_mov_b32_e32 v7, v26
	v_pk_fma_f32 v[8:9], v[36:37], v[6:7], v[8:9] op_sel:[1,0,0]
	v_mov_b32_e32 v4, v27
	v_pk_fma_f32 v[8:9], v[38:39], v[4:5], v[8:9] op_sel_hi:[0,1,1]
	v_mov_b32_e32 v40, v39
	v_mov_b32_e32 v7, v27
	v_pk_fma_f32 v[8:9], v[40:41], v[6:7], v[8:9] op_sel_hi:[0,1,1]
	v_mov_b32_e32 v4, v28
	v_pk_fma_f32 v[8:9], v[30:31], v[4:5], v[8:9] op_sel_hi:[0,1,1]
	v_mov_b32_e32 v7, v28
	v_pk_fma_f32 v[8:9], v[30:31], v[6:7], v[8:9] op_sel:[1,0,0]
	v_mov_b32_e32 v4, v29
	v_pk_fma_f32 v[8:9], v[32:33], v[4:5], v[8:9] op_sel_hi:[0,1,1]
	v_mov_b32_e32 v7, v29
	s_waitcnt vmcnt(0)
	v_mov_b32_e32 v4, v56
	v_pk_fma_f32 v[28:29], v[46:47], v[6:7], v[8:9] op_sel_hi:[0,1,1]
	v_pk_fma_f32 v[8:9], v[36:37], v[4:5], v[42:43] op_sel_hi:[0,1,1]
	v_mov_b32_e32 v7, v56
	v_pk_fma_f32 v[8:9], v[36:37], v[6:7], v[8:9] op_sel:[1,0,0]
	v_mov_b32_e32 v4, v57
	v_pk_fma_f32 v[8:9], v[38:39], v[4:5], v[8:9] op_sel_hi:[0,1,1]
	v_mov_b32_e32 v7, v57
	v_pk_fma_f32 v[8:9], v[40:41], v[6:7], v[8:9] op_sel_hi:[0,1,1]
	v_mov_b32_e32 v4, v58
	v_pk_fma_f32 v[8:9], v[30:31], v[4:5], v[8:9] op_sel_hi:[0,1,1]
	v_mov_b32_e32 v7, v58
	v_pk_fma_f32 v[8:9], v[30:31], v[6:7], v[8:9] op_sel:[1,0,0]
	v_mov_b32_e32 v4, v59
	v_pk_fma_f32 v[8:9], v[32:33], v[4:5], v[8:9] op_sel_hi:[0,1,1]
	v_mov_b32_e32 v7, v59
	v_mov_b32_e32 v4, v52
	v_pk_fma_f32 v[26:27], v[46:47], v[6:7], v[8:9] op_sel_hi:[0,1,1]
	v_pk_fma_f32 v[8:9], v[36:37], v[4:5], v[44:45] op_sel_hi:[0,1,1]
	v_mov_b32_e32 v7, v52
	v_pk_fma_f32 v[8:9], v[36:37], v[6:7], v[8:9] op_sel:[1,0,0]
	v_mov_b32_e32 v4, v53
	v_pk_fma_f32 v[8:9], v[38:39], v[4:5], v[8:9] op_sel_hi:[0,1,1]
	v_mov_b32_e32 v7, v53
	v_pk_fma_f32 v[8:9], v[40:41], v[6:7], v[8:9] op_sel_hi:[0,1,1]
	v_mov_b32_e32 v4, v54
	v_pk_fma_f32 v[8:9], v[30:31], v[4:5], v[8:9] op_sel_hi:[0,1,1]
	v_mov_b32_e32 v7, v54
	v_pk_fma_f32 v[8:9], v[30:31], v[6:7], v[8:9] op_sel:[1,0,0]
	v_mov_b32_e32 v4, v55
	v_pk_fma_f32 v[8:9], v[32:33], v[4:5], v[8:9] op_sel_hi:[0,1,1]
	v_mov_b32_e32 v7, v55
	v_mov_b32_e32 v4, v48
	v_pk_fma_f32 v[24:25], v[46:47], v[6:7], v[8:9] op_sel_hi:[0,1,1]
	v_pk_fma_f32 v[8:9], v[36:37], v[4:5], v[22:23] op_sel_hi:[0,1,1]
	v_mov_b32_e32 v7, v48
	v_pk_fma_f32 v[8:9], v[36:37], v[6:7], v[8:9] op_sel:[1,0,0]
	v_mov_b32_e32 v4, v49
	v_pk_fma_f32 v[8:9], v[38:39], v[4:5], v[8:9] op_sel_hi:[0,1,1]
	v_mov_b32_e32 v7, v49
	v_pk_fma_f32 v[8:9], v[40:41], v[6:7], v[8:9] op_sel_hi:[0,1,1]
	v_mov_b32_e32 v4, v50
	v_pk_fma_f32 v[8:9], v[30:31], v[4:5], v[8:9] op_sel_hi:[0,1,1]
	v_mov_b32_e32 v7, v50
	v_pk_fma_f32 v[8:9], v[30:31], v[6:7], v[8:9] op_sel:[1,0,0]
	v_mov_b32_e32 v4, v51
	v_pk_fma_f32 v[8:9], v[32:33], v[4:5], v[8:9] op_sel_hi:[0,1,1]
	v_mov_b32_e32 v7, v51
	v_pk_fma_f32 v[22:23], v[46:47], v[6:7], v[8:9] op_sel_hi:[0,1,1]
	s_andn2_b64 exec, exec, s[14:15]
	s_cbranch_execnz .LBB124_17
; %bb.18:
	s_or_b64 exec, exec, s[14:15]
.LBB124_19:
	s_or_b64 exec, exec, s[10:11]
.LBB124_20:
	s_or_b64 exec, exec, s[8:9]
	s_cbranch_execz .LBB124_22
	s_branch .LBB124_33
.LBB124_21:
                                        ; implicit-def: $vgpr29
                                        ; implicit-def: $vgpr27
                                        ; implicit-def: $vgpr25
                                        ; implicit-def: $vgpr23
.LBB124_22:
	v_mov_b32_e32 v29, 0
	v_mov_b32_e32 v28, 0
	;; [unrolled: 1-line block ×8, first 2 shown]
	s_and_saveexec_b64 s[8:9], s[4:5]
	s_cbranch_execz .LBB124_32
; %bb.23:
	v_add_u32_e32 v0, v10, v17
	v_subrev_u32_e32 v0, s16, v0
	v_add_u32_e32 v0, 64, v0
	v_max_i32_e32 v0, v0, v34
	v_not_b32_e32 v1, v10
	v_add3_u32 v0, s16, v0, v1
	v_sub_u32_e32 v4, v0, v17
	s_movk_i32 s4, 0xc0
	v_and_b32_e32 v0, 0xc0, v4
	v_mov_b32_e32 v1, 0
	v_cmp_ne_u32_e32 vcc, s4, v0
	v_mov_b32_e32 v0, v1
	v_mov_b64_e32 v[28:29], v[0:1]
	v_mov_b64_e32 v[26:27], v[0:1]
	;; [unrolled: 1-line block ×4, first 2 shown]
	s_and_saveexec_b64 s[4:5], vcc
	s_cbranch_execz .LBB124_27
; %bb.24:
	v_lshrrev_b32_e32 v0, 6, v4
	v_add_u32_e32 v0, 1, v0
	v_and_b32_e32 v0, 3, v0
	v_sub_u32_e32 v5, 0, v0
	s_mov_b64 s[10:11], 0
	s_mov_b64 s[14:15], 0x1000
	v_bfrev_b32_e32 v2, 1
	v_mov_b32_e32 v22, v1
	v_mov_b32_e32 v23, v1
	;; [unrolled: 1-line block ×8, first 2 shown]
.LBB124_25:                             ; =>This Inner Loop Header: Depth=1
	v_ashrrev_i32_e32 v19, 31, v18
	v_lshl_add_u64 v[6:7], v[18:19], 2, s[12:13]
	global_load_dword v0, v[6:7], off
	global_load_dwordx4 v[40:43], v[20:21], off offset:32
	global_load_dwordx4 v[44:47], v[20:21], off offset:16
	global_load_dwordx4 v[48:51], v[20:21], off
	v_add_co_u32_e32 v5, vcc, 1, v5
	v_add_u32_e32 v18, 64, v18
	s_or_b64 s[10:11], vcc, s[10:11]
	s_waitcnt vmcnt(3)
	v_subrev_u32_e32 v0, s16, v0
	v_lshlrev_b32_e32 v6, 2, v0
	v_ashrrev_i32_e32 v7, 31, v6
	v_lshl_add_u64 v[10:11], v[6:7], 3, s[2:3]
	global_load_dwordx4 v[6:9], v[10:11], off
	global_load_dwordx4 v[30:33], v[10:11], off offset:16
	global_load_dwordx4 v[52:55], v[20:21], off offset:48
	s_waitcnt vmcnt(3)
	v_mov_b32_e32 v0, v48
	v_mov_b32_e32 v3, v48
	v_lshl_add_u64 v[20:21], v[20:21], 0, s[14:15]
	s_waitcnt vmcnt(2)
	v_pk_fma_f32 v[10:11], v[6:7], v[0:1], v[28:29] op_sel_hi:[0,1,1]
	v_mov_b32_e32 v0, v44
	v_pk_fma_f32 v[10:11], v[6:7], v[2:3], v[10:11] op_sel:[1,0,0]
	v_mov_b32_e32 v36, v9
	v_mov_b32_e32 v3, v44
	v_pk_fma_f32 v[10:11], v[8:9], v[0:1], v[10:11] op_sel_hi:[0,1,1]
	v_mov_b32_e32 v0, v40
	v_pk_fma_f32 v[10:11], v[36:37], v[2:3], v[10:11] op_sel_hi:[0,1,1]
	v_mov_b32_e32 v3, v40
	s_waitcnt vmcnt(1)
	v_pk_fma_f32 v[10:11], v[30:31], v[0:1], v[10:11] op_sel_hi:[0,1,1]
	s_waitcnt vmcnt(0)
	v_mov_b32_e32 v0, v52
	v_pk_fma_f32 v[10:11], v[30:31], v[2:3], v[10:11] op_sel:[1,0,0]
	v_mov_b32_e32 v38, v33
	v_mov_b32_e32 v3, v52
	v_pk_fma_f32 v[10:11], v[32:33], v[0:1], v[10:11] op_sel_hi:[0,1,1]
	v_mov_b32_e32 v0, v49
	v_pk_fma_f32 v[28:29], v[38:39], v[2:3], v[10:11] op_sel_hi:[0,1,1]
	v_pk_fma_f32 v[10:11], v[6:7], v[0:1], v[26:27] op_sel_hi:[0,1,1]
	v_mov_b32_e32 v3, v49
	v_mov_b32_e32 v0, v45
	v_pk_fma_f32 v[10:11], v[6:7], v[2:3], v[10:11] op_sel:[1,0,0]
	v_mov_b32_e32 v3, v45
	v_pk_fma_f32 v[10:11], v[8:9], v[0:1], v[10:11] op_sel_hi:[0,1,1]
	v_mov_b32_e32 v0, v41
	v_pk_fma_f32 v[10:11], v[36:37], v[2:3], v[10:11] op_sel_hi:[0,1,1]
	v_mov_b32_e32 v3, v41
	v_pk_fma_f32 v[10:11], v[30:31], v[0:1], v[10:11] op_sel_hi:[0,1,1]
	v_mov_b32_e32 v0, v53
	v_pk_fma_f32 v[10:11], v[30:31], v[2:3], v[10:11] op_sel:[1,0,0]
	v_mov_b32_e32 v3, v53
	v_pk_fma_f32 v[10:11], v[32:33], v[0:1], v[10:11] op_sel_hi:[0,1,1]
	v_mov_b32_e32 v0, v50
	v_pk_fma_f32 v[26:27], v[38:39], v[2:3], v[10:11] op_sel_hi:[0,1,1]
	v_pk_fma_f32 v[10:11], v[6:7], v[0:1], v[24:25] op_sel_hi:[0,1,1]
	v_mov_b32_e32 v3, v50
	v_mov_b32_e32 v0, v46
	v_pk_fma_f32 v[10:11], v[6:7], v[2:3], v[10:11] op_sel:[1,0,0]
	v_mov_b32_e32 v3, v46
	v_pk_fma_f32 v[10:11], v[8:9], v[0:1], v[10:11] op_sel_hi:[0,1,1]
	v_mov_b32_e32 v0, v42
	v_pk_fma_f32 v[10:11], v[36:37], v[2:3], v[10:11] op_sel_hi:[0,1,1]
	v_mov_b32_e32 v3, v42
	v_pk_fma_f32 v[10:11], v[30:31], v[0:1], v[10:11] op_sel_hi:[0,1,1]
	v_mov_b32_e32 v0, v54
	v_pk_fma_f32 v[10:11], v[30:31], v[2:3], v[10:11] op_sel:[1,0,0]
	;; [unrolled: 16-line block ×3, first 2 shown]
	v_mov_b32_e32 v3, v55
	v_pk_fma_f32 v[6:7], v[32:33], v[0:1], v[6:7] op_sel_hi:[0,1,1]
	v_pk_fma_f32 v[22:23], v[38:39], v[2:3], v[6:7] op_sel_hi:[0,1,1]
	s_andn2_b64 exec, exec, s[10:11]
	s_cbranch_execnz .LBB124_25
; %bb.26:
	s_or_b64 exec, exec, s[10:11]
.LBB124_27:
	s_or_b64 exec, exec, s[4:5]
	s_movk_i32 s4, 0xbf
	v_cmp_lt_u32_e32 vcc, s4, v4
	s_and_saveexec_b64 s[4:5], vcc
	s_cbranch_execz .LBB124_31
; %bb.28:
	s_mov_b64 s[10:11], 0
	v_mov_b32_e32 v31, 0
	s_mov_b64 s[14:15], 0x1000
	s_mov_b64 s[18:19], 0x2000
	s_movk_i32 s17, 0x2000
	s_mov_b64 s[20:21], 0x3000
	s_movk_i32 s24, 0x3000
	s_mov_b64 s[22:23], 0x4000
	v_bfrev_b32_e32 v32, 1
.LBB124_29:                             ; =>This Inner Loop Header: Depth=1
	v_add_co_u32_e32 v6, vcc, s17, v20
	v_ashrrev_i32_e32 v19, 31, v18
	s_nop 0
	v_addc_co_u32_e32 v7, vcc, 0, v21, vcc
	v_lshl_add_u64 v[0:1], v[20:21], 0, s[14:15]
	v_lshl_add_u64 v[2:3], v[20:21], 0, s[18:19]
	v_add_co_u32_e32 v8, vcc, s24, v20
	global_load_dwordx4 v[36:39], v[20:21], off offset:48
	global_load_dwordx4 v[40:43], v[20:21], off offset:32
	;; [unrolled: 1-line block ×3, first 2 shown]
	global_load_dwordx4 v[48:51], v[20:21], off
	v_lshl_add_u64 v[4:5], v[20:21], 0, s[20:21]
	v_addc_co_u32_e32 v9, vcc, 0, v21, vcc
	v_lshl_add_u64 v[10:11], v[18:19], 2, s[12:13]
	global_load_dwordx4 v[86:89], v[0:1], off offset:48
	global_load_dwordx4 v[90:93], v[0:1], off offset:32
	global_load_dwordx4 v[94:97], v[0:1], off offset:16
	global_load_dwordx4 v[98:101], v[2:3], off offset:48
	global_load_dwordx4 v[102:105], v[2:3], off offset:32
	global_load_dwordx4 v[106:109], v[2:3], off offset:16
	global_load_dwordx4 v[110:113], v[4:5], off offset:32
	global_load_dwordx4 v[114:117], v[4:5], off offset:16
	global_load_dwordx4 v[118:121], v[6:7], off offset:-4096
	global_load_dwordx4 v[122:125], v[6:7], off
	global_load_dwordx4 v[126:129], v[4:5], off offset:48
	global_load_dwordx4 v[130:133], v[8:9], off
	global_load_dword v0, v[10:11], off
	global_load_dword v1, v[10:11], off offset:256
	global_load_dword v2, v[10:11], off offset:512
	;; [unrolled: 1-line block ×3, first 2 shown]
	v_add_u32_e32 v18, 0x100, v18
	v_cmp_ge_i32_e32 vcc, v18, v34
	v_lshl_add_u64 v[20:21], v[20:21], 0, s[22:23]
	s_or_b64 s[10:11], vcc, s[10:11]
	s_waitcnt vmcnt(16)
	v_mov_b32_e32 v30, v48
	v_mov_b32_e32 v33, v48
	s_waitcnt vmcnt(3)
	v_subrev_u32_e32 v0, s16, v0
	s_waitcnt vmcnt(2)
	v_subrev_u32_e32 v1, s16, v1
	;; [unrolled: 2-line block ×4, first 2 shown]
	v_lshlrev_b32_e32 v0, 2, v0
	v_lshlrev_b32_e32 v2, 2, v1
	;; [unrolled: 1-line block ×4, first 2 shown]
	v_ashrrev_i32_e32 v1, 31, v0
	v_ashrrev_i32_e32 v3, 31, v2
	;; [unrolled: 1-line block ×4, first 2 shown]
	v_lshl_add_u64 v[72:73], v[0:1], 3, s[2:3]
	v_lshl_add_u64 v[74:75], v[2:3], 3, s[2:3]
	;; [unrolled: 1-line block ×4, first 2 shown]
	global_load_dwordx4 v[52:55], v[72:73], off
	global_load_dwordx4 v[56:59], v[72:73], off offset:16
	global_load_dwordx4 v[60:63], v[74:75], off
	global_load_dwordx4 v[64:67], v[74:75], off offset:16
	;; [unrolled: 2-line block ×4, first 2 shown]
	s_waitcnt vmcnt(7)
	v_pk_fma_f32 v[28:29], v[52:53], v[30:31], v[28:29] op_sel_hi:[0,1,1]
	v_mov_b32_e32 v30, v44
	v_pk_fma_f32 v[28:29], v[52:53], v[32:33], v[28:29] op_sel:[1,0,0]
	v_mov_b32_e32 v48, v55
	v_mov_b32_e32 v33, v44
	v_pk_fma_f32 v[28:29], v[54:55], v[30:31], v[28:29] op_sel_hi:[0,1,1]
	v_mov_b32_e32 v30, v40
	v_pk_fma_f32 v[28:29], v[48:49], v[32:33], v[28:29] op_sel_hi:[0,1,1]
	v_mov_b32_e32 v33, v40
	s_waitcnt vmcnt(6)
	v_pk_fma_f32 v[28:29], v[56:57], v[30:31], v[28:29] op_sel_hi:[0,1,1]
	v_mov_b32_e32 v30, v36
	v_pk_fma_f32 v[28:29], v[56:57], v[32:33], v[28:29] op_sel:[1,0,0]
	v_mov_b32_e32 v72, v59
	v_mov_b32_e32 v33, v36
	v_pk_fma_f32 v[28:29], v[58:59], v[30:31], v[28:29] op_sel_hi:[0,1,1]
	v_mov_b32_e32 v30, v49
	v_pk_fma_f32 v[28:29], v[72:73], v[32:33], v[28:29] op_sel_hi:[0,1,1]
	v_pk_fma_f32 v[26:27], v[52:53], v[30:31], v[26:27] op_sel_hi:[0,1,1]
	v_mov_b32_e32 v33, v49
	v_mov_b32_e32 v30, v45
	v_pk_fma_f32 v[26:27], v[52:53], v[32:33], v[26:27] op_sel:[1,0,0]
	v_mov_b32_e32 v33, v45
	v_pk_fma_f32 v[26:27], v[54:55], v[30:31], v[26:27] op_sel_hi:[0,1,1]
	v_mov_b32_e32 v30, v41
	v_pk_fma_f32 v[26:27], v[48:49], v[32:33], v[26:27] op_sel_hi:[0,1,1]
	v_mov_b32_e32 v33, v41
	v_pk_fma_f32 v[26:27], v[56:57], v[30:31], v[26:27] op_sel_hi:[0,1,1]
	v_mov_b32_e32 v30, v37
	v_pk_fma_f32 v[26:27], v[56:57], v[32:33], v[26:27] op_sel:[1,0,0]
	v_mov_b32_e32 v33, v37
	v_pk_fma_f32 v[26:27], v[58:59], v[30:31], v[26:27] op_sel_hi:[0,1,1]
	v_mov_b32_e32 v30, v50
	v_pk_fma_f32 v[26:27], v[72:73], v[32:33], v[26:27] op_sel_hi:[0,1,1]
	v_pk_fma_f32 v[24:25], v[52:53], v[30:31], v[24:25] op_sel_hi:[0,1,1]
	v_mov_b32_e32 v33, v50
	v_mov_b32_e32 v30, v46
	v_pk_fma_f32 v[24:25], v[52:53], v[32:33], v[24:25] op_sel:[1,0,0]
	v_mov_b32_e32 v33, v46
	v_pk_fma_f32 v[24:25], v[54:55], v[30:31], v[24:25] op_sel_hi:[0,1,1]
	v_mov_b32_e32 v30, v42
	v_pk_fma_f32 v[24:25], v[48:49], v[32:33], v[24:25] op_sel_hi:[0,1,1]
	v_mov_b32_e32 v33, v42
	v_pk_fma_f32 v[24:25], v[56:57], v[30:31], v[24:25] op_sel_hi:[0,1,1]
	v_mov_b32_e32 v30, v38
	v_pk_fma_f32 v[24:25], v[56:57], v[32:33], v[24:25] op_sel:[1,0,0]
	;; [unrolled: 16-line block ×3, first 2 shown]
	v_mov_b32_e32 v33, v39
	v_pk_fma_f32 v[22:23], v[58:59], v[30:31], v[22:23] op_sel_hi:[0,1,1]
	v_mov_b32_e32 v30, v118
	v_pk_fma_f32 v[22:23], v[72:73], v[32:33], v[22:23] op_sel_hi:[0,1,1]
	s_waitcnt vmcnt(5)
	v_pk_fma_f32 v[28:29], v[60:61], v[30:31], v[28:29] op_sel_hi:[0,1,1]
	v_mov_b32_e32 v33, v118
	v_mov_b32_e32 v30, v94
	v_pk_fma_f32 v[28:29], v[60:61], v[32:33], v[28:29] op_sel:[1,0,0]
	v_mov_b32_e32 v74, v63
	v_mov_b32_e32 v33, v94
	v_pk_fma_f32 v[28:29], v[62:63], v[30:31], v[28:29] op_sel_hi:[0,1,1]
	v_mov_b32_e32 v30, v90
	v_pk_fma_f32 v[28:29], v[74:75], v[32:33], v[28:29] op_sel_hi:[0,1,1]
	v_mov_b32_e32 v33, v90
	s_waitcnt vmcnt(4)
	v_pk_fma_f32 v[28:29], v[64:65], v[30:31], v[28:29] op_sel_hi:[0,1,1]
	v_mov_b32_e32 v30, v86
	v_pk_fma_f32 v[28:29], v[64:65], v[32:33], v[28:29] op_sel:[1,0,0]
	v_mov_b32_e32 v76, v67
	v_mov_b32_e32 v33, v86
	v_pk_fma_f32 v[28:29], v[66:67], v[30:31], v[28:29] op_sel_hi:[0,1,1]
	v_mov_b32_e32 v30, v119
	v_pk_fma_f32 v[28:29], v[76:77], v[32:33], v[28:29] op_sel_hi:[0,1,1]
	v_pk_fma_f32 v[26:27], v[60:61], v[30:31], v[26:27] op_sel_hi:[0,1,1]
	v_mov_b32_e32 v33, v119
	v_mov_b32_e32 v30, v95
	v_pk_fma_f32 v[26:27], v[60:61], v[32:33], v[26:27] op_sel:[1,0,0]
	v_mov_b32_e32 v33, v95
	v_pk_fma_f32 v[26:27], v[62:63], v[30:31], v[26:27] op_sel_hi:[0,1,1]
	v_mov_b32_e32 v30, v91
	v_pk_fma_f32 v[26:27], v[74:75], v[32:33], v[26:27] op_sel_hi:[0,1,1]
	v_mov_b32_e32 v33, v91
	v_pk_fma_f32 v[26:27], v[64:65], v[30:31], v[26:27] op_sel_hi:[0,1,1]
	v_mov_b32_e32 v30, v87
	v_pk_fma_f32 v[26:27], v[64:65], v[32:33], v[26:27] op_sel:[1,0,0]
	v_mov_b32_e32 v33, v87
	v_pk_fma_f32 v[26:27], v[66:67], v[30:31], v[26:27] op_sel_hi:[0,1,1]
	v_mov_b32_e32 v30, v120
	v_pk_fma_f32 v[26:27], v[76:77], v[32:33], v[26:27] op_sel_hi:[0,1,1]
	v_pk_fma_f32 v[24:25], v[60:61], v[30:31], v[24:25] op_sel_hi:[0,1,1]
	v_mov_b32_e32 v33, v120
	v_mov_b32_e32 v30, v96
	v_pk_fma_f32 v[24:25], v[60:61], v[32:33], v[24:25] op_sel:[1,0,0]
	v_mov_b32_e32 v33, v96
	v_pk_fma_f32 v[24:25], v[62:63], v[30:31], v[24:25] op_sel_hi:[0,1,1]
	v_mov_b32_e32 v30, v92
	v_pk_fma_f32 v[24:25], v[74:75], v[32:33], v[24:25] op_sel_hi:[0,1,1]
	v_mov_b32_e32 v33, v92
	v_pk_fma_f32 v[24:25], v[64:65], v[30:31], v[24:25] op_sel_hi:[0,1,1]
	v_mov_b32_e32 v30, v88
	v_pk_fma_f32 v[24:25], v[64:65], v[32:33], v[24:25] op_sel:[1,0,0]
	;; [unrolled: 16-line block ×3, first 2 shown]
	v_mov_b32_e32 v33, v89
	v_pk_fma_f32 v[22:23], v[66:67], v[30:31], v[22:23] op_sel_hi:[0,1,1]
	v_mov_b32_e32 v30, v122
	v_pk_fma_f32 v[22:23], v[76:77], v[32:33], v[22:23] op_sel_hi:[0,1,1]
	s_waitcnt vmcnt(3)
	v_pk_fma_f32 v[28:29], v[68:69], v[30:31], v[28:29] op_sel_hi:[0,1,1]
	v_mov_b32_e32 v33, v122
	v_mov_b32_e32 v30, v106
	v_pk_fma_f32 v[28:29], v[68:69], v[32:33], v[28:29] op_sel:[1,0,0]
	v_mov_b32_e32 v78, v71
	v_mov_b32_e32 v33, v106
	v_pk_fma_f32 v[28:29], v[70:71], v[30:31], v[28:29] op_sel_hi:[0,1,1]
	v_mov_b32_e32 v30, v102
	v_pk_fma_f32 v[28:29], v[78:79], v[32:33], v[28:29] op_sel_hi:[0,1,1]
	v_mov_b32_e32 v33, v102
	s_waitcnt vmcnt(2)
	v_pk_fma_f32 v[28:29], v[8:9], v[30:31], v[28:29] op_sel_hi:[0,1,1]
	v_mov_b32_e32 v30, v98
	v_pk_fma_f32 v[28:29], v[8:9], v[32:33], v[28:29] op_sel:[1,0,0]
	v_mov_b32_e32 v80, v11
	v_mov_b32_e32 v33, v98
	v_pk_fma_f32 v[28:29], v[10:11], v[30:31], v[28:29] op_sel_hi:[0,1,1]
	v_mov_b32_e32 v30, v123
	v_pk_fma_f32 v[28:29], v[80:81], v[32:33], v[28:29] op_sel_hi:[0,1,1]
	v_pk_fma_f32 v[26:27], v[68:69], v[30:31], v[26:27] op_sel_hi:[0,1,1]
	v_mov_b32_e32 v33, v123
	v_mov_b32_e32 v30, v107
	v_pk_fma_f32 v[26:27], v[68:69], v[32:33], v[26:27] op_sel:[1,0,0]
	v_mov_b32_e32 v33, v107
	v_pk_fma_f32 v[26:27], v[70:71], v[30:31], v[26:27] op_sel_hi:[0,1,1]
	v_mov_b32_e32 v30, v103
	v_pk_fma_f32 v[26:27], v[78:79], v[32:33], v[26:27] op_sel_hi:[0,1,1]
	v_mov_b32_e32 v33, v103
	v_pk_fma_f32 v[26:27], v[8:9], v[30:31], v[26:27] op_sel_hi:[0,1,1]
	v_mov_b32_e32 v30, v99
	v_pk_fma_f32 v[26:27], v[8:9], v[32:33], v[26:27] op_sel:[1,0,0]
	v_mov_b32_e32 v33, v99
	v_pk_fma_f32 v[26:27], v[10:11], v[30:31], v[26:27] op_sel_hi:[0,1,1]
	v_mov_b32_e32 v30, v124
	v_pk_fma_f32 v[26:27], v[80:81], v[32:33], v[26:27] op_sel_hi:[0,1,1]
	v_pk_fma_f32 v[24:25], v[68:69], v[30:31], v[24:25] op_sel_hi:[0,1,1]
	v_mov_b32_e32 v33, v124
	v_mov_b32_e32 v30, v108
	v_pk_fma_f32 v[24:25], v[68:69], v[32:33], v[24:25] op_sel:[1,0,0]
	v_mov_b32_e32 v33, v108
	v_pk_fma_f32 v[24:25], v[70:71], v[30:31], v[24:25] op_sel_hi:[0,1,1]
	v_mov_b32_e32 v30, v104
	v_pk_fma_f32 v[24:25], v[78:79], v[32:33], v[24:25] op_sel_hi:[0,1,1]
	v_mov_b32_e32 v33, v104
	v_pk_fma_f32 v[24:25], v[8:9], v[30:31], v[24:25] op_sel_hi:[0,1,1]
	v_mov_b32_e32 v30, v100
	v_pk_fma_f32 v[24:25], v[8:9], v[32:33], v[24:25] op_sel:[1,0,0]
	;; [unrolled: 16-line block ×3, first 2 shown]
	v_mov_b32_e32 v33, v101
	v_pk_fma_f32 v[8:9], v[10:11], v[30:31], v[8:9] op_sel_hi:[0,1,1]
	v_mov_b32_e32 v30, v130
	v_pk_fma_f32 v[8:9], v[80:81], v[32:33], v[8:9] op_sel_hi:[0,1,1]
	s_waitcnt vmcnt(1)
	v_pk_fma_f32 v[10:11], v[4:5], v[30:31], v[28:29] op_sel_hi:[0,1,1]
	v_mov_b32_e32 v33, v130
	v_mov_b32_e32 v30, v114
	v_pk_fma_f32 v[10:11], v[4:5], v[32:33], v[10:11] op_sel:[1,0,0]
	v_mov_b32_e32 v82, v7
	v_mov_b32_e32 v33, v114
	v_pk_fma_f32 v[10:11], v[6:7], v[30:31], v[10:11] op_sel_hi:[0,1,1]
	v_mov_b32_e32 v30, v110
	v_pk_fma_f32 v[10:11], v[82:83], v[32:33], v[10:11] op_sel_hi:[0,1,1]
	v_mov_b32_e32 v33, v110
	s_waitcnt vmcnt(0)
	v_pk_fma_f32 v[10:11], v[0:1], v[30:31], v[10:11] op_sel_hi:[0,1,1]
	v_mov_b32_e32 v30, v126
	v_pk_fma_f32 v[10:11], v[0:1], v[32:33], v[10:11] op_sel:[1,0,0]
	v_mov_b32_e32 v84, v3
	v_mov_b32_e32 v33, v126
	v_pk_fma_f32 v[10:11], v[2:3], v[30:31], v[10:11] op_sel_hi:[0,1,1]
	v_mov_b32_e32 v30, v131
	v_pk_fma_f32 v[28:29], v[84:85], v[32:33], v[10:11] op_sel_hi:[0,1,1]
	v_pk_fma_f32 v[10:11], v[4:5], v[30:31], v[26:27] op_sel_hi:[0,1,1]
	v_mov_b32_e32 v33, v131
	v_mov_b32_e32 v30, v115
	v_pk_fma_f32 v[10:11], v[4:5], v[32:33], v[10:11] op_sel:[1,0,0]
	v_mov_b32_e32 v33, v115
	v_pk_fma_f32 v[10:11], v[6:7], v[30:31], v[10:11] op_sel_hi:[0,1,1]
	v_mov_b32_e32 v30, v111
	v_pk_fma_f32 v[10:11], v[82:83], v[32:33], v[10:11] op_sel_hi:[0,1,1]
	v_mov_b32_e32 v33, v111
	v_pk_fma_f32 v[10:11], v[0:1], v[30:31], v[10:11] op_sel_hi:[0,1,1]
	v_mov_b32_e32 v30, v127
	v_pk_fma_f32 v[10:11], v[0:1], v[32:33], v[10:11] op_sel:[1,0,0]
	v_mov_b32_e32 v33, v127
	v_pk_fma_f32 v[10:11], v[2:3], v[30:31], v[10:11] op_sel_hi:[0,1,1]
	v_mov_b32_e32 v30, v132
	v_pk_fma_f32 v[26:27], v[84:85], v[32:33], v[10:11] op_sel_hi:[0,1,1]
	v_pk_fma_f32 v[10:11], v[4:5], v[30:31], v[24:25] op_sel_hi:[0,1,1]
	v_mov_b32_e32 v33, v132
	v_mov_b32_e32 v30, v116
	v_pk_fma_f32 v[10:11], v[4:5], v[32:33], v[10:11] op_sel:[1,0,0]
	v_mov_b32_e32 v33, v116
	v_pk_fma_f32 v[10:11], v[6:7], v[30:31], v[10:11] op_sel_hi:[0,1,1]
	v_mov_b32_e32 v30, v112
	v_pk_fma_f32 v[10:11], v[82:83], v[32:33], v[10:11] op_sel_hi:[0,1,1]
	v_mov_b32_e32 v33, v112
	v_pk_fma_f32 v[10:11], v[0:1], v[30:31], v[10:11] op_sel_hi:[0,1,1]
	v_mov_b32_e32 v30, v128
	v_pk_fma_f32 v[10:11], v[0:1], v[32:33], v[10:11] op_sel:[1,0,0]
	;; [unrolled: 16-line block ×3, first 2 shown]
	v_mov_b32_e32 v33, v129
	v_pk_fma_f32 v[0:1], v[2:3], v[30:31], v[0:1] op_sel_hi:[0,1,1]
	v_pk_fma_f32 v[22:23], v[84:85], v[32:33], v[0:1] op_sel_hi:[0,1,1]
	s_andn2_b64 exec, exec, s[10:11]
	s_cbranch_execnz .LBB124_29
; %bb.30:
	s_or_b64 exec, exec, s[10:11]
.LBB124_31:
	s_or_b64 exec, exec, s[4:5]
.LBB124_32:
	s_or_b64 exec, exec, s[8:9]
.LBB124_33:
	v_mov_b32_dpp v6, v27 row_shr:1 row_mask:0xf bank_mask:0xf
	v_add_f32_e32 v6, v27, v6
	v_mov_b32_dpp v0, v28 row_shr:1 row_mask:0xf bank_mask:0xf
	v_mov_b32_dpp v2, v29 row_shr:1 row_mask:0xf bank_mask:0xf
	v_mov_b32_dpp v7, v6 row_shr:2 row_mask:0xf bank_mask:0xf
	v_add_f32_e32 v6, v6, v7
	v_mov_b32_dpp v4, v26 row_shr:1 row_mask:0xf bank_mask:0xf
	v_add_f32_e32 v0, v28, v0
	v_mov_b32_dpp v7, v6 row_shr:4 row_mask:0xf bank_mask:0xe
	v_add_f32_e32 v6, v6, v7
	v_add_f32_e32 v2, v29, v2
	;; [unrolled: 1-line block ×3, first 2 shown]
	v_mov_b32_dpp v7, v6 row_shr:8 row_mask:0xf bank_mask:0xc
	v_add_f32_e32 v6, v6, v7
	v_mov_b32_dpp v1, v0 row_shr:2 row_mask:0xf bank_mask:0xf
	v_mov_b32_dpp v3, v2 row_shr:2 row_mask:0xf bank_mask:0xf
	v_mov_b32_dpp v7, v6 row_bcast:15 row_mask:0xa bank_mask:0xf
	v_add_f32_e32 v7, v6, v7
	v_mov_b32_dpp v6, v24 row_shr:1 row_mask:0xf bank_mask:0xf
	v_add_f32_e32 v6, v24, v6
	v_mov_b32_dpp v5, v4 row_shr:2 row_mask:0xf bank_mask:0xf
	;; [unrolled: 2-line block ×3, first 2 shown]
	v_add_f32_e32 v6, v6, v9
	v_add_f32_e32 v2, v2, v3
	v_add_f32_e32 v4, v4, v5
	v_mov_b32_dpp v9, v6 row_shr:4 row_mask:0xf bank_mask:0xe
	v_add_f32_e32 v6, v6, v9
	v_mov_b32_dpp v1, v0 row_shr:4 row_mask:0xf bank_mask:0xe
	v_mov_b32_dpp v3, v2 row_shr:4 row_mask:0xf bank_mask:0xe
	;; [unrolled: 1-line block ×3, first 2 shown]
	v_add_f32_e32 v6, v6, v9
	v_mov_b32_dpp v5, v4 row_shr:4 row_mask:0xf bank_mask:0xe
	v_add_f32_e32 v0, v0, v1
	v_mov_b32_dpp v9, v6 row_bcast:15 row_mask:0xa bank_mask:0xf
	v_add_f32_e32 v9, v6, v9
	v_mov_b32_dpp v6, v25 row_shr:1 row_mask:0xf bank_mask:0xf
	v_add_f32_e32 v6, v25, v6
	v_add_f32_e32 v2, v2, v3
	;; [unrolled: 1-line block ×3, first 2 shown]
	v_mov_b32_dpp v11, v6 row_shr:2 row_mask:0xf bank_mask:0xf
	v_add_f32_e32 v6, v6, v11
	v_mov_b32_dpp v1, v0 row_shr:8 row_mask:0xf bank_mask:0xc
	v_mov_b32_dpp v3, v2 row_shr:8 row_mask:0xf bank_mask:0xc
	;; [unrolled: 1-line block ×3, first 2 shown]
	v_add_f32_e32 v6, v6, v11
	v_mov_b32_dpp v5, v4 row_shr:8 row_mask:0xf bank_mask:0xc
	v_add_f32_e32 v0, v0, v1
	v_mov_b32_dpp v11, v6 row_shr:8 row_mask:0xf bank_mask:0xc
	v_add_f32_e32 v6, v6, v11
	v_add_f32_e32 v2, v2, v3
	;; [unrolled: 1-line block ×3, first 2 shown]
	v_mov_b32_dpp v11, v6 row_bcast:15 row_mask:0xa bank_mask:0xf
	v_add_f32_e32 v11, v6, v11
	v_mov_b32_dpp v6, v22 row_shr:1 row_mask:0xf bank_mask:0xf
	v_add_f32_e32 v6, v22, v6
	v_mov_b32_dpp v1, v0 row_bcast:15 row_mask:0xa bank_mask:0xf
	v_mov_b32_dpp v3, v2 row_bcast:15 row_mask:0xa bank_mask:0xf
	v_mov_b32_dpp v18, v6 row_shr:2 row_mask:0xf bank_mask:0xf
	v_add_f32_e32 v6, v6, v18
	v_mov_b32_dpp v5, v4 row_bcast:15 row_mask:0xa bank_mask:0xf
	v_add_f32_e32 v0, v0, v1
	v_mov_b32_dpp v18, v6 row_shr:4 row_mask:0xf bank_mask:0xe
	v_add_f32_e32 v6, v6, v18
	v_add_f32_e32 v2, v2, v3
	;; [unrolled: 1-line block ×3, first 2 shown]
	v_mov_b32_dpp v18, v6 row_shr:8 row_mask:0xf bank_mask:0xc
	v_add_f32_e32 v6, v6, v18
	v_mov_b32_dpp v1, v0 row_bcast:31 row_mask:0xc bank_mask:0xf
	v_mov_b32_dpp v3, v2 row_bcast:31 row_mask:0xc bank_mask:0xf
	;; [unrolled: 1-line block ×3, first 2 shown]
	v_add_f32_e32 v21, v6, v18
	v_mov_b32_dpp v6, v23 row_shr:1 row_mask:0xf bank_mask:0xf
	v_add_f32_e32 v6, v23, v6
	v_mov_b32_dpp v5, v4 row_bcast:31 row_mask:0xc bank_mask:0xf
	v_mov_b32_dpp v8, v7 row_bcast:31 row_mask:0xc bank_mask:0xf
	v_mov_b32_dpp v18, v6 row_shr:2 row_mask:0xf bank_mask:0xf
	v_add_f32_e32 v6, v6, v18
	v_mov_b32_dpp v10, v9 row_bcast:31 row_mask:0xc bank_mask:0xf
	v_mov_b32_dpp v19, v11 row_bcast:31 row_mask:0xc bank_mask:0xf
	v_mov_b32_dpp v18, v6 row_shr:4 row_mask:0xf bank_mask:0xe
	v_add_f32_e32 v6, v6, v18
	v_mov_b32_dpp v22, v21 row_bcast:31 row_mask:0xc bank_mask:0xf
	v_cmp_eq_u32_e32 vcc, 63, v17
	v_mov_b32_dpp v18, v6 row_shr:8 row_mask:0xf bank_mask:0xc
	v_add_f32_e32 v6, v6, v18
	s_nop 1
	v_mov_b32_dpp v18, v6 row_bcast:15 row_mask:0xa bank_mask:0xf
	v_add_f32_e32 v23, v6, v18
	s_nop 1
	v_mov_b32_dpp v24, v23 row_bcast:31 row_mask:0xc bank_mask:0xf
	s_and_b64 exec, exec, vcc
	s_cbranch_execz .LBB124_6
; %bb.34:
	s_load_dwordx2 s[0:1], s[0:1], 0x50
	v_cmp_eq_f32_e32 vcc, 0, v14
	s_xor_b64 s[2:3], s[6:7], -1
	v_add_f32_e32 v6, v0, v1
	v_add_f32_e32 v20, v2, v3
	;; [unrolled: 1-line block ×8, first 2 shown]
	s_and_b64 s[2:3], vcc, s[2:3]
	v_lshlrev_b32_e32 v16, 2, v16
	s_and_saveexec_b64 s[4:5], s[2:3]
	s_xor_b64 s[2:3], exec, s[4:5]
	s_cbranch_execz .LBB124_36
; %bb.35:
	v_xor_b32_e32 v22, 0x80000000, v13
	v_mov_b32_e32 v23, v12
	v_pk_mul_f32 v[14:15], v[20:21], v[22:23] op_sel_hi:[0,1]
	v_ashrrev_i32_e32 v17, 31, v16
	v_pk_fma_f32 v[14:15], v[12:13], v[6:7], v[14:15] op_sel_hi:[1,0,1]
	v_pk_mul_f32 v[6:7], v[18:19], v[22:23] op_sel_hi:[0,1]
	s_waitcnt lgkmcnt(0)
	v_lshl_add_u64 v[24:25], v[16:17], 3, s[0:1]
	v_pk_fma_f32 v[16:17], v[12:13], v[4:5], v[6:7] op_sel_hi:[1,0,1]
	v_pk_mul_f32 v[4:5], v[10:11], v[22:23] op_sel_hi:[0,1]
	v_pk_fma_f32 v[2:3], v[12:13], v[2:3], v[4:5] op_sel_hi:[1,0,1]
	v_pk_mul_f32 v[4:5], v[8:9], v[22:23] op_sel_hi:[0,1]
	v_pk_fma_f32 v[4:5], v[12:13], v[0:1], v[4:5] op_sel_hi:[1,0,1]
	global_store_dwordx4 v[24:25], v[14:17], off
	global_store_dwordx4 v[24:25], v[2:5], off offset:16
                                        ; implicit-def: $vgpr6
                                        ; implicit-def: $vgpr20
                                        ; implicit-def: $vgpr4
                                        ; implicit-def: $vgpr18
                                        ; implicit-def: $vgpr2
                                        ; implicit-def: $vgpr10
                                        ; implicit-def: $vgpr0
                                        ; implicit-def: $vgpr8
                                        ; implicit-def: $vgpr12_vgpr13
                                        ; implicit-def: $vgpr14_vgpr15
                                        ; implicit-def: $vgpr16
.LBB124_36:
	s_andn2_saveexec_b64 s[2:3], s[2:3]
	s_cbranch_execz .LBB124_6
; %bb.37:
	v_ashrrev_i32_e32 v17, 31, v16
	s_waitcnt lgkmcnt(0)
	v_lshl_add_u64 v[16:17], v[16:17], 3, s[0:1]
	global_load_dwordx4 v[22:25], v[16:17], off
	global_load_dwordx4 v[26:29], v[16:17], off offset:16
	v_xor_b32_e32 v30, 0x80000000, v13
	v_mov_b32_e32 v31, v12
	v_pk_mul_f32 v[20:21], v[20:21], v[30:31] op_sel_hi:[0,1]
	v_pk_mul_f32 v[18:19], v[18:19], v[30:31] op_sel_hi:[0,1]
	;; [unrolled: 1-line block ×4, first 2 shown]
	v_pk_fma_f32 v[6:7], v[12:13], v[6:7], v[20:21] op_sel_hi:[1,0,1]
	v_pk_fma_f32 v[4:5], v[12:13], v[4:5], v[18:19] op_sel_hi:[1,0,1]
	v_xor_b32_e32 v32, 0x80000000, v15
	v_mov_b32_e32 v33, v14
	v_pk_fma_f32 v[2:3], v[12:13], v[2:3], v[10:11] op_sel_hi:[1,0,1]
	v_pk_fma_f32 v[0:1], v[12:13], v[0:1], v[8:9] op_sel_hi:[1,0,1]
	s_waitcnt vmcnt(1)
	v_pk_fma_f32 v[6:7], v[14:15], v[22:23], v[6:7] op_sel_hi:[1,0,1]
	v_pk_fma_f32 v[4:5], v[14:15], v[24:25], v[4:5] op_sel_hi:[1,0,1]
	v_mov_b32_e32 v8, v25
	s_waitcnt vmcnt(0)
	v_pk_fma_f32 v[10:11], v[14:15], v[26:27], v[2:3] op_sel_hi:[1,0,1]
	v_pk_fma_f32 v[12:13], v[14:15], v[28:29], v[0:1] op_sel_hi:[1,0,1]
	v_mov_b32_e32 v14, v29
	v_pk_fma_f32 v[0:1], v[32:33], v[22:23], v[6:7] op_sel:[0,1,0]
	v_pk_fma_f32 v[2:3], v[32:33], v[8:9], v[4:5] op_sel_hi:[1,0,1]
	v_pk_fma_f32 v[4:5], v[32:33], v[26:27], v[10:11] op_sel:[0,1,0]
	v_pk_fma_f32 v[6:7], v[32:33], v[14:15], v[12:13] op_sel_hi:[1,0,1]
	global_store_dwordx4 v[16:17], v[0:3], off
	global_store_dwordx4 v[16:17], v[4:7], off offset:16
	s_endpgm
	.section	.rodata,"a",@progbits
	.p2align	6, 0x0
	.amdhsa_kernel _ZN9rocsparseL18bsrxmvn_4x4_kernelILj128ELj64E21rocsparse_complex_numIfEiifS2_S2_EEvT3_20rocsparse_direction_NS_24const_host_device_scalarIT1_EES3_PKS3_PKT2_SC_S9_PKT4_PKT5_S7_PT6_21rocsparse_index_base_b
		.amdhsa_group_segment_fixed_size 0
		.amdhsa_private_segment_fixed_size 0
		.amdhsa_kernarg_size 96
		.amdhsa_user_sgpr_count 2
		.amdhsa_user_sgpr_dispatch_ptr 0
		.amdhsa_user_sgpr_queue_ptr 0
		.amdhsa_user_sgpr_kernarg_segment_ptr 1
		.amdhsa_user_sgpr_dispatch_id 0
		.amdhsa_user_sgpr_kernarg_preload_length 0
		.amdhsa_user_sgpr_kernarg_preload_offset 0
		.amdhsa_user_sgpr_private_segment_size 0
		.amdhsa_uses_dynamic_stack 0
		.amdhsa_enable_private_segment 0
		.amdhsa_system_sgpr_workgroup_id_x 1
		.amdhsa_system_sgpr_workgroup_id_y 0
		.amdhsa_system_sgpr_workgroup_id_z 0
		.amdhsa_system_sgpr_workgroup_info 0
		.amdhsa_system_vgpr_workitem_id 0
		.amdhsa_next_free_vgpr 134
		.amdhsa_next_free_sgpr 27
		.amdhsa_accum_offset 136
		.amdhsa_reserve_vcc 1
		.amdhsa_float_round_mode_32 0
		.amdhsa_float_round_mode_16_64 0
		.amdhsa_float_denorm_mode_32 3
		.amdhsa_float_denorm_mode_16_64 3
		.amdhsa_dx10_clamp 1
		.amdhsa_ieee_mode 1
		.amdhsa_fp16_overflow 0
		.amdhsa_tg_split 0
		.amdhsa_exception_fp_ieee_invalid_op 0
		.amdhsa_exception_fp_denorm_src 0
		.amdhsa_exception_fp_ieee_div_zero 0
		.amdhsa_exception_fp_ieee_overflow 0
		.amdhsa_exception_fp_ieee_underflow 0
		.amdhsa_exception_fp_ieee_inexact 0
		.amdhsa_exception_int_div_zero 0
	.end_amdhsa_kernel
	.section	.text._ZN9rocsparseL18bsrxmvn_4x4_kernelILj128ELj64E21rocsparse_complex_numIfEiifS2_S2_EEvT3_20rocsparse_direction_NS_24const_host_device_scalarIT1_EES3_PKS3_PKT2_SC_S9_PKT4_PKT5_S7_PT6_21rocsparse_index_base_b,"axG",@progbits,_ZN9rocsparseL18bsrxmvn_4x4_kernelILj128ELj64E21rocsparse_complex_numIfEiifS2_S2_EEvT3_20rocsparse_direction_NS_24const_host_device_scalarIT1_EES3_PKS3_PKT2_SC_S9_PKT4_PKT5_S7_PT6_21rocsparse_index_base_b,comdat
.Lfunc_end124:
	.size	_ZN9rocsparseL18bsrxmvn_4x4_kernelILj128ELj64E21rocsparse_complex_numIfEiifS2_S2_EEvT3_20rocsparse_direction_NS_24const_host_device_scalarIT1_EES3_PKS3_PKT2_SC_S9_PKT4_PKT5_S7_PT6_21rocsparse_index_base_b, .Lfunc_end124-_ZN9rocsparseL18bsrxmvn_4x4_kernelILj128ELj64E21rocsparse_complex_numIfEiifS2_S2_EEvT3_20rocsparse_direction_NS_24const_host_device_scalarIT1_EES3_PKS3_PKT2_SC_S9_PKT4_PKT5_S7_PT6_21rocsparse_index_base_b
                                        ; -- End function
	.set _ZN9rocsparseL18bsrxmvn_4x4_kernelILj128ELj64E21rocsparse_complex_numIfEiifS2_S2_EEvT3_20rocsparse_direction_NS_24const_host_device_scalarIT1_EES3_PKS3_PKT2_SC_S9_PKT4_PKT5_S7_PT6_21rocsparse_index_base_b.num_vgpr, 134
	.set _ZN9rocsparseL18bsrxmvn_4x4_kernelILj128ELj64E21rocsparse_complex_numIfEiifS2_S2_EEvT3_20rocsparse_direction_NS_24const_host_device_scalarIT1_EES3_PKS3_PKT2_SC_S9_PKT4_PKT5_S7_PT6_21rocsparse_index_base_b.num_agpr, 0
	.set _ZN9rocsparseL18bsrxmvn_4x4_kernelILj128ELj64E21rocsparse_complex_numIfEiifS2_S2_EEvT3_20rocsparse_direction_NS_24const_host_device_scalarIT1_EES3_PKS3_PKT2_SC_S9_PKT4_PKT5_S7_PT6_21rocsparse_index_base_b.numbered_sgpr, 27
	.set _ZN9rocsparseL18bsrxmvn_4x4_kernelILj128ELj64E21rocsparse_complex_numIfEiifS2_S2_EEvT3_20rocsparse_direction_NS_24const_host_device_scalarIT1_EES3_PKS3_PKT2_SC_S9_PKT4_PKT5_S7_PT6_21rocsparse_index_base_b.num_named_barrier, 0
	.set _ZN9rocsparseL18bsrxmvn_4x4_kernelILj128ELj64E21rocsparse_complex_numIfEiifS2_S2_EEvT3_20rocsparse_direction_NS_24const_host_device_scalarIT1_EES3_PKS3_PKT2_SC_S9_PKT4_PKT5_S7_PT6_21rocsparse_index_base_b.private_seg_size, 0
	.set _ZN9rocsparseL18bsrxmvn_4x4_kernelILj128ELj64E21rocsparse_complex_numIfEiifS2_S2_EEvT3_20rocsparse_direction_NS_24const_host_device_scalarIT1_EES3_PKS3_PKT2_SC_S9_PKT4_PKT5_S7_PT6_21rocsparse_index_base_b.uses_vcc, 1
	.set _ZN9rocsparseL18bsrxmvn_4x4_kernelILj128ELj64E21rocsparse_complex_numIfEiifS2_S2_EEvT3_20rocsparse_direction_NS_24const_host_device_scalarIT1_EES3_PKS3_PKT2_SC_S9_PKT4_PKT5_S7_PT6_21rocsparse_index_base_b.uses_flat_scratch, 0
	.set _ZN9rocsparseL18bsrxmvn_4x4_kernelILj128ELj64E21rocsparse_complex_numIfEiifS2_S2_EEvT3_20rocsparse_direction_NS_24const_host_device_scalarIT1_EES3_PKS3_PKT2_SC_S9_PKT4_PKT5_S7_PT6_21rocsparse_index_base_b.has_dyn_sized_stack, 0
	.set _ZN9rocsparseL18bsrxmvn_4x4_kernelILj128ELj64E21rocsparse_complex_numIfEiifS2_S2_EEvT3_20rocsparse_direction_NS_24const_host_device_scalarIT1_EES3_PKS3_PKT2_SC_S9_PKT4_PKT5_S7_PT6_21rocsparse_index_base_b.has_recursion, 0
	.set _ZN9rocsparseL18bsrxmvn_4x4_kernelILj128ELj64E21rocsparse_complex_numIfEiifS2_S2_EEvT3_20rocsparse_direction_NS_24const_host_device_scalarIT1_EES3_PKS3_PKT2_SC_S9_PKT4_PKT5_S7_PT6_21rocsparse_index_base_b.has_indirect_call, 0
	.section	.AMDGPU.csdata,"",@progbits
; Kernel info:
; codeLenInByte = 7080
; TotalNumSgprs: 33
; NumVgprs: 134
; NumAgprs: 0
; TotalNumVgprs: 134
; ScratchSize: 0
; MemoryBound: 0
; FloatMode: 240
; IeeeMode: 1
; LDSByteSize: 0 bytes/workgroup (compile time only)
; SGPRBlocks: 4
; VGPRBlocks: 16
; NumSGPRsForWavesPerEU: 33
; NumVGPRsForWavesPerEU: 134
; AccumOffset: 136
; Occupancy: 3
; WaveLimiterHint : 1
; COMPUTE_PGM_RSRC2:SCRATCH_EN: 0
; COMPUTE_PGM_RSRC2:USER_SGPR: 2
; COMPUTE_PGM_RSRC2:TRAP_HANDLER: 0
; COMPUTE_PGM_RSRC2:TGID_X_EN: 1
; COMPUTE_PGM_RSRC2:TGID_Y_EN: 0
; COMPUTE_PGM_RSRC2:TGID_Z_EN: 0
; COMPUTE_PGM_RSRC2:TIDIG_COMP_CNT: 0
; COMPUTE_PGM_RSRC3_GFX90A:ACCUM_OFFSET: 33
; COMPUTE_PGM_RSRC3_GFX90A:TG_SPLIT: 0
	.section	.text._ZN9rocsparseL18bsrxmvn_4x4_kernelILj128ELj4E21rocsparse_complex_numIfElifS2_S2_EEvT3_20rocsparse_direction_NS_24const_host_device_scalarIT1_EES3_PKS3_PKT2_SC_S9_PKT4_PKT5_S7_PT6_21rocsparse_index_base_b,"axG",@progbits,_ZN9rocsparseL18bsrxmvn_4x4_kernelILj128ELj4E21rocsparse_complex_numIfElifS2_S2_EEvT3_20rocsparse_direction_NS_24const_host_device_scalarIT1_EES3_PKS3_PKT2_SC_S9_PKT4_PKT5_S7_PT6_21rocsparse_index_base_b,comdat
	.globl	_ZN9rocsparseL18bsrxmvn_4x4_kernelILj128ELj4E21rocsparse_complex_numIfElifS2_S2_EEvT3_20rocsparse_direction_NS_24const_host_device_scalarIT1_EES3_PKS3_PKT2_SC_S9_PKT4_PKT5_S7_PT6_21rocsparse_index_base_b ; -- Begin function _ZN9rocsparseL18bsrxmvn_4x4_kernelILj128ELj4E21rocsparse_complex_numIfElifS2_S2_EEvT3_20rocsparse_direction_NS_24const_host_device_scalarIT1_EES3_PKS3_PKT2_SC_S9_PKT4_PKT5_S7_PT6_21rocsparse_index_base_b
	.p2align	8
	.type	_ZN9rocsparseL18bsrxmvn_4x4_kernelILj128ELj4E21rocsparse_complex_numIfElifS2_S2_EEvT3_20rocsparse_direction_NS_24const_host_device_scalarIT1_EES3_PKS3_PKT2_SC_S9_PKT4_PKT5_S7_PT6_21rocsparse_index_base_b,@function
_ZN9rocsparseL18bsrxmvn_4x4_kernelILj128ELj4E21rocsparse_complex_numIfElifS2_S2_EEvT3_20rocsparse_direction_NS_24const_host_device_scalarIT1_EES3_PKS3_PKT2_SC_S9_PKT4_PKT5_S7_PT6_21rocsparse_index_base_b: ; @_ZN9rocsparseL18bsrxmvn_4x4_kernelILj128ELj4E21rocsparse_complex_numIfElifS2_S2_EEvT3_20rocsparse_direction_NS_24const_host_device_scalarIT1_EES3_PKS3_PKT2_SC_S9_PKT4_PKT5_S7_PT6_21rocsparse_index_base_b
; %bb.0:
	s_load_dwordx2 s[4:5], s[0:1], 0x8
	s_load_dwordx2 s[16:17], s[0:1], 0x58
	s_add_u32 s3, s0, 8
	s_addc_u32 s8, s1, 0
	s_load_dwordx2 s[6:7], s[0:1], 0x48
	s_add_u32 s9, s0, 0x48
	s_addc_u32 s10, s1, 0
	s_waitcnt lgkmcnt(0)
	s_bitcmp1_b32 s17, 0
	s_cselect_b32 s3, s3, s4
	s_cselect_b32 s5, s8, s5
	v_mov_b32_e32 v2, s3
	s_cselect_b32 s3, s10, s7
	s_cselect_b32 s4, s9, s6
	v_mov_b32_e32 v3, s5
	v_mov_b32_e32 v4, s4
	v_mov_b32_e32 v5, s3
	flat_load_dwordx2 v[24:25], v[2:3]
	flat_load_dwordx2 v[26:27], v[4:5]
	s_waitcnt vmcnt(0) lgkmcnt(0)
	v_cmp_neq_f32_e32 vcc, 0, v24
	v_cmp_neq_f32_e64 s[4:5], 0, v25
	v_cmp_neq_f32_e64 s[8:9], 1.0, v26
	v_cmp_neq_f32_e64 s[6:7], 0, v27
	s_or_b64 s[4:5], vcc, s[4:5]
	s_or_b64 s[8:9], s[8:9], s[6:7]
	s_or_b64 s[4:5], s[4:5], s[8:9]
	s_and_saveexec_b64 s[8:9], s[4:5]
	s_cbranch_execz .LBB125_6
; %bb.1:
	s_load_dwordx2 s[8:9], s[0:1], 0x18
	s_load_dwordx2 s[4:5], s[0:1], 0x0
	v_lshrrev_b32_e32 v1, 2, v0
	v_lshl_or_b32 v28, s2, 5, v1
	s_mov_b64 s[2:3], 0
	s_waitcnt lgkmcnt(0)
	s_cmp_lg_u64 s[8:9], 0
	s_cbranch_scc0 .LBB125_7
; %bb.2:
	s_load_dword s10, s[0:1], 0x10
                                        ; implicit-def: $vgpr1
	s_waitcnt lgkmcnt(0)
	v_cmp_gt_i32_e32 vcc, s10, v28
	s_and_saveexec_b64 s[10:11], vcc
	s_xor_b64 s[10:11], exec, s[10:11]
	s_cbranch_execz .LBB125_4
; %bb.3:
	v_ashrrev_i32_e32 v29, 31, v28
	v_lshl_add_u64 v[2:3], v[28:29], 2, s[8:9]
	global_load_dword v1, v[2:3], off
	s_mov_b64 s[2:3], exec
	s_waitcnt vmcnt(0)
	v_subrev_u32_e32 v1, s16, v1
.LBB125_4:
	s_or_b64 exec, exec, s[10:11]
	s_branch .LBB125_8
.LBB125_5:
	v_cmp_gt_i32_e32 vcc, s4, v28
	s_andn2_b64 s[2:3], s[2:3], exec
	s_and_b64 s[8:9], vcc, exec
	s_or_b64 s[2:3], s[2:3], s[8:9]
	s_and_b64 exec, exec, s[2:3]
	s_cbranch_execnz .LBB125_9
.LBB125_6:
	s_endpgm
.LBB125_7:
                                        ; implicit-def: $vgpr1
	s_cbranch_execnz .LBB125_5
.LBB125_8:
	v_mov_b32_e32 v28, v1
	s_and_b64 exec, exec, s[2:3]
	s_cbranch_execz .LBB125_6
.LBB125_9:
	s_load_dwordx8 s[8:15], s[0:1], 0x20
	v_ashrrev_i32_e32 v29, 31, v28
	v_lshlrev_b64 v[2:3], 3, v[28:29]
	s_load_dwordx2 s[2:3], s[0:1], 0x40
	v_and_b32_e32 v30, 3, v0
	s_waitcnt lgkmcnt(0)
	v_lshl_add_u64 v[4:5], s[8:9], 0, v[2:3]
	s_cmp_eq_u64 s[10:11], 0
	v_lshl_add_u64 v[2:3], s[10:11], 0, v[2:3]
	global_load_dwordx2 v[16:17], v[4:5], off
	v_lshl_add_u64 v[4:5], v[4:5], 0, 8
	s_cselect_b64 vcc, -1, 0
	v_cndmask_b32_e32 v3, v3, v5, vcc
	v_cndmask_b32_e32 v2, v2, v4, vcc
	global_load_dwordx2 v[2:3], v[2:3], off
	v_mov_b32_e32 v31, 0
	s_cmp_eq_u32 s5, 1
	s_waitcnt vmcnt(1)
	v_subrev_co_u32_e32 v0, vcc, s16, v16
	s_nop 1
	v_subbrev_co_u32_e32 v1, vcc, 0, v17, vcc
	v_lshl_add_u64 v[32:33], v[0:1], 0, v[30:31]
	s_waitcnt vmcnt(0)
	v_subrev_co_u32_e32 v34, vcc, s16, v2
	v_lshlrev_b64 v[0:1], 6, v[32:33]
	s_nop 0
	v_subbrev_co_u32_e32 v35, vcc, 0, v3, vcc
	v_lshl_add_u64 v[36:37], s[14:15], 0, v[0:1]
	v_cmp_lt_i64_e64 s[4:5], v[32:33], v[34:35]
	s_cbranch_scc1 .LBB125_21
; %bb.10:
	v_mov_b32_e32 v38, v31
	v_mov_b32_e32 v41, v31
	;; [unrolled: 1-line block ×7, first 2 shown]
	s_and_saveexec_b64 s[8:9], s[4:5]
	s_cbranch_execz .LBB125_20
; %bb.11:
	v_or_b32_e32 v0, 4, v30
	v_subrev_co_u32_e32 v0, vcc, s16, v0
	v_not_b32_e32 v3, v17
	s_nop 0
	v_subb_co_u32_e64 v1, s[10:11], 0, 0, vcc
	v_lshl_add_u64 v[0:1], v[0:1], 0, v[16:17]
	v_cmp_gt_i64_e32 vcc, v[0:1], v[34:35]
	v_not_b32_e32 v2, v16
	v_mov_b32_e32 v43, 0
	v_cndmask_b32_e32 v1, v35, v1, vcc
	v_cndmask_b32_e32 v0, v34, v0, vcc
	v_sub_co_u32_e32 v4, vcc, s16, v30
	v_mov_b32_e32 v44, v43
	s_nop 0
	v_subb_co_u32_e64 v5, s[10:11], 0, 0, vcc
	v_lshl_add_u64 v[2:3], v[4:5], 0, v[2:3]
	v_lshl_add_u64 v[0:1], v[2:3], 0, v[0:1]
	v_and_b32_e32 v42, 12, v0
	v_cmp_ne_u64_e32 vcc, 12, v[42:43]
	v_mov_b32_e32 v42, v43
	v_mov_b32_e32 v45, v43
	;; [unrolled: 1-line block ×6, first 2 shown]
	v_mov_b64_e32 v[18:19], v[36:37]
	v_mov_b64_e32 v[20:21], v[32:33]
	s_and_saveexec_b64 s[10:11], vcc
	s_cbranch_execz .LBB125_15
; %bb.12:
	v_lshrrev_b32_e32 v2, 2, v0
	v_add_u32_e32 v2, 1, v2
	v_and_b32_e32 v2, 3, v2
	v_sub_co_u32_e32 v6, vcc, 0, v2
	v_mov_b32_e32 v3, 0
	s_nop 0
	v_subb_co_u32_e64 v7, s[18:19], 0, 0, vcc
	v_lshl_add_u64 v[4:5], v[32:33], 2, s[12:13]
	s_mov_b64 s[14:15], 0
	s_mov_b64 s[18:19], 0x100
	v_bfrev_b32_e32 v8, 1
	v_mov_b64_e32 v[20:21], v[32:33]
	v_mov_b64_e32 v[18:19], v[36:37]
	v_mov_b32_e32 v42, v3
	v_mov_b32_e32 v43, v3
	;; [unrolled: 1-line block ×8, first 2 shown]
.LBB125_13:                             ; =>This Inner Loop Header: Depth=1
	global_load_dword v2, v[4:5], off
	global_load_dwordx4 v[52:55], v[18:19], off offset:16
	global_load_dwordx4 v[56:59], v[18:19], off
	v_lshl_add_u64 v[6:7], v[6:7], 0, 1
	v_cmp_eq_u64_e32 vcc, 0, v[6:7]
	v_lshl_add_u64 v[20:21], v[20:21], 0, 4
	v_lshl_add_u64 v[4:5], v[4:5], 0, 16
	s_or_b64 s[14:15], vcc, s[14:15]
	s_waitcnt vmcnt(2)
	v_subrev_u32_e32 v2, s16, v2
	v_lshlrev_b32_e32 v10, 2, v2
	v_ashrrev_i32_e32 v11, 31, v10
	v_lshl_add_u64 v[14:15], v[10:11], 3, s[2:3]
	global_load_dwordx4 v[10:13], v[14:15], off
	global_load_dwordx4 v[46:49], v[14:15], off offset:16
	global_load_dwordx4 v[60:63], v[18:19], off offset:32
	global_load_dwordx4 v[64:67], v[18:19], off offset:48
	s_waitcnt vmcnt(4)
	v_mov_b32_e32 v2, v56
	v_mov_b32_e32 v9, v56
	v_lshl_add_u64 v[18:19], v[18:19], 0, s[18:19]
	s_waitcnt vmcnt(3)
	v_pk_fma_f32 v[14:15], v[10:11], v[2:3], v[38:39] op_sel_hi:[0,1,1]
	v_mov_b32_e32 v2, v57
	v_pk_fma_f32 v[14:15], v[10:11], v[8:9], v[14:15] op_sel:[1,0,0]
	v_mov_b32_e32 v22, v13
	v_mov_b32_e32 v9, v57
	v_pk_fma_f32 v[14:15], v[12:13], v[2:3], v[14:15] op_sel_hi:[0,1,1]
	v_mov_b32_e32 v2, v58
	v_pk_fma_f32 v[14:15], v[22:23], v[8:9], v[14:15] op_sel_hi:[0,1,1]
	v_mov_b32_e32 v9, v58
	s_waitcnt vmcnt(2)
	v_pk_fma_f32 v[14:15], v[46:47], v[2:3], v[14:15] op_sel_hi:[0,1,1]
	v_mov_b32_e32 v2, v59
	v_pk_fma_f32 v[14:15], v[46:47], v[8:9], v[14:15] op_sel:[1,0,0]
	v_mov_b32_e32 v50, v49
	v_mov_b32_e32 v9, v59
	v_pk_fma_f32 v[14:15], v[48:49], v[2:3], v[14:15] op_sel_hi:[0,1,1]
	v_mov_b32_e32 v2, v52
	v_pk_fma_f32 v[38:39], v[50:51], v[8:9], v[14:15] op_sel_hi:[0,1,1]
	v_pk_fma_f32 v[14:15], v[10:11], v[2:3], v[40:41] op_sel_hi:[0,1,1]
	v_mov_b32_e32 v9, v52
	v_mov_b32_e32 v2, v53
	v_pk_fma_f32 v[14:15], v[10:11], v[8:9], v[14:15] op_sel:[1,0,0]
	v_mov_b32_e32 v9, v53
	v_pk_fma_f32 v[14:15], v[12:13], v[2:3], v[14:15] op_sel_hi:[0,1,1]
	v_mov_b32_e32 v2, v54
	v_pk_fma_f32 v[14:15], v[22:23], v[8:9], v[14:15] op_sel_hi:[0,1,1]
	;; [unrolled: 2-line block ×3, first 2 shown]
	v_mov_b32_e32 v2, v55
	v_pk_fma_f32 v[14:15], v[46:47], v[8:9], v[14:15] op_sel:[1,0,0]
	v_mov_b32_e32 v9, v55
	v_pk_fma_f32 v[14:15], v[48:49], v[2:3], v[14:15] op_sel_hi:[0,1,1]
	s_waitcnt vmcnt(1)
	v_mov_b32_e32 v2, v60
	v_pk_fma_f32 v[40:41], v[50:51], v[8:9], v[14:15] op_sel_hi:[0,1,1]
	v_pk_fma_f32 v[14:15], v[10:11], v[2:3], v[44:45] op_sel_hi:[0,1,1]
	v_mov_b32_e32 v9, v60
	v_mov_b32_e32 v2, v61
	v_pk_fma_f32 v[14:15], v[10:11], v[8:9], v[14:15] op_sel:[1,0,0]
	v_mov_b32_e32 v9, v61
	v_pk_fma_f32 v[14:15], v[12:13], v[2:3], v[14:15] op_sel_hi:[0,1,1]
	v_mov_b32_e32 v2, v62
	v_pk_fma_f32 v[14:15], v[22:23], v[8:9], v[14:15] op_sel_hi:[0,1,1]
	;; [unrolled: 2-line block ×3, first 2 shown]
	v_mov_b32_e32 v2, v63
	v_pk_fma_f32 v[14:15], v[46:47], v[8:9], v[14:15] op_sel:[1,0,0]
	v_mov_b32_e32 v9, v63
	v_pk_fma_f32 v[14:15], v[48:49], v[2:3], v[14:15] op_sel_hi:[0,1,1]
	s_waitcnt vmcnt(0)
	v_mov_b32_e32 v2, v64
	v_pk_fma_f32 v[44:45], v[50:51], v[8:9], v[14:15] op_sel_hi:[0,1,1]
	v_pk_fma_f32 v[14:15], v[10:11], v[2:3], v[42:43] op_sel_hi:[0,1,1]
	v_mov_b32_e32 v9, v64
	v_mov_b32_e32 v2, v65
	v_pk_fma_f32 v[10:11], v[10:11], v[8:9], v[14:15] op_sel:[1,0,0]
	v_mov_b32_e32 v9, v65
	v_pk_fma_f32 v[10:11], v[12:13], v[2:3], v[10:11] op_sel_hi:[0,1,1]
	v_mov_b32_e32 v2, v66
	v_pk_fma_f32 v[10:11], v[22:23], v[8:9], v[10:11] op_sel_hi:[0,1,1]
	;; [unrolled: 2-line block ×3, first 2 shown]
	v_mov_b32_e32 v2, v67
	v_pk_fma_f32 v[10:11], v[46:47], v[8:9], v[10:11] op_sel:[1,0,0]
	v_mov_b32_e32 v9, v67
	v_pk_fma_f32 v[10:11], v[48:49], v[2:3], v[10:11] op_sel_hi:[0,1,1]
	v_pk_fma_f32 v[42:43], v[50:51], v[8:9], v[10:11] op_sel_hi:[0,1,1]
	s_andn2_b64 exec, exec, s[14:15]
	s_cbranch_execnz .LBB125_13
; %bb.14:
	s_or_b64 exec, exec, s[14:15]
.LBB125_15:
	s_or_b64 exec, exec, s[10:11]
	v_cmp_lt_u64_e32 vcc, 11, v[0:1]
	s_and_saveexec_b64 s[10:11], vcc
	s_cbranch_execz .LBB125_19
; %bb.16:
	v_lshl_add_u64 v[0:1], v[20:21], 2, s[12:13]
	v_lshl_add_u64 v[22:23], v[0:1], 0, 32
	s_mov_b64 s[14:15], 0
	v_mov_b32_e32 v47, 0
	s_mov_b64 s[18:19], 0x400
	v_bfrev_b32_e32 v48, 1
.LBB125_17:                             ; =>This Inner Loop Header: Depth=1
	global_load_dword v0, v[22:23], off offset:-32
	v_lshl_add_u64 v[20:21], v[20:21], 0, 16
	v_cmp_ge_i64_e32 vcc, v[20:21], v[34:35]
	s_or_b64 s[14:15], vcc, s[14:15]
	s_waitcnt vmcnt(0)
	v_subrev_u32_e32 v0, s16, v0
	v_lshlrev_b32_e32 v0, 2, v0
	v_ashrrev_i32_e32 v1, 31, v0
	v_lshl_add_u64 v[0:1], v[0:1], 3, s[2:3]
	global_load_dwordx4 v[8:11], v[0:1], off offset:16
	global_load_dwordx4 v[12:15], v[0:1], off
	global_load_dword v2, v[22:23], off offset:-16
	global_load_dwordx4 v[50:53], v[18:19], off offset:304
	global_load_dwordx4 v[68:71], v[18:19], off offset:288
	global_load_dwordx4 v[72:75], v[18:19], off offset:272
	global_load_dwordx4 v[62:65], v[18:19], off offset:256
	s_waitcnt vmcnt(6)
	v_mov_b32_e32 v56, v11
	s_waitcnt vmcnt(4)
	v_subrev_u32_e32 v0, s16, v2
	v_lshlrev_b32_e32 v0, 2, v0
	v_ashrrev_i32_e32 v1, 31, v0
	v_lshl_add_u64 v[54:55], v[0:1], 3, s[2:3]
	global_load_dwordx4 v[0:3], v[54:55], off offset:16
	global_load_dwordx4 v[4:7], v[54:55], off
	global_load_dwordx4 v[58:61], v[18:19], off offset:48
	global_load_dwordx4 v[76:79], v[18:19], off offset:32
	;; [unrolled: 1-line block ×3, first 2 shown]
	global_load_dwordx4 v[84:87], v[18:19], off
	v_mov_b32_e32 v54, v15
	s_waitcnt vmcnt(0)
	v_mov_b32_e32 v46, v84
	v_pk_fma_f32 v[38:39], v[12:13], v[46:47], v[38:39] op_sel_hi:[0,1,1]
	v_mov_b32_e32 v49, v84
	v_pk_fma_f32 v[38:39], v[12:13], v[48:49], v[38:39] op_sel:[1,0,0]
	v_mov_b32_e32 v46, v85
	v_pk_fma_f32 v[38:39], v[14:15], v[46:47], v[38:39] op_sel_hi:[0,1,1]
	v_mov_b32_e32 v49, v85
	v_pk_fma_f32 v[38:39], v[54:55], v[48:49], v[38:39] op_sel_hi:[0,1,1]
	v_mov_b32_e32 v46, v86
	v_pk_fma_f32 v[38:39], v[8:9], v[46:47], v[38:39] op_sel_hi:[0,1,1]
	v_mov_b32_e32 v49, v86
	v_pk_fma_f32 v[38:39], v[8:9], v[48:49], v[38:39] op_sel:[1,0,0]
	v_mov_b32_e32 v46, v87
	v_pk_fma_f32 v[38:39], v[10:11], v[46:47], v[38:39] op_sel_hi:[0,1,1]
	v_mov_b32_e32 v49, v87
	v_pk_fma_f32 v[38:39], v[56:57], v[48:49], v[38:39] op_sel_hi:[0,1,1]
	v_mov_b32_e32 v46, v62
	v_pk_fma_f32 v[38:39], v[4:5], v[46:47], v[38:39] op_sel_hi:[0,1,1]
	v_mov_b32_e32 v49, v62
	v_mov_b32_e32 v46, v80
	v_pk_fma_f32 v[38:39], v[4:5], v[48:49], v[38:39] op_sel:[1,0,0]
	v_pk_fma_f32 v[40:41], v[12:13], v[46:47], v[40:41] op_sel_hi:[0,1,1]
	v_mov_b32_e32 v49, v80
	v_pk_fma_f32 v[40:41], v[12:13], v[48:49], v[40:41] op_sel:[1,0,0]
	v_mov_b32_e32 v46, v81
	v_pk_fma_f32 v[40:41], v[14:15], v[46:47], v[40:41] op_sel_hi:[0,1,1]
	v_mov_b32_e32 v49, v81
	v_pk_fma_f32 v[40:41], v[54:55], v[48:49], v[40:41] op_sel_hi:[0,1,1]
	v_mov_b32_e32 v46, v82
	v_pk_fma_f32 v[40:41], v[8:9], v[46:47], v[40:41] op_sel_hi:[0,1,1]
	v_mov_b32_e32 v49, v82
	v_pk_fma_f32 v[40:41], v[8:9], v[48:49], v[40:41] op_sel:[1,0,0]
	v_mov_b32_e32 v46, v83
	v_pk_fma_f32 v[40:41], v[10:11], v[46:47], v[40:41] op_sel_hi:[0,1,1]
	v_mov_b32_e32 v49, v83
	v_pk_fma_f32 v[40:41], v[56:57], v[48:49], v[40:41] op_sel_hi:[0,1,1]
	v_mov_b32_e32 v46, v72
	v_pk_fma_f32 v[40:41], v[4:5], v[46:47], v[40:41] op_sel_hi:[0,1,1]
	v_mov_b32_e32 v49, v72
	v_mov_b32_e32 v46, v76
	v_pk_fma_f32 v[40:41], v[4:5], v[48:49], v[40:41] op_sel:[1,0,0]
	;; [unrolled: 20-line block ×3, first 2 shown]
	v_pk_fma_f32 v[42:43], v[12:13], v[46:47], v[42:43] op_sel_hi:[0,1,1]
	v_mov_b32_e32 v49, v58
	v_pk_fma_f32 v[12:13], v[12:13], v[48:49], v[42:43] op_sel:[1,0,0]
	v_mov_b32_e32 v46, v59
	v_pk_fma_f32 v[12:13], v[14:15], v[46:47], v[12:13] op_sel_hi:[0,1,1]
	v_mov_b32_e32 v49, v59
	v_pk_fma_f32 v[12:13], v[54:55], v[48:49], v[12:13] op_sel_hi:[0,1,1]
	;; [unrolled: 2-line block ×3, first 2 shown]
	v_mov_b32_e32 v49, v60
	v_pk_fma_f32 v[8:9], v[8:9], v[48:49], v[12:13] op_sel:[1,0,0]
	v_mov_b32_e32 v46, v61
	v_pk_fma_f32 v[8:9], v[10:11], v[46:47], v[8:9] op_sel_hi:[0,1,1]
	v_mov_b32_e32 v49, v61
	v_pk_fma_f32 v[8:9], v[56:57], v[48:49], v[8:9] op_sel_hi:[0,1,1]
	;; [unrolled: 2-line block ×3, first 2 shown]
	v_mov_b32_e32 v49, v50
	v_pk_fma_f32 v[4:5], v[4:5], v[48:49], v[8:9] op_sel:[1,0,0]
	global_load_dword v8, v[22:23], off
	v_mov_b32_e32 v46, v63
	v_pk_fma_f32 v[38:39], v[6:7], v[46:47], v[38:39] op_sel_hi:[0,1,1]
	v_mov_b32_e32 v49, v63
	v_mov_b32_e32 v46, v64
	;; [unrolled: 1-line block ×3, first 2 shown]
	s_waitcnt vmcnt(0)
	v_subrev_u32_e32 v8, s16, v8
	v_lshlrev_b32_e32 v8, 2, v8
	v_ashrrev_i32_e32 v9, 31, v8
	v_lshl_add_u64 v[12:13], v[8:9], 3, s[2:3]
	global_load_dwordx4 v[8:11], v[12:13], off offset:16
	global_load_dwordx4 v[54:57], v[12:13], off
	global_load_dword v14, v[22:23], off offset:16
	v_lshl_add_u64 v[22:23], v[22:23], 0, 64
	s_waitcnt vmcnt(1)
	v_mov_b32_e32 v62, v57
	s_waitcnt vmcnt(0)
	v_subrev_u32_e32 v12, s16, v14
	v_lshlrev_b32_e32 v12, 2, v12
	v_ashrrev_i32_e32 v13, 31, v12
	v_lshl_add_u64 v[42:43], v[12:13], 3, s[2:3]
	global_load_dwordx4 v[12:15], v[42:43], off offset:16
	global_load_dwordx4 v[58:61], v[42:43], off
	global_load_dwordx4 v[76:79], v[18:19], off offset:560
	global_load_dwordx4 v[80:83], v[18:19], off offset:544
	;; [unrolled: 1-line block ×4, first 2 shown]
	v_mov_b32_e32 v42, v7
	v_pk_fma_f32 v[38:39], v[42:43], v[48:49], v[38:39] op_sel_hi:[0,1,1]
	v_pk_fma_f32 v[38:39], v[0:1], v[46:47], v[38:39] op_sel_hi:[0,1,1]
	v_mov_b32_e32 v49, v64
	v_pk_fma_f32 v[38:39], v[0:1], v[48:49], v[38:39] op_sel:[1,0,0]
	v_mov_b32_e32 v46, v65
	v_pk_fma_f32 v[38:39], v[2:3], v[46:47], v[38:39] op_sel_hi:[0,1,1]
	v_mov_b32_e32 v49, v65
	v_pk_fma_f32 v[38:39], v[50:51], v[48:49], v[38:39] op_sel_hi:[0,1,1]
	v_mov_b32_e32 v64, v11
	s_waitcnt vmcnt(5)
	v_mov_b32_e32 v68, v15
	s_waitcnt vmcnt(4)
	;; [unrolled: 2-line block ×3, first 2 shown]
	v_mov_b32_e32 v46, v88
	v_pk_fma_f32 v[38:39], v[54:55], v[46:47], v[38:39] op_sel_hi:[0,1,1]
	v_mov_b32_e32 v49, v88
	v_pk_fma_f32 v[38:39], v[54:55], v[48:49], v[38:39] op_sel:[1,0,0]
	v_mov_b32_e32 v46, v89
	v_pk_fma_f32 v[38:39], v[56:57], v[46:47], v[38:39] op_sel_hi:[0,1,1]
	v_mov_b32_e32 v49, v89
	v_pk_fma_f32 v[38:39], v[62:63], v[48:49], v[38:39] op_sel_hi:[0,1,1]
	;; [unrolled: 2-line block ×3, first 2 shown]
	v_mov_b32_e32 v49, v90
	v_pk_fma_f32 v[38:39], v[8:9], v[48:49], v[38:39] op_sel:[1,0,0]
	v_mov_b32_e32 v46, v91
	v_mov_b32_e32 v49, v91
	global_load_dwordx4 v[88:91], v[18:19], off offset:816
	global_load_dwordx4 v[92:95], v[18:19], off offset:800
	;; [unrolled: 1-line block ×4, first 2 shown]
	v_pk_fma_f32 v[38:39], v[10:11], v[46:47], v[38:39] op_sel_hi:[0,1,1]
	v_pk_fma_f32 v[38:39], v[64:65], v[48:49], v[38:39] op_sel_hi:[0,1,1]
	v_lshl_add_u64 v[18:19], v[18:19], 0, s[18:19]
	s_waitcnt vmcnt(0)
	v_mov_b32_e32 v46, v100
	v_pk_fma_f32 v[38:39], v[58:59], v[46:47], v[38:39] op_sel_hi:[0,1,1]
	v_mov_b32_e32 v49, v100
	v_pk_fma_f32 v[38:39], v[58:59], v[48:49], v[38:39] op_sel:[1,0,0]
	v_mov_b32_e32 v46, v101
	v_pk_fma_f32 v[38:39], v[60:61], v[46:47], v[38:39] op_sel_hi:[0,1,1]
	v_mov_b32_e32 v49, v101
	v_pk_fma_f32 v[38:39], v[66:67], v[48:49], v[38:39] op_sel_hi:[0,1,1]
	v_mov_b32_e32 v46, v102
	v_pk_fma_f32 v[38:39], v[12:13], v[46:47], v[38:39] op_sel_hi:[0,1,1]
	v_mov_b32_e32 v49, v102
	v_pk_fma_f32 v[38:39], v[12:13], v[48:49], v[38:39] op_sel:[1,0,0]
	v_mov_b32_e32 v46, v103
	v_pk_fma_f32 v[38:39], v[14:15], v[46:47], v[38:39] op_sel_hi:[0,1,1]
	v_mov_b32_e32 v49, v103
	v_mov_b32_e32 v46, v73
	v_pk_fma_f32 v[38:39], v[68:69], v[48:49], v[38:39] op_sel_hi:[0,1,1]
	v_pk_fma_f32 v[40:41], v[6:7], v[46:47], v[40:41] op_sel_hi:[0,1,1]
	v_mov_b32_e32 v49, v73
	v_pk_fma_f32 v[40:41], v[42:43], v[48:49], v[40:41] op_sel_hi:[0,1,1]
	v_mov_b32_e32 v46, v74
	v_pk_fma_f32 v[40:41], v[0:1], v[46:47], v[40:41] op_sel_hi:[0,1,1]
	v_mov_b32_e32 v49, v74
	v_pk_fma_f32 v[40:41], v[0:1], v[48:49], v[40:41] op_sel:[1,0,0]
	v_mov_b32_e32 v46, v75
	v_pk_fma_f32 v[40:41], v[2:3], v[46:47], v[40:41] op_sel_hi:[0,1,1]
	v_mov_b32_e32 v49, v75
	v_pk_fma_f32 v[40:41], v[50:51], v[48:49], v[40:41] op_sel_hi:[0,1,1]
	v_mov_b32_e32 v46, v84
	v_pk_fma_f32 v[40:41], v[54:55], v[46:47], v[40:41] op_sel_hi:[0,1,1]
	v_mov_b32_e32 v49, v84
	v_pk_fma_f32 v[40:41], v[54:55], v[48:49], v[40:41] op_sel:[1,0,0]
	v_mov_b32_e32 v46, v85
	v_pk_fma_f32 v[40:41], v[56:57], v[46:47], v[40:41] op_sel_hi:[0,1,1]
	v_mov_b32_e32 v49, v85
	v_pk_fma_f32 v[40:41], v[62:63], v[48:49], v[40:41] op_sel_hi:[0,1,1]
	v_mov_b32_e32 v46, v86
	v_pk_fma_f32 v[40:41], v[46:47], v[8:9], v[40:41] op_sel_hi:[1,0,1]
	v_mov_b32_e32 v49, v86
	v_pk_fma_f32 v[40:41], v[8:9], v[48:49], v[40:41] op_sel:[1,0,0]
	v_mov_b32_e32 v46, v87
	v_pk_fma_f32 v[40:41], v[10:11], v[46:47], v[40:41] op_sel_hi:[0,1,1]
	v_mov_b32_e32 v49, v87
	v_pk_fma_f32 v[40:41], v[64:65], v[48:49], v[40:41] op_sel_hi:[0,1,1]
	v_mov_b32_e32 v46, v96
	v_pk_fma_f32 v[40:41], v[58:59], v[46:47], v[40:41] op_sel_hi:[0,1,1]
	v_mov_b32_e32 v49, v96
	v_pk_fma_f32 v[40:41], v[58:59], v[48:49], v[40:41] op_sel:[1,0,0]
	v_mov_b32_e32 v46, v97
	v_pk_fma_f32 v[40:41], v[60:61], v[46:47], v[40:41] op_sel_hi:[0,1,1]
	v_mov_b32_e32 v49, v97
	v_pk_fma_f32 v[40:41], v[66:67], v[48:49], v[40:41] op_sel_hi:[0,1,1]
	v_mov_b32_e32 v46, v98
	v_pk_fma_f32 v[40:41], v[12:13], v[46:47], v[40:41] op_sel_hi:[0,1,1]
	v_mov_b32_e32 v49, v98
	v_pk_fma_f32 v[40:41], v[12:13], v[48:49], v[40:41] op_sel:[1,0,0]
	v_mov_b32_e32 v46, v99
	v_pk_fma_f32 v[40:41], v[14:15], v[46:47], v[40:41] op_sel_hi:[0,1,1]
	v_mov_b32_e32 v49, v99
	v_mov_b32_e32 v46, v69
	v_pk_fma_f32 v[40:41], v[68:69], v[48:49], v[40:41] op_sel_hi:[0,1,1]
	v_pk_fma_f32 v[44:45], v[6:7], v[46:47], v[44:45] op_sel_hi:[0,1,1]
	v_mov_b32_e32 v49, v69
	v_pk_fma_f32 v[44:45], v[42:43], v[48:49], v[44:45] op_sel_hi:[0,1,1]
	v_mov_b32_e32 v46, v70
	v_pk_fma_f32 v[44:45], v[0:1], v[46:47], v[44:45] op_sel_hi:[0,1,1]
	v_mov_b32_e32 v49, v70
	v_pk_fma_f32 v[44:45], v[0:1], v[48:49], v[44:45] op_sel:[1,0,0]
	v_mov_b32_e32 v46, v71
	v_pk_fma_f32 v[44:45], v[2:3], v[46:47], v[44:45] op_sel_hi:[0,1,1]
	v_mov_b32_e32 v49, v71
	v_pk_fma_f32 v[44:45], v[50:51], v[48:49], v[44:45] op_sel_hi:[0,1,1]
	v_mov_b32_e32 v46, v80
	v_pk_fma_f32 v[44:45], v[54:55], v[46:47], v[44:45] op_sel_hi:[0,1,1]
	v_mov_b32_e32 v49, v80
	v_pk_fma_f32 v[44:45], v[54:55], v[48:49], v[44:45] op_sel:[1,0,0]
	v_mov_b32_e32 v46, v81
	v_pk_fma_f32 v[44:45], v[56:57], v[46:47], v[44:45] op_sel_hi:[0,1,1]
	v_mov_b32_e32 v49, v81
	v_pk_fma_f32 v[44:45], v[62:63], v[48:49], v[44:45] op_sel_hi:[0,1,1]
	v_mov_b32_e32 v46, v82
	v_pk_fma_f32 v[44:45], v[46:47], v[8:9], v[44:45] op_sel_hi:[1,0,1]
	v_mov_b32_e32 v49, v82
	v_pk_fma_f32 v[44:45], v[8:9], v[48:49], v[44:45] op_sel:[1,0,0]
	v_mov_b32_e32 v46, v83
	v_pk_fma_f32 v[44:45], v[10:11], v[46:47], v[44:45] op_sel_hi:[0,1,1]
	v_mov_b32_e32 v49, v83
	v_pk_fma_f32 v[44:45], v[64:65], v[48:49], v[44:45] op_sel_hi:[0,1,1]
	;; [unrolled: 44-line block ×3, first 2 shown]
	v_mov_b32_e32 v46, v88
	v_pk_fma_f32 v[0:1], v[58:59], v[46:47], v[0:1] op_sel_hi:[0,1,1]
	v_mov_b32_e32 v49, v88
	v_pk_fma_f32 v[0:1], v[58:59], v[48:49], v[0:1] op_sel:[1,0,0]
	v_mov_b32_e32 v46, v89
	v_pk_fma_f32 v[0:1], v[60:61], v[46:47], v[0:1] op_sel_hi:[0,1,1]
	v_mov_b32_e32 v49, v89
	v_pk_fma_f32 v[0:1], v[66:67], v[48:49], v[0:1] op_sel_hi:[0,1,1]
	;; [unrolled: 2-line block ×3, first 2 shown]
	v_mov_b32_e32 v49, v90
	v_pk_fma_f32 v[0:1], v[12:13], v[48:49], v[0:1] op_sel:[1,0,0]
	v_mov_b32_e32 v46, v91
	v_pk_fma_f32 v[0:1], v[14:15], v[46:47], v[0:1] op_sel_hi:[0,1,1]
	v_mov_b32_e32 v49, v91
	v_pk_fma_f32 v[42:43], v[68:69], v[48:49], v[0:1] op_sel_hi:[0,1,1]
	s_andn2_b64 exec, exec, s[14:15]
	s_cbranch_execnz .LBB125_17
; %bb.18:
	s_or_b64 exec, exec, s[14:15]
.LBB125_19:
	s_or_b64 exec, exec, s[10:11]
	v_mov_b32_e32 v31, v39
.LBB125_20:
	s_or_b64 exec, exec, s[8:9]
	s_cbranch_execz .LBB125_22
	s_branch .LBB125_33
.LBB125_21:
                                        ; implicit-def: $vgpr38
                                        ; implicit-def: $vgpr41
                                        ; implicit-def: $vgpr45
                                        ; implicit-def: $vgpr43
.LBB125_22:
	v_mov_b32_e32 v31, 0
	v_mov_b32_e32 v38, 0
	;; [unrolled: 1-line block ×8, first 2 shown]
	s_and_saveexec_b64 s[8:9], s[4:5]
	s_cbranch_execz .LBB125_32
; %bb.23:
	v_or_b32_e32 v0, 4, v30
	v_subrev_co_u32_e32 v0, vcc, s16, v0
	v_not_b32_e32 v3, v17
	s_nop 0
	v_subb_co_u32_e64 v1, s[4:5], 0, 0, vcc
	v_lshl_add_u64 v[0:1], v[0:1], 0, v[16:17]
	v_cmp_gt_i64_e32 vcc, v[0:1], v[34:35]
	v_not_b32_e32 v2, v16
	v_mov_b32_e32 v43, 0
	v_cndmask_b32_e32 v1, v35, v1, vcc
	v_cndmask_b32_e32 v0, v34, v0, vcc
	v_sub_co_u32_e32 v4, vcc, s16, v30
	v_mov_b32_e32 v44, v43
	s_nop 0
	v_subb_co_u32_e64 v5, s[4:5], 0, 0, vcc
	v_lshl_add_u64 v[2:3], v[4:5], 0, v[2:3]
	v_lshl_add_u64 v[0:1], v[2:3], 0, v[0:1]
	v_and_b32_e32 v42, 12, v0
	v_cmp_ne_u64_e32 vcc, 12, v[42:43]
	v_mov_b32_e32 v42, v43
	v_mov_b32_e32 v45, v43
	;; [unrolled: 1-line block ×6, first 2 shown]
	s_and_saveexec_b64 s[4:5], vcc
	s_cbranch_execz .LBB125_27
; %bb.24:
	v_lshrrev_b32_e32 v2, 2, v0
	v_add_u32_e32 v2, 1, v2
	v_and_b32_e32 v2, 3, v2
	v_sub_co_u32_e32 v6, vcc, 0, v2
	v_mov_b32_e32 v3, 0
	s_nop 0
	v_subb_co_u32_e64 v7, s[14:15], 0, 0, vcc
	v_lshl_add_u64 v[4:5], v[32:33], 2, s[12:13]
	s_mov_b64 s[10:11], 0
	s_mov_b64 s[14:15], 0x100
	v_bfrev_b32_e32 v8, 1
	v_mov_b32_e32 v42, v3
	v_mov_b32_e32 v43, v3
	v_mov_b32_e32 v44, v3
	v_mov_b32_e32 v45, v3
	v_mov_b32_e32 v40, v3
	v_mov_b32_e32 v41, v3
	v_mov_b32_e32 v38, v3
	v_mov_b32_e32 v39, v3
.LBB125_25:                             ; =>This Inner Loop Header: Depth=1
	global_load_dword v2, v[4:5], off
	global_load_dwordx4 v[46:49], v[36:37], off offset:32
	global_load_dwordx4 v[50:53], v[36:37], off offset:16
	global_load_dwordx4 v[54:57], v[36:37], off
	v_lshl_add_u64 v[6:7], v[6:7], 0, 1
	v_cmp_eq_u64_e32 vcc, 0, v[6:7]
	v_lshl_add_u64 v[32:33], v[32:33], 0, 4
	v_lshl_add_u64 v[4:5], v[4:5], 0, 16
	s_or_b64 s[10:11], vcc, s[10:11]
	s_waitcnt vmcnt(3)
	v_subrev_u32_e32 v2, s16, v2
	v_lshlrev_b32_e32 v10, 2, v2
	v_ashrrev_i32_e32 v11, 31, v10
	v_lshl_add_u64 v[18:19], v[10:11], 3, s[2:3]
	global_load_dwordx4 v[10:13], v[18:19], off
	global_load_dwordx4 v[14:17], v[18:19], off offset:16
	global_load_dwordx4 v[58:61], v[36:37], off offset:48
	s_waitcnt vmcnt(3)
	v_mov_b32_e32 v2, v54
	v_mov_b32_e32 v9, v54
	v_lshl_add_u64 v[36:37], v[36:37], 0, s[14:15]
	s_waitcnt vmcnt(2)
	v_pk_fma_f32 v[18:19], v[10:11], v[2:3], v[38:39] op_sel_hi:[0,1,1]
	v_mov_b32_e32 v2, v50
	v_pk_fma_f32 v[18:19], v[10:11], v[8:9], v[18:19] op_sel:[1,0,0]
	v_mov_b32_e32 v20, v13
	v_mov_b32_e32 v9, v50
	v_pk_fma_f32 v[18:19], v[12:13], v[2:3], v[18:19] op_sel_hi:[0,1,1]
	v_mov_b32_e32 v2, v46
	v_pk_fma_f32 v[18:19], v[20:21], v[8:9], v[18:19] op_sel_hi:[0,1,1]
	v_mov_b32_e32 v9, v46
	s_waitcnt vmcnt(1)
	v_pk_fma_f32 v[18:19], v[14:15], v[2:3], v[18:19] op_sel_hi:[0,1,1]
	s_waitcnt vmcnt(0)
	v_mov_b32_e32 v2, v58
	v_pk_fma_f32 v[18:19], v[14:15], v[8:9], v[18:19] op_sel:[1,0,0]
	v_mov_b32_e32 v22, v17
	v_mov_b32_e32 v9, v58
	v_pk_fma_f32 v[18:19], v[16:17], v[2:3], v[18:19] op_sel_hi:[0,1,1]
	v_mov_b32_e32 v2, v55
	v_pk_fma_f32 v[38:39], v[22:23], v[8:9], v[18:19] op_sel_hi:[0,1,1]
	v_pk_fma_f32 v[18:19], v[10:11], v[2:3], v[40:41] op_sel_hi:[0,1,1]
	v_mov_b32_e32 v9, v55
	v_mov_b32_e32 v2, v51
	v_pk_fma_f32 v[18:19], v[10:11], v[8:9], v[18:19] op_sel:[1,0,0]
	v_mov_b32_e32 v9, v51
	v_pk_fma_f32 v[18:19], v[12:13], v[2:3], v[18:19] op_sel_hi:[0,1,1]
	v_mov_b32_e32 v2, v47
	v_pk_fma_f32 v[18:19], v[20:21], v[8:9], v[18:19] op_sel_hi:[0,1,1]
	v_mov_b32_e32 v9, v47
	v_pk_fma_f32 v[18:19], v[14:15], v[2:3], v[18:19] op_sel_hi:[0,1,1]
	v_mov_b32_e32 v2, v59
	v_pk_fma_f32 v[18:19], v[14:15], v[8:9], v[18:19] op_sel:[1,0,0]
	v_mov_b32_e32 v9, v59
	v_pk_fma_f32 v[18:19], v[16:17], v[2:3], v[18:19] op_sel_hi:[0,1,1]
	v_mov_b32_e32 v2, v56
	v_pk_fma_f32 v[40:41], v[22:23], v[8:9], v[18:19] op_sel_hi:[0,1,1]
	v_pk_fma_f32 v[18:19], v[10:11], v[2:3], v[44:45] op_sel_hi:[0,1,1]
	v_mov_b32_e32 v9, v56
	v_mov_b32_e32 v2, v52
	v_pk_fma_f32 v[18:19], v[10:11], v[8:9], v[18:19] op_sel:[1,0,0]
	v_mov_b32_e32 v9, v52
	v_pk_fma_f32 v[18:19], v[12:13], v[2:3], v[18:19] op_sel_hi:[0,1,1]
	v_mov_b32_e32 v2, v48
	v_pk_fma_f32 v[18:19], v[20:21], v[8:9], v[18:19] op_sel_hi:[0,1,1]
	v_mov_b32_e32 v9, v48
	v_pk_fma_f32 v[18:19], v[14:15], v[2:3], v[18:19] op_sel_hi:[0,1,1]
	v_mov_b32_e32 v2, v60
	v_pk_fma_f32 v[18:19], v[14:15], v[8:9], v[18:19] op_sel:[1,0,0]
	;; [unrolled: 16-line block ×3, first 2 shown]
	v_mov_b32_e32 v9, v61
	v_pk_fma_f32 v[10:11], v[16:17], v[2:3], v[10:11] op_sel_hi:[0,1,1]
	v_pk_fma_f32 v[42:43], v[22:23], v[8:9], v[10:11] op_sel_hi:[0,1,1]
	s_andn2_b64 exec, exec, s[10:11]
	s_cbranch_execnz .LBB125_25
; %bb.26:
	s_or_b64 exec, exec, s[10:11]
.LBB125_27:
	s_or_b64 exec, exec, s[4:5]
	v_cmp_lt_u64_e32 vcc, 11, v[0:1]
	s_and_saveexec_b64 s[4:5], vcc
	s_cbranch_execz .LBB125_31
; %bb.28:
	v_lshl_add_u64 v[0:1], v[32:33], 2, s[12:13]
	v_lshl_add_u64 v[46:47], v[0:1], 0, 32
	s_mov_b64 s[10:11], 0
	v_mov_b32_e32 v49, 0
	s_mov_b64 s[12:13], 0x400
	v_bfrev_b32_e32 v50, 1
.LBB125_29:                             ; =>This Inner Loop Header: Depth=1
	global_load_dword v0, v[46:47], off offset:-32
	global_load_dword v1, v[46:47], off offset:-16
	global_load_dwordx4 v[60:63], v[36:37], off
	global_load_dword v2, v[46:47], off
	global_load_dword v3, v[46:47], off offset:16
	global_load_dwordx4 v[126:129], v[36:37], off offset:16
	global_load_dwordx4 v[108:111], v[36:37], off offset:48
	;; [unrolled: 1-line block ×15, first 2 shown]
	v_lshl_add_u64 v[32:33], v[32:33], 0, 16
	v_cmp_ge_i64_e32 vcc, v[32:33], v[34:35]
	v_lshl_add_u64 v[46:47], v[46:47], 0, 64
	v_lshl_add_u64 v[36:37], v[36:37], 0, s[12:13]
	s_or_b64 s[10:11], vcc, s[10:11]
	s_waitcnt vmcnt(19)
	v_subrev_u32_e32 v0, s16, v0
	s_waitcnt vmcnt(18)
	v_subrev_u32_e32 v1, s16, v1
	v_lshlrev_b32_e32 v0, 2, v0
	s_waitcnt vmcnt(16)
	v_subrev_u32_e32 v4, s16, v2
	s_waitcnt vmcnt(15)
	v_subrev_u32_e32 v3, s16, v3
	v_lshlrev_b32_e32 v2, 2, v1
	v_lshlrev_b32_e32 v4, 2, v4
	;; [unrolled: 1-line block ×3, first 2 shown]
	v_ashrrev_i32_e32 v1, 31, v0
	v_ashrrev_i32_e32 v3, 31, v2
	;; [unrolled: 1-line block ×4, first 2 shown]
	v_lshl_add_u64 v[0:1], v[0:1], 3, s[2:3]
	v_lshl_add_u64 v[2:3], v[2:3], 3, s[2:3]
	;; [unrolled: 1-line block ×4, first 2 shown]
	global_load_dwordx4 v[116:119], v[0:1], off
	global_load_dwordx4 v[120:123], v[0:1], off offset:16
	global_load_dwordx4 v[20:23], v[2:3], off
	global_load_dwordx4 v[16:19], v[2:3], off offset:16
	;; [unrolled: 2-line block ×3, first 2 shown]
	global_load_dwordx4 v[4:7], v[54:55], off
                                        ; kill: killed $vgpr2_vgpr3
                                        ; kill: killed $vgpr52_vgpr53
                                        ; kill: killed $vgpr0_vgpr1
	s_nop 0
	global_load_dwordx4 v[0:3], v[54:55], off offset:16
	v_mov_b32_e32 v48, v60
	v_mov_b32_e32 v51, v60
	s_waitcnt vmcnt(7)
	v_pk_fma_f32 v[56:57], v[116:117], v[48:49], v[38:39] op_sel_hi:[0,1,1]
	v_mov_b32_e32 v48, v126
	v_pk_fma_f32 v[56:57], v[116:117], v[50:51], v[56:57] op_sel:[1,0,0]
	v_mov_b32_e32 v124, v119
	v_mov_b32_e32 v51, v126
	v_pk_fma_f32 v[56:57], v[118:119], v[48:49], v[56:57] op_sel_hi:[0,1,1]
	v_mov_b32_e32 v48, v130
	v_pk_fma_f32 v[56:57], v[124:125], v[50:51], v[56:57] op_sel_hi:[0,1,1]
	v_mov_b32_e32 v51, v130
	s_waitcnt vmcnt(6)
	v_pk_fma_f32 v[56:57], v[120:121], v[48:49], v[56:57] op_sel_hi:[0,1,1]
	v_mov_b32_e32 v48, v108
	v_pk_fma_f32 v[56:57], v[120:121], v[50:51], v[56:57] op_sel:[1,0,0]
	v_mov_b32_e32 v54, v123
	v_mov_b32_e32 v51, v108
	v_pk_fma_f32 v[56:57], v[122:123], v[48:49], v[56:57] op_sel_hi:[0,1,1]
	v_mov_b32_e32 v48, v112
	v_pk_fma_f32 v[56:57], v[54:55], v[50:51], v[56:57] op_sel_hi:[0,1,1]
	v_mov_b32_e32 v51, v112
	s_waitcnt vmcnt(5)
	v_pk_fma_f32 v[56:57], v[20:21], v[48:49], v[56:57] op_sel_hi:[0,1,1]
	v_mov_b32_e32 v48, v61
	v_pk_fma_f32 v[58:59], v[20:21], v[50:51], v[56:57] op_sel:[1,0,0]
	v_pk_fma_f32 v[40:41], v[116:117], v[48:49], v[40:41] op_sel_hi:[0,1,1]
	v_mov_b32_e32 v51, v61
	v_mov_b32_e32 v48, v127
	v_pk_fma_f32 v[40:41], v[116:117], v[50:51], v[40:41] op_sel:[1,0,0]
	v_mov_b32_e32 v51, v127
	v_pk_fma_f32 v[40:41], v[118:119], v[48:49], v[40:41] op_sel_hi:[0,1,1]
	v_mov_b32_e32 v48, v131
	v_pk_fma_f32 v[40:41], v[124:125], v[50:51], v[40:41] op_sel_hi:[0,1,1]
	;; [unrolled: 2-line block ×3, first 2 shown]
	v_mov_b32_e32 v48, v109
	v_pk_fma_f32 v[40:41], v[120:121], v[50:51], v[40:41] op_sel:[1,0,0]
	v_mov_b32_e32 v51, v109
	v_pk_fma_f32 v[40:41], v[122:123], v[48:49], v[40:41] op_sel_hi:[0,1,1]
	v_mov_b32_e32 v48, v113
	v_pk_fma_f32 v[40:41], v[54:55], v[50:51], v[40:41] op_sel_hi:[0,1,1]
	;; [unrolled: 2-line block ×3, first 2 shown]
	v_mov_b32_e32 v48, v62
	v_pk_fma_f32 v[56:57], v[20:21], v[50:51], v[40:41] op_sel:[1,0,0]
	v_pk_fma_f32 v[40:41], v[116:117], v[48:49], v[44:45] op_sel_hi:[0,1,1]
	v_mov_b32_e32 v51, v62
	v_mov_b32_e32 v48, v128
	v_pk_fma_f32 v[40:41], v[116:117], v[50:51], v[40:41] op_sel:[1,0,0]
	v_mov_b32_e32 v51, v128
	v_pk_fma_f32 v[40:41], v[118:119], v[48:49], v[40:41] op_sel_hi:[0,1,1]
	v_mov_b32_e32 v48, v132
	v_pk_fma_f32 v[40:41], v[124:125], v[50:51], v[40:41] op_sel_hi:[0,1,1]
	;; [unrolled: 2-line block ×3, first 2 shown]
	v_mov_b32_e32 v48, v110
	v_pk_fma_f32 v[40:41], v[120:121], v[50:51], v[40:41] op_sel:[1,0,0]
	v_mov_b32_e32 v51, v110
	v_pk_fma_f32 v[40:41], v[122:123], v[48:49], v[40:41] op_sel_hi:[0,1,1]
	v_mov_b32_e32 v48, v114
	v_pk_fma_f32 v[40:41], v[54:55], v[50:51], v[40:41] op_sel_hi:[0,1,1]
	;; [unrolled: 2-line block ×3, first 2 shown]
	v_mov_b32_e32 v48, v63
	v_pk_fma_f32 v[40:41], v[20:21], v[50:51], v[40:41] op_sel:[1,0,0]
	v_pk_fma_f32 v[42:43], v[116:117], v[48:49], v[42:43] op_sel_hi:[0,1,1]
	v_mov_b32_e32 v51, v63
	v_mov_b32_e32 v48, v129
	v_pk_fma_f32 v[42:43], v[116:117], v[50:51], v[42:43] op_sel:[1,0,0]
	v_mov_b32_e32 v51, v129
	v_pk_fma_f32 v[42:43], v[118:119], v[48:49], v[42:43] op_sel_hi:[0,1,1]
	v_pk_fma_f32 v[62:63], v[124:125], v[50:51], v[42:43] op_sel_hi:[0,1,1]
	v_mov_b32_e32 v48, v133
	v_mov_b32_e32 v51, v133
	v_pk_fma_f32 v[62:63], v[120:121], v[48:49], v[62:63] op_sel_hi:[0,1,1]
	v_mov_b32_e32 v48, v111
	v_pk_fma_f32 v[62:63], v[120:121], v[50:51], v[62:63] op_sel:[1,0,0]
	v_mov_b32_e32 v51, v111
	v_pk_fma_f32 v[108:109], v[122:123], v[48:49], v[62:63] op_sel_hi:[0,1,1]
	v_mov_b32_e32 v48, v115
	v_pk_fma_f32 v[54:55], v[54:55], v[50:51], v[108:109] op_sel_hi:[0,1,1]
	;; [unrolled: 2-line block ×3, first 2 shown]
	v_mov_b32_e32 v48, v104
	v_mov_b32_e32 v52, v23
	v_pk_fma_f32 v[20:21], v[20:21], v[50:51], v[54:55] op_sel:[1,0,0]
	v_pk_fma_f32 v[54:55], v[22:23], v[48:49], v[58:59] op_sel_hi:[0,1,1]
	v_mov_b32_e32 v51, v104
	v_mov_b32_e32 v48, v100
	v_pk_fma_f32 v[54:55], v[52:53], v[50:51], v[54:55] op_sel_hi:[0,1,1]
	v_mov_b32_e32 v51, v100
	s_waitcnt vmcnt(4)
	v_pk_fma_f32 v[54:55], v[16:17], v[48:49], v[54:55] op_sel_hi:[0,1,1]
	v_mov_b32_e32 v48, v92
	v_pk_fma_f32 v[54:55], v[16:17], v[50:51], v[54:55] op_sel:[1,0,0]
	v_mov_b32_e32 v38, v19
	v_mov_b32_e32 v51, v92
	v_pk_fma_f32 v[54:55], v[18:19], v[48:49], v[54:55] op_sel_hi:[0,1,1]
	v_mov_b32_e32 v48, v96
	v_pk_fma_f32 v[54:55], v[38:39], v[50:51], v[54:55] op_sel_hi:[0,1,1]
	v_mov_b32_e32 v51, v96
	s_waitcnt vmcnt(3)
	v_pk_fma_f32 v[54:55], v[12:13], v[48:49], v[54:55] op_sel_hi:[0,1,1]
	v_mov_b32_e32 v48, v88
	v_pk_fma_f32 v[54:55], v[12:13], v[50:51], v[54:55] op_sel:[1,0,0]
	v_mov_b32_e32 v44, v15
	v_mov_b32_e32 v51, v88
	v_pk_fma_f32 v[54:55], v[14:15], v[48:49], v[54:55] op_sel_hi:[0,1,1]
	v_mov_b32_e32 v48, v80
	v_pk_fma_f32 v[54:55], v[44:45], v[50:51], v[54:55] op_sel_hi:[0,1,1]
	s_waitcnt vmcnt(2)
	v_pk_fma_f32 v[54:55], v[8:9], v[48:49], v[54:55] op_sel_hi:[0,1,1]
	v_mov_b32_e32 v48, v105
	v_mov_b32_e32 v51, v105
	v_pk_fma_f32 v[56:57], v[22:23], v[48:49], v[56:57] op_sel_hi:[0,1,1]
	v_mov_b32_e32 v48, v101
	v_pk_fma_f32 v[56:57], v[52:53], v[50:51], v[56:57] op_sel_hi:[0,1,1]
	v_mov_b32_e32 v51, v101
	v_pk_fma_f32 v[56:57], v[16:17], v[48:49], v[56:57] op_sel_hi:[0,1,1]
	v_mov_b32_e32 v48, v93
	v_pk_fma_f32 v[56:57], v[16:17], v[50:51], v[56:57] op_sel:[1,0,0]
	v_mov_b32_e32 v51, v93
	v_pk_fma_f32 v[56:57], v[18:19], v[48:49], v[56:57] op_sel_hi:[0,1,1]
	v_mov_b32_e32 v48, v97
	v_pk_fma_f32 v[56:57], v[38:39], v[50:51], v[56:57] op_sel_hi:[0,1,1]
	v_mov_b32_e32 v51, v97
	v_pk_fma_f32 v[56:57], v[12:13], v[48:49], v[56:57] op_sel_hi:[0,1,1]
	v_mov_b32_e32 v48, v89
	v_pk_fma_f32 v[56:57], v[12:13], v[50:51], v[56:57] op_sel:[1,0,0]
	v_mov_b32_e32 v51, v89
	v_pk_fma_f32 v[56:57], v[14:15], v[48:49], v[56:57] op_sel_hi:[0,1,1]
	v_mov_b32_e32 v48, v81
	v_pk_fma_f32 v[56:57], v[44:45], v[50:51], v[56:57] op_sel_hi:[0,1,1]
	v_pk_fma_f32 v[56:57], v[8:9], v[48:49], v[56:57] op_sel_hi:[0,1,1]
	v_mov_b32_e32 v48, v106
	v_mov_b32_e32 v51, v106
	v_pk_fma_f32 v[40:41], v[22:23], v[48:49], v[40:41] op_sel_hi:[0,1,1]
	v_mov_b32_e32 v48, v102
	v_pk_fma_f32 v[40:41], v[52:53], v[50:51], v[40:41] op_sel_hi:[0,1,1]
	v_mov_b32_e32 v51, v102
	v_pk_fma_f32 v[40:41], v[16:17], v[48:49], v[40:41] op_sel_hi:[0,1,1]
	v_mov_b32_e32 v48, v94
	v_pk_fma_f32 v[40:41], v[16:17], v[50:51], v[40:41] op_sel:[1,0,0]
	v_mov_b32_e32 v51, v94
	v_pk_fma_f32 v[40:41], v[18:19], v[48:49], v[40:41] op_sel_hi:[0,1,1]
	v_mov_b32_e32 v48, v98
	v_pk_fma_f32 v[40:41], v[38:39], v[50:51], v[40:41] op_sel_hi:[0,1,1]
	v_mov_b32_e32 v51, v98
	v_pk_fma_f32 v[40:41], v[12:13], v[48:49], v[40:41] op_sel_hi:[0,1,1]
	v_mov_b32_e32 v48, v90
	v_pk_fma_f32 v[40:41], v[12:13], v[50:51], v[40:41] op_sel:[1,0,0]
	v_mov_b32_e32 v51, v90
	v_pk_fma_f32 v[40:41], v[14:15], v[48:49], v[40:41] op_sel_hi:[0,1,1]
	v_mov_b32_e32 v48, v82
	v_pk_fma_f32 v[40:41], v[44:45], v[50:51], v[40:41] op_sel_hi:[0,1,1]
	;; [unrolled: 22-line block ×3, first 2 shown]
	v_mov_b32_e32 v51, v80
	v_pk_fma_f32 v[12:13], v[8:9], v[48:49], v[12:13] op_sel_hi:[0,1,1]
	v_pk_fma_f32 v[14:15], v[8:9], v[50:51], v[54:55] op_sel:[1,0,0]
	v_mov_b32_e32 v48, v72
	v_mov_b32_e32 v60, v11
	;; [unrolled: 1-line block ×3, first 2 shown]
	v_pk_fma_f32 v[14:15], v[10:11], v[48:49], v[14:15] op_sel_hi:[0,1,1]
	v_mov_b32_e32 v48, v84
	v_pk_fma_f32 v[14:15], v[60:61], v[50:51], v[14:15] op_sel_hi:[0,1,1]
	v_mov_b32_e32 v51, v84
	s_waitcnt vmcnt(1)
	v_pk_fma_f32 v[14:15], v[4:5], v[48:49], v[14:15] op_sel_hi:[0,1,1]
	v_mov_b32_e32 v48, v76
	v_pk_fma_f32 v[14:15], v[4:5], v[50:51], v[14:15] op_sel:[1,0,0]
	v_mov_b32_e32 v42, v7
	v_mov_b32_e32 v51, v76
	v_pk_fma_f32 v[14:15], v[6:7], v[48:49], v[14:15] op_sel_hi:[0,1,1]
	v_mov_b32_e32 v48, v68
	v_pk_fma_f32 v[14:15], v[42:43], v[50:51], v[14:15] op_sel_hi:[0,1,1]
	v_mov_b32_e32 v51, v68
	s_waitcnt vmcnt(0)
	v_pk_fma_f32 v[14:15], v[0:1], v[48:49], v[14:15] op_sel_hi:[0,1,1]
	v_mov_b32_e32 v48, v64
	v_pk_fma_f32 v[14:15], v[0:1], v[50:51], v[14:15] op_sel:[1,0,0]
	v_mov_b32_e32 v62, v3
	v_mov_b32_e32 v51, v64
	v_pk_fma_f32 v[14:15], v[2:3], v[48:49], v[14:15] op_sel_hi:[0,1,1]
	v_pk_fma_f32 v[38:39], v[62:63], v[50:51], v[14:15] op_sel_hi:[0,1,1]
	v_mov_b32_e32 v51, v81
	v_mov_b32_e32 v48, v73
	v_pk_fma_f32 v[14:15], v[8:9], v[50:51], v[56:57] op_sel:[1,0,0]
	v_mov_b32_e32 v51, v73
	v_pk_fma_f32 v[14:15], v[10:11], v[48:49], v[14:15] op_sel_hi:[0,1,1]
	v_mov_b32_e32 v48, v85
	v_pk_fma_f32 v[14:15], v[60:61], v[50:51], v[14:15] op_sel_hi:[0,1,1]
	v_mov_b32_e32 v51, v85
	v_pk_fma_f32 v[14:15], v[4:5], v[48:49], v[14:15] op_sel_hi:[0,1,1]
	v_mov_b32_e32 v48, v77
	v_pk_fma_f32 v[14:15], v[4:5], v[50:51], v[14:15] op_sel:[1,0,0]
	v_mov_b32_e32 v51, v77
	v_pk_fma_f32 v[14:15], v[6:7], v[48:49], v[14:15] op_sel_hi:[0,1,1]
	v_mov_b32_e32 v48, v69
	v_pk_fma_f32 v[14:15], v[42:43], v[50:51], v[14:15] op_sel_hi:[0,1,1]
	v_mov_b32_e32 v51, v69
	v_pk_fma_f32 v[14:15], v[0:1], v[48:49], v[14:15] op_sel_hi:[0,1,1]
	v_mov_b32_e32 v48, v65
	v_pk_fma_f32 v[14:15], v[0:1], v[50:51], v[14:15] op_sel:[1,0,0]
	v_mov_b32_e32 v51, v65
	v_pk_fma_f32 v[14:15], v[2:3], v[48:49], v[14:15] op_sel_hi:[0,1,1]
	v_pk_fma_f32 v[40:41], v[62:63], v[50:51], v[14:15] op_sel_hi:[0,1,1]
	v_mov_b32_e32 v51, v82
	v_mov_b32_e32 v48, v74
	v_pk_fma_f32 v[14:15], v[8:9], v[50:51], v[58:59] op_sel:[1,0,0]
	v_mov_b32_e32 v51, v74
	v_pk_fma_f32 v[14:15], v[10:11], v[48:49], v[14:15] op_sel_hi:[0,1,1]
	v_mov_b32_e32 v48, v86
	v_pk_fma_f32 v[14:15], v[60:61], v[50:51], v[14:15] op_sel_hi:[0,1,1]
	v_mov_b32_e32 v51, v86
	v_pk_fma_f32 v[14:15], v[4:5], v[48:49], v[14:15] op_sel_hi:[0,1,1]
	v_mov_b32_e32 v48, v78
	v_pk_fma_f32 v[14:15], v[4:5], v[50:51], v[14:15] op_sel:[1,0,0]
	v_mov_b32_e32 v51, v78
	v_pk_fma_f32 v[14:15], v[6:7], v[48:49], v[14:15] op_sel_hi:[0,1,1]
	v_mov_b32_e32 v48, v70
	v_pk_fma_f32 v[14:15], v[42:43], v[50:51], v[14:15] op_sel_hi:[0,1,1]
	v_mov_b32_e32 v51, v70
	v_pk_fma_f32 v[14:15], v[0:1], v[48:49], v[14:15] op_sel_hi:[0,1,1]
	v_mov_b32_e32 v48, v66
	v_pk_fma_f32 v[14:15], v[0:1], v[50:51], v[14:15] op_sel:[1,0,0]
	;; [unrolled: 22-line block ×3, first 2 shown]
	v_mov_b32_e32 v51, v67
	v_pk_fma_f32 v[0:1], v[2:3], v[48:49], v[0:1] op_sel_hi:[0,1,1]
	v_pk_fma_f32 v[42:43], v[62:63], v[50:51], v[0:1] op_sel_hi:[0,1,1]
	s_andn2_b64 exec, exec, s[10:11]
	s_cbranch_execnz .LBB125_29
; %bb.30:
	s_or_b64 exec, exec, s[10:11]
.LBB125_31:
	s_or_b64 exec, exec, s[4:5]
	v_mov_b32_e32 v31, v39
.LBB125_32:
	s_or_b64 exec, exec, s[8:9]
.LBB125_33:
	v_mov_b32_dpp v6, v41 row_shr:1 row_mask:0xf bank_mask:0xf
	v_add_f32_e32 v7, v41, v6
	v_mov_b32_dpp v0, v38 row_shr:1 row_mask:0xf bank_mask:0xf
	v_mov_b32_dpp v6, v44 row_shr:1 row_mask:0xf bank_mask:0xf
	v_add_f32_e32 v9, v44, v6
	v_mov_b32_dpp v2, v31 row_shr:1 row_mask:0xf bank_mask:0xf
	;; [unrolled: 3-line block ×3, first 2 shown]
	v_mov_b32_dpp v6, v42 row_shr:1 row_mask:0xf bank_mask:0xf
	v_add_f32_e32 v15, v42, v6
	v_add_f32_e32 v0, v38, v0
	v_mov_b32_dpp v6, v43 row_shr:1 row_mask:0xf bank_mask:0xf
	v_add_f32_e32 v2, v31, v2
	v_add_f32_e32 v4, v40, v4
	;; [unrolled: 1-line block ×3, first 2 shown]
	v_mov_b32_dpp v1, v0 row_shr:2 row_mask:0xf bank_mask:0xf
	v_mov_b32_dpp v3, v2 row_shr:2 row_mask:0xf bank_mask:0xf
	;; [unrolled: 1-line block ×8, first 2 shown]
	v_cmp_eq_u32_e32 vcc, 3, v30
	s_and_b64 exec, exec, vcc
	s_cbranch_execz .LBB125_6
; %bb.34:
	s_load_dwordx2 s[0:1], s[0:1], 0x50
	v_cmp_eq_f32_e32 vcc, 0, v26
	s_xor_b64 s[2:3], s[6:7], -1
	v_add_f32_e32 v6, v0, v1
	v_add_f32_e32 v14, v2, v3
	;; [unrolled: 1-line block ×8, first 2 shown]
	s_and_b64 s[2:3], vcc, s[2:3]
	v_lshlrev_b32_e32 v16, 2, v28
	s_and_saveexec_b64 s[4:5], s[2:3]
	s_xor_b64 s[2:3], exec, s[4:5]
	s_cbranch_execz .LBB125_36
; %bb.35:
	v_xor_b32_e32 v18, 0x80000000, v25
	v_mov_b32_e32 v19, v24
	v_pk_mul_f32 v[14:15], v[14:15], v[18:19] op_sel_hi:[0,1]
	v_ashrrev_i32_e32 v17, 31, v16
	v_pk_fma_f32 v[14:15], v[24:25], v[6:7], v[14:15] op_sel_hi:[1,0,1]
	v_pk_mul_f32 v[6:7], v[12:13], v[18:19] op_sel_hi:[0,1]
	s_waitcnt lgkmcnt(0)
	v_lshl_add_u64 v[20:21], v[16:17], 3, s[0:1]
	v_pk_fma_f32 v[16:17], v[24:25], v[4:5], v[6:7] op_sel_hi:[1,0,1]
	v_pk_mul_f32 v[4:5], v[10:11], v[18:19] op_sel_hi:[0,1]
	v_pk_fma_f32 v[2:3], v[24:25], v[2:3], v[4:5] op_sel_hi:[1,0,1]
	v_pk_mul_f32 v[4:5], v[8:9], v[18:19] op_sel_hi:[0,1]
	v_pk_fma_f32 v[4:5], v[24:25], v[0:1], v[4:5] op_sel_hi:[1,0,1]
	global_store_dwordx4 v[20:21], v[14:17], off
	global_store_dwordx4 v[20:21], v[2:5], off offset:16
                                        ; implicit-def: $vgpr6
                                        ; implicit-def: $vgpr14
                                        ; implicit-def: $vgpr4
                                        ; implicit-def: $vgpr12
                                        ; implicit-def: $vgpr2
                                        ; implicit-def: $vgpr10
                                        ; implicit-def: $vgpr0
                                        ; implicit-def: $vgpr8
                                        ; implicit-def: $vgpr24_vgpr25
                                        ; implicit-def: $vgpr26_vgpr27
                                        ; implicit-def: $vgpr16
.LBB125_36:
	s_andn2_saveexec_b64 s[2:3], s[2:3]
	s_cbranch_execz .LBB125_6
; %bb.37:
	v_ashrrev_i32_e32 v17, 31, v16
	s_waitcnt lgkmcnt(0)
	v_lshl_add_u64 v[28:29], v[16:17], 3, s[0:1]
	global_load_dwordx4 v[16:19], v[28:29], off
	global_load_dwordx4 v[20:23], v[28:29], off offset:16
	v_xor_b32_e32 v30, 0x80000000, v25
	v_mov_b32_e32 v31, v24
	v_pk_mul_f32 v[14:15], v[14:15], v[30:31] op_sel_hi:[0,1]
	v_pk_mul_f32 v[12:13], v[12:13], v[30:31] op_sel_hi:[0,1]
	;; [unrolled: 1-line block ×4, first 2 shown]
	v_pk_fma_f32 v[6:7], v[24:25], v[6:7], v[14:15] op_sel_hi:[1,0,1]
	v_pk_fma_f32 v[4:5], v[24:25], v[4:5], v[12:13] op_sel_hi:[1,0,1]
	v_xor_b32_e32 v32, 0x80000000, v27
	v_mov_b32_e32 v33, v26
	v_pk_fma_f32 v[2:3], v[24:25], v[2:3], v[10:11] op_sel_hi:[1,0,1]
	v_pk_fma_f32 v[0:1], v[24:25], v[0:1], v[8:9] op_sel_hi:[1,0,1]
	s_waitcnt vmcnt(1)
	v_pk_fma_f32 v[6:7], v[26:27], v[16:17], v[6:7] op_sel_hi:[1,0,1]
	v_pk_fma_f32 v[4:5], v[26:27], v[18:19], v[4:5] op_sel_hi:[1,0,1]
	v_mov_b32_e32 v8, v19
	s_waitcnt vmcnt(0)
	v_pk_fma_f32 v[10:11], v[26:27], v[20:21], v[2:3] op_sel_hi:[1,0,1]
	v_pk_fma_f32 v[12:13], v[26:27], v[22:23], v[0:1] op_sel_hi:[1,0,1]
	v_mov_b32_e32 v14, v23
	v_pk_fma_f32 v[0:1], v[32:33], v[16:17], v[6:7] op_sel:[0,1,0]
	v_pk_fma_f32 v[2:3], v[32:33], v[8:9], v[4:5] op_sel_hi:[1,0,1]
	v_pk_fma_f32 v[4:5], v[32:33], v[20:21], v[10:11] op_sel:[0,1,0]
	v_pk_fma_f32 v[6:7], v[32:33], v[14:15], v[12:13] op_sel_hi:[1,0,1]
	global_store_dwordx4 v[28:29], v[0:3], off
	global_store_dwordx4 v[28:29], v[4:7], off offset:16
	s_endpgm
	.section	.rodata,"a",@progbits
	.p2align	6, 0x0
	.amdhsa_kernel _ZN9rocsparseL18bsrxmvn_4x4_kernelILj128ELj4E21rocsparse_complex_numIfElifS2_S2_EEvT3_20rocsparse_direction_NS_24const_host_device_scalarIT1_EES3_PKS3_PKT2_SC_S9_PKT4_PKT5_S7_PT6_21rocsparse_index_base_b
		.amdhsa_group_segment_fixed_size 0
		.amdhsa_private_segment_fixed_size 0
		.amdhsa_kernarg_size 96
		.amdhsa_user_sgpr_count 2
		.amdhsa_user_sgpr_dispatch_ptr 0
		.amdhsa_user_sgpr_queue_ptr 0
		.amdhsa_user_sgpr_kernarg_segment_ptr 1
		.amdhsa_user_sgpr_dispatch_id 0
		.amdhsa_user_sgpr_kernarg_preload_length 0
		.amdhsa_user_sgpr_kernarg_preload_offset 0
		.amdhsa_user_sgpr_private_segment_size 0
		.amdhsa_uses_dynamic_stack 0
		.amdhsa_enable_private_segment 0
		.amdhsa_system_sgpr_workgroup_id_x 1
		.amdhsa_system_sgpr_workgroup_id_y 0
		.amdhsa_system_sgpr_workgroup_id_z 0
		.amdhsa_system_sgpr_workgroup_info 0
		.amdhsa_system_vgpr_workitem_id 0
		.amdhsa_next_free_vgpr 134
		.amdhsa_next_free_sgpr 20
		.amdhsa_accum_offset 136
		.amdhsa_reserve_vcc 1
		.amdhsa_float_round_mode_32 0
		.amdhsa_float_round_mode_16_64 0
		.amdhsa_float_denorm_mode_32 3
		.amdhsa_float_denorm_mode_16_64 3
		.amdhsa_dx10_clamp 1
		.amdhsa_ieee_mode 1
		.amdhsa_fp16_overflow 0
		.amdhsa_tg_split 0
		.amdhsa_exception_fp_ieee_invalid_op 0
		.amdhsa_exception_fp_denorm_src 0
		.amdhsa_exception_fp_ieee_div_zero 0
		.amdhsa_exception_fp_ieee_overflow 0
		.amdhsa_exception_fp_ieee_underflow 0
		.amdhsa_exception_fp_ieee_inexact 0
		.amdhsa_exception_int_div_zero 0
	.end_amdhsa_kernel
	.section	.text._ZN9rocsparseL18bsrxmvn_4x4_kernelILj128ELj4E21rocsparse_complex_numIfElifS2_S2_EEvT3_20rocsparse_direction_NS_24const_host_device_scalarIT1_EES3_PKS3_PKT2_SC_S9_PKT4_PKT5_S7_PT6_21rocsparse_index_base_b,"axG",@progbits,_ZN9rocsparseL18bsrxmvn_4x4_kernelILj128ELj4E21rocsparse_complex_numIfElifS2_S2_EEvT3_20rocsparse_direction_NS_24const_host_device_scalarIT1_EES3_PKS3_PKT2_SC_S9_PKT4_PKT5_S7_PT6_21rocsparse_index_base_b,comdat
.Lfunc_end125:
	.size	_ZN9rocsparseL18bsrxmvn_4x4_kernelILj128ELj4E21rocsparse_complex_numIfElifS2_S2_EEvT3_20rocsparse_direction_NS_24const_host_device_scalarIT1_EES3_PKS3_PKT2_SC_S9_PKT4_PKT5_S7_PT6_21rocsparse_index_base_b, .Lfunc_end125-_ZN9rocsparseL18bsrxmvn_4x4_kernelILj128ELj4E21rocsparse_complex_numIfElifS2_S2_EEvT3_20rocsparse_direction_NS_24const_host_device_scalarIT1_EES3_PKS3_PKT2_SC_S9_PKT4_PKT5_S7_PT6_21rocsparse_index_base_b
                                        ; -- End function
	.set _ZN9rocsparseL18bsrxmvn_4x4_kernelILj128ELj4E21rocsparse_complex_numIfElifS2_S2_EEvT3_20rocsparse_direction_NS_24const_host_device_scalarIT1_EES3_PKS3_PKT2_SC_S9_PKT4_PKT5_S7_PT6_21rocsparse_index_base_b.num_vgpr, 134
	.set _ZN9rocsparseL18bsrxmvn_4x4_kernelILj128ELj4E21rocsparse_complex_numIfElifS2_S2_EEvT3_20rocsparse_direction_NS_24const_host_device_scalarIT1_EES3_PKS3_PKT2_SC_S9_PKT4_PKT5_S7_PT6_21rocsparse_index_base_b.num_agpr, 0
	.set _ZN9rocsparseL18bsrxmvn_4x4_kernelILj128ELj4E21rocsparse_complex_numIfElifS2_S2_EEvT3_20rocsparse_direction_NS_24const_host_device_scalarIT1_EES3_PKS3_PKT2_SC_S9_PKT4_PKT5_S7_PT6_21rocsparse_index_base_b.numbered_sgpr, 20
	.set _ZN9rocsparseL18bsrxmvn_4x4_kernelILj128ELj4E21rocsparse_complex_numIfElifS2_S2_EEvT3_20rocsparse_direction_NS_24const_host_device_scalarIT1_EES3_PKS3_PKT2_SC_S9_PKT4_PKT5_S7_PT6_21rocsparse_index_base_b.num_named_barrier, 0
	.set _ZN9rocsparseL18bsrxmvn_4x4_kernelILj128ELj4E21rocsparse_complex_numIfElifS2_S2_EEvT3_20rocsparse_direction_NS_24const_host_device_scalarIT1_EES3_PKS3_PKT2_SC_S9_PKT4_PKT5_S7_PT6_21rocsparse_index_base_b.private_seg_size, 0
	.set _ZN9rocsparseL18bsrxmvn_4x4_kernelILj128ELj4E21rocsparse_complex_numIfElifS2_S2_EEvT3_20rocsparse_direction_NS_24const_host_device_scalarIT1_EES3_PKS3_PKT2_SC_S9_PKT4_PKT5_S7_PT6_21rocsparse_index_base_b.uses_vcc, 1
	.set _ZN9rocsparseL18bsrxmvn_4x4_kernelILj128ELj4E21rocsparse_complex_numIfElifS2_S2_EEvT3_20rocsparse_direction_NS_24const_host_device_scalarIT1_EES3_PKS3_PKT2_SC_S9_PKT4_PKT5_S7_PT6_21rocsparse_index_base_b.uses_flat_scratch, 0
	.set _ZN9rocsparseL18bsrxmvn_4x4_kernelILj128ELj4E21rocsparse_complex_numIfElifS2_S2_EEvT3_20rocsparse_direction_NS_24const_host_device_scalarIT1_EES3_PKS3_PKT2_SC_S9_PKT4_PKT5_S7_PT6_21rocsparse_index_base_b.has_dyn_sized_stack, 0
	.set _ZN9rocsparseL18bsrxmvn_4x4_kernelILj128ELj4E21rocsparse_complex_numIfElifS2_S2_EEvT3_20rocsparse_direction_NS_24const_host_device_scalarIT1_EES3_PKS3_PKT2_SC_S9_PKT4_PKT5_S7_PT6_21rocsparse_index_base_b.has_recursion, 0
	.set _ZN9rocsparseL18bsrxmvn_4x4_kernelILj128ELj4E21rocsparse_complex_numIfElifS2_S2_EEvT3_20rocsparse_direction_NS_24const_host_device_scalarIT1_EES3_PKS3_PKT2_SC_S9_PKT4_PKT5_S7_PT6_21rocsparse_index_base_b.has_indirect_call, 0
	.section	.AMDGPU.csdata,"",@progbits
; Kernel info:
; codeLenInByte = 6724
; TotalNumSgprs: 26
; NumVgprs: 134
; NumAgprs: 0
; TotalNumVgprs: 134
; ScratchSize: 0
; MemoryBound: 0
; FloatMode: 240
; IeeeMode: 1
; LDSByteSize: 0 bytes/workgroup (compile time only)
; SGPRBlocks: 3
; VGPRBlocks: 16
; NumSGPRsForWavesPerEU: 26
; NumVGPRsForWavesPerEU: 134
; AccumOffset: 136
; Occupancy: 3
; WaveLimiterHint : 1
; COMPUTE_PGM_RSRC2:SCRATCH_EN: 0
; COMPUTE_PGM_RSRC2:USER_SGPR: 2
; COMPUTE_PGM_RSRC2:TRAP_HANDLER: 0
; COMPUTE_PGM_RSRC2:TGID_X_EN: 1
; COMPUTE_PGM_RSRC2:TGID_Y_EN: 0
; COMPUTE_PGM_RSRC2:TGID_Z_EN: 0
; COMPUTE_PGM_RSRC2:TIDIG_COMP_CNT: 0
; COMPUTE_PGM_RSRC3_GFX90A:ACCUM_OFFSET: 33
; COMPUTE_PGM_RSRC3_GFX90A:TG_SPLIT: 0
	.section	.text._ZN9rocsparseL18bsrxmvn_4x4_kernelILj128ELj8E21rocsparse_complex_numIfElifS2_S2_EEvT3_20rocsparse_direction_NS_24const_host_device_scalarIT1_EES3_PKS3_PKT2_SC_S9_PKT4_PKT5_S7_PT6_21rocsparse_index_base_b,"axG",@progbits,_ZN9rocsparseL18bsrxmvn_4x4_kernelILj128ELj8E21rocsparse_complex_numIfElifS2_S2_EEvT3_20rocsparse_direction_NS_24const_host_device_scalarIT1_EES3_PKS3_PKT2_SC_S9_PKT4_PKT5_S7_PT6_21rocsparse_index_base_b,comdat
	.globl	_ZN9rocsparseL18bsrxmvn_4x4_kernelILj128ELj8E21rocsparse_complex_numIfElifS2_S2_EEvT3_20rocsparse_direction_NS_24const_host_device_scalarIT1_EES3_PKS3_PKT2_SC_S9_PKT4_PKT5_S7_PT6_21rocsparse_index_base_b ; -- Begin function _ZN9rocsparseL18bsrxmvn_4x4_kernelILj128ELj8E21rocsparse_complex_numIfElifS2_S2_EEvT3_20rocsparse_direction_NS_24const_host_device_scalarIT1_EES3_PKS3_PKT2_SC_S9_PKT4_PKT5_S7_PT6_21rocsparse_index_base_b
	.p2align	8
	.type	_ZN9rocsparseL18bsrxmvn_4x4_kernelILj128ELj8E21rocsparse_complex_numIfElifS2_S2_EEvT3_20rocsparse_direction_NS_24const_host_device_scalarIT1_EES3_PKS3_PKT2_SC_S9_PKT4_PKT5_S7_PT6_21rocsparse_index_base_b,@function
_ZN9rocsparseL18bsrxmvn_4x4_kernelILj128ELj8E21rocsparse_complex_numIfElifS2_S2_EEvT3_20rocsparse_direction_NS_24const_host_device_scalarIT1_EES3_PKS3_PKT2_SC_S9_PKT4_PKT5_S7_PT6_21rocsparse_index_base_b: ; @_ZN9rocsparseL18bsrxmvn_4x4_kernelILj128ELj8E21rocsparse_complex_numIfElifS2_S2_EEvT3_20rocsparse_direction_NS_24const_host_device_scalarIT1_EES3_PKS3_PKT2_SC_S9_PKT4_PKT5_S7_PT6_21rocsparse_index_base_b
; %bb.0:
	s_load_dwordx2 s[4:5], s[0:1], 0x8
	s_load_dwordx2 s[16:17], s[0:1], 0x58
	s_add_u32 s3, s0, 8
	s_addc_u32 s8, s1, 0
	s_load_dwordx2 s[6:7], s[0:1], 0x48
	s_add_u32 s9, s0, 0x48
	s_addc_u32 s10, s1, 0
	s_waitcnt lgkmcnt(0)
	s_bitcmp1_b32 s17, 0
	s_cselect_b32 s3, s3, s4
	s_cselect_b32 s5, s8, s5
	v_mov_b32_e32 v2, s3
	s_cselect_b32 s3, s10, s7
	s_cselect_b32 s4, s9, s6
	v_mov_b32_e32 v3, s5
	v_mov_b32_e32 v4, s4
	;; [unrolled: 1-line block ×3, first 2 shown]
	flat_load_dwordx2 v[24:25], v[2:3]
	flat_load_dwordx2 v[26:27], v[4:5]
	s_waitcnt vmcnt(0) lgkmcnt(0)
	v_cmp_neq_f32_e32 vcc, 0, v24
	v_cmp_neq_f32_e64 s[4:5], 0, v25
	v_cmp_neq_f32_e64 s[8:9], 1.0, v26
	v_cmp_neq_f32_e64 s[6:7], 0, v27
	s_or_b64 s[4:5], vcc, s[4:5]
	s_or_b64 s[8:9], s[8:9], s[6:7]
	s_or_b64 s[4:5], s[4:5], s[8:9]
	s_and_saveexec_b64 s[8:9], s[4:5]
	s_cbranch_execz .LBB126_6
; %bb.1:
	s_load_dwordx2 s[8:9], s[0:1], 0x18
	s_load_dwordx2 s[4:5], s[0:1], 0x0
	v_lshrrev_b32_e32 v1, 3, v0
	v_lshl_or_b32 v28, s2, 4, v1
	s_mov_b64 s[2:3], 0
	s_waitcnt lgkmcnt(0)
	s_cmp_lg_u64 s[8:9], 0
	s_cbranch_scc0 .LBB126_7
; %bb.2:
	s_load_dword s10, s[0:1], 0x10
                                        ; implicit-def: $vgpr1
	s_waitcnt lgkmcnt(0)
	v_cmp_gt_i32_e32 vcc, s10, v28
	s_and_saveexec_b64 s[10:11], vcc
	s_xor_b64 s[10:11], exec, s[10:11]
	s_cbranch_execz .LBB126_4
; %bb.3:
	v_ashrrev_i32_e32 v29, 31, v28
	v_lshl_add_u64 v[2:3], v[28:29], 2, s[8:9]
	global_load_dword v1, v[2:3], off
	s_mov_b64 s[2:3], exec
	s_waitcnt vmcnt(0)
	v_subrev_u32_e32 v1, s16, v1
.LBB126_4:
	s_or_b64 exec, exec, s[10:11]
	s_branch .LBB126_8
.LBB126_5:
	v_cmp_gt_i32_e32 vcc, s4, v28
	s_andn2_b64 s[2:3], s[2:3], exec
	s_and_b64 s[8:9], vcc, exec
	s_or_b64 s[2:3], s[2:3], s[8:9]
	s_and_b64 exec, exec, s[2:3]
	s_cbranch_execnz .LBB126_9
.LBB126_6:
	s_endpgm
.LBB126_7:
                                        ; implicit-def: $vgpr1
	s_cbranch_execnz .LBB126_5
.LBB126_8:
	v_mov_b32_e32 v28, v1
	s_and_b64 exec, exec, s[2:3]
	s_cbranch_execz .LBB126_6
.LBB126_9:
	s_load_dwordx8 s[8:15], s[0:1], 0x20
	v_ashrrev_i32_e32 v29, 31, v28
	v_lshlrev_b64 v[2:3], 3, v[28:29]
	s_load_dwordx2 s[2:3], s[0:1], 0x40
	v_and_b32_e32 v30, 7, v0
	s_waitcnt lgkmcnt(0)
	v_lshl_add_u64 v[4:5], s[8:9], 0, v[2:3]
	s_cmp_eq_u64 s[10:11], 0
	v_lshl_add_u64 v[2:3], s[10:11], 0, v[2:3]
	global_load_dwordx2 v[16:17], v[4:5], off
	v_lshl_add_u64 v[4:5], v[4:5], 0, 8
	s_cselect_b64 vcc, -1, 0
	v_cndmask_b32_e32 v3, v3, v5, vcc
	v_cndmask_b32_e32 v2, v2, v4, vcc
	global_load_dwordx2 v[2:3], v[2:3], off
	v_mov_b32_e32 v31, 0
	s_cmp_eq_u32 s5, 1
	s_waitcnt vmcnt(1)
	v_subrev_co_u32_e32 v0, vcc, s16, v16
	s_nop 1
	v_subbrev_co_u32_e32 v1, vcc, 0, v17, vcc
	v_lshl_add_u64 v[32:33], v[0:1], 0, v[30:31]
	s_waitcnt vmcnt(0)
	v_subrev_co_u32_e32 v34, vcc, s16, v2
	v_lshlrev_b64 v[0:1], 6, v[32:33]
	s_nop 0
	v_subbrev_co_u32_e32 v35, vcc, 0, v3, vcc
	v_lshl_add_u64 v[36:37], s[14:15], 0, v[0:1]
	v_cmp_lt_i64_e64 s[4:5], v[32:33], v[34:35]
	s_cbranch_scc1 .LBB126_21
; %bb.10:
	v_mov_b32_e32 v42, v31
	v_mov_b32_e32 v41, v31
	;; [unrolled: 1-line block ×7, first 2 shown]
	s_and_saveexec_b64 s[8:9], s[4:5]
	s_cbranch_execz .LBB126_20
; %bb.11:
	v_or_b32_e32 v0, 8, v30
	v_subrev_co_u32_e32 v0, vcc, s16, v0
	v_not_b32_e32 v3, v17
	s_nop 0
	v_subb_co_u32_e64 v1, s[10:11], 0, 0, vcc
	v_lshl_add_u64 v[0:1], v[0:1], 0, v[16:17]
	v_cmp_gt_i64_e32 vcc, v[0:1], v[34:35]
	v_not_b32_e32 v2, v16
	v_mov_b32_e32 v39, 0
	v_cndmask_b32_e32 v1, v35, v1, vcc
	v_cndmask_b32_e32 v0, v34, v0, vcc
	v_sub_co_u32_e32 v4, vcc, s16, v30
	v_mov_b32_e32 v44, v39
	s_nop 0
	v_subb_co_u32_e64 v5, s[10:11], 0, 0, vcc
	v_lshl_add_u64 v[2:3], v[4:5], 0, v[2:3]
	v_lshl_add_u64 v[0:1], v[2:3], 0, v[0:1]
	v_and_b32_e32 v38, 24, v0
	v_cmp_ne_u64_e32 vcc, 24, v[38:39]
	v_mov_b32_e32 v38, v39
	v_mov_b32_e32 v45, v39
	;; [unrolled: 1-line block ×6, first 2 shown]
	v_mov_b64_e32 v[18:19], v[36:37]
	v_mov_b64_e32 v[20:21], v[32:33]
	s_and_saveexec_b64 s[10:11], vcc
	s_cbranch_execz .LBB126_15
; %bb.12:
	v_lshrrev_b32_e32 v2, 3, v0
	v_add_u32_e32 v2, 1, v2
	v_and_b32_e32 v2, 3, v2
	v_sub_co_u32_e32 v6, vcc, 0, v2
	v_mov_b32_e32 v3, 0
	s_nop 0
	v_subb_co_u32_e64 v7, s[18:19], 0, 0, vcc
	v_lshl_add_u64 v[4:5], v[32:33], 2, s[12:13]
	s_mov_b64 s[14:15], 0
	s_mov_b64 s[18:19], 0x200
	v_bfrev_b32_e32 v8, 1
	v_mov_b64_e32 v[20:21], v[32:33]
	v_mov_b64_e32 v[18:19], v[36:37]
	v_mov_b32_e32 v38, v3
	v_mov_b32_e32 v39, v3
	;; [unrolled: 1-line block ×8, first 2 shown]
.LBB126_13:                             ; =>This Inner Loop Header: Depth=1
	global_load_dword v2, v[4:5], off
	global_load_dwordx4 v[52:55], v[18:19], off offset:16
	global_load_dwordx4 v[56:59], v[18:19], off
	v_lshl_add_u64 v[6:7], v[6:7], 0, 1
	v_cmp_eq_u64_e32 vcc, 0, v[6:7]
	v_lshl_add_u64 v[20:21], v[20:21], 0, 8
	v_lshl_add_u64 v[4:5], v[4:5], 0, 32
	s_or_b64 s[14:15], vcc, s[14:15]
	s_waitcnt vmcnt(2)
	v_subrev_u32_e32 v2, s16, v2
	v_lshlrev_b32_e32 v10, 2, v2
	v_ashrrev_i32_e32 v11, 31, v10
	v_lshl_add_u64 v[14:15], v[10:11], 3, s[2:3]
	global_load_dwordx4 v[10:13], v[14:15], off
	global_load_dwordx4 v[46:49], v[14:15], off offset:16
	global_load_dwordx4 v[60:63], v[18:19], off offset:32
	;; [unrolled: 1-line block ×3, first 2 shown]
	s_waitcnt vmcnt(4)
	v_mov_b32_e32 v2, v56
	v_mov_b32_e32 v9, v56
	v_lshl_add_u64 v[18:19], v[18:19], 0, s[18:19]
	s_waitcnt vmcnt(3)
	v_pk_fma_f32 v[14:15], v[10:11], v[2:3], v[42:43] op_sel_hi:[0,1,1]
	v_mov_b32_e32 v2, v57
	v_pk_fma_f32 v[14:15], v[10:11], v[8:9], v[14:15] op_sel:[1,0,0]
	v_mov_b32_e32 v22, v13
	v_mov_b32_e32 v9, v57
	v_pk_fma_f32 v[14:15], v[12:13], v[2:3], v[14:15] op_sel_hi:[0,1,1]
	v_mov_b32_e32 v2, v58
	v_pk_fma_f32 v[14:15], v[22:23], v[8:9], v[14:15] op_sel_hi:[0,1,1]
	v_mov_b32_e32 v9, v58
	s_waitcnt vmcnt(2)
	v_pk_fma_f32 v[14:15], v[46:47], v[2:3], v[14:15] op_sel_hi:[0,1,1]
	v_mov_b32_e32 v2, v59
	v_pk_fma_f32 v[14:15], v[46:47], v[8:9], v[14:15] op_sel:[1,0,0]
	v_mov_b32_e32 v50, v49
	v_mov_b32_e32 v9, v59
	v_pk_fma_f32 v[14:15], v[48:49], v[2:3], v[14:15] op_sel_hi:[0,1,1]
	v_mov_b32_e32 v2, v52
	v_pk_fma_f32 v[42:43], v[50:51], v[8:9], v[14:15] op_sel_hi:[0,1,1]
	v_pk_fma_f32 v[14:15], v[10:11], v[2:3], v[40:41] op_sel_hi:[0,1,1]
	v_mov_b32_e32 v9, v52
	v_mov_b32_e32 v2, v53
	v_pk_fma_f32 v[14:15], v[10:11], v[8:9], v[14:15] op_sel:[1,0,0]
	v_mov_b32_e32 v9, v53
	v_pk_fma_f32 v[14:15], v[12:13], v[2:3], v[14:15] op_sel_hi:[0,1,1]
	v_mov_b32_e32 v2, v54
	v_pk_fma_f32 v[14:15], v[22:23], v[8:9], v[14:15] op_sel_hi:[0,1,1]
	;; [unrolled: 2-line block ×3, first 2 shown]
	v_mov_b32_e32 v2, v55
	v_pk_fma_f32 v[14:15], v[46:47], v[8:9], v[14:15] op_sel:[1,0,0]
	v_mov_b32_e32 v9, v55
	v_pk_fma_f32 v[14:15], v[48:49], v[2:3], v[14:15] op_sel_hi:[0,1,1]
	s_waitcnt vmcnt(1)
	v_mov_b32_e32 v2, v60
	v_pk_fma_f32 v[40:41], v[50:51], v[8:9], v[14:15] op_sel_hi:[0,1,1]
	v_pk_fma_f32 v[14:15], v[10:11], v[2:3], v[44:45] op_sel_hi:[0,1,1]
	v_mov_b32_e32 v9, v60
	v_mov_b32_e32 v2, v61
	v_pk_fma_f32 v[14:15], v[10:11], v[8:9], v[14:15] op_sel:[1,0,0]
	v_mov_b32_e32 v9, v61
	v_pk_fma_f32 v[14:15], v[12:13], v[2:3], v[14:15] op_sel_hi:[0,1,1]
	v_mov_b32_e32 v2, v62
	v_pk_fma_f32 v[14:15], v[22:23], v[8:9], v[14:15] op_sel_hi:[0,1,1]
	;; [unrolled: 2-line block ×3, first 2 shown]
	v_mov_b32_e32 v2, v63
	v_pk_fma_f32 v[14:15], v[46:47], v[8:9], v[14:15] op_sel:[1,0,0]
	v_mov_b32_e32 v9, v63
	v_pk_fma_f32 v[14:15], v[48:49], v[2:3], v[14:15] op_sel_hi:[0,1,1]
	s_waitcnt vmcnt(0)
	v_mov_b32_e32 v2, v64
	v_pk_fma_f32 v[44:45], v[50:51], v[8:9], v[14:15] op_sel_hi:[0,1,1]
	v_pk_fma_f32 v[14:15], v[10:11], v[2:3], v[38:39] op_sel_hi:[0,1,1]
	v_mov_b32_e32 v9, v64
	v_mov_b32_e32 v2, v65
	v_pk_fma_f32 v[10:11], v[10:11], v[8:9], v[14:15] op_sel:[1,0,0]
	v_mov_b32_e32 v9, v65
	v_pk_fma_f32 v[10:11], v[12:13], v[2:3], v[10:11] op_sel_hi:[0,1,1]
	v_mov_b32_e32 v2, v66
	v_pk_fma_f32 v[10:11], v[22:23], v[8:9], v[10:11] op_sel_hi:[0,1,1]
	;; [unrolled: 2-line block ×3, first 2 shown]
	v_mov_b32_e32 v2, v67
	v_pk_fma_f32 v[10:11], v[46:47], v[8:9], v[10:11] op_sel:[1,0,0]
	v_mov_b32_e32 v9, v67
	v_pk_fma_f32 v[10:11], v[48:49], v[2:3], v[10:11] op_sel_hi:[0,1,1]
	v_pk_fma_f32 v[38:39], v[50:51], v[8:9], v[10:11] op_sel_hi:[0,1,1]
	s_andn2_b64 exec, exec, s[14:15]
	s_cbranch_execnz .LBB126_13
; %bb.14:
	s_or_b64 exec, exec, s[14:15]
.LBB126_15:
	s_or_b64 exec, exec, s[10:11]
	v_cmp_lt_u64_e32 vcc, 23, v[0:1]
	s_and_saveexec_b64 s[10:11], vcc
	s_cbranch_execz .LBB126_19
; %bb.16:
	v_lshl_add_u64 v[0:1], v[20:21], 2, s[12:13]
	v_lshl_add_u64 v[22:23], v[0:1], 0, 64
	s_mov_b64 s[14:15], 0
	v_mov_b32_e32 v47, 0
	s_mov_b64 s[18:19], 0x800
	s_mov_b64 s[20:21], 0x80
	v_bfrev_b32_e32 v48, 1
.LBB126_17:                             ; =>This Inner Loop Header: Depth=1
	global_load_dword v0, v[22:23], off offset:-64
	v_lshl_add_u64 v[20:21], v[20:21], 0, 32
	v_cmp_ge_i64_e32 vcc, v[20:21], v[34:35]
	s_or_b64 s[14:15], vcc, s[14:15]
	s_waitcnt vmcnt(0)
	v_subrev_u32_e32 v0, s16, v0
	v_lshlrev_b32_e32 v0, 2, v0
	v_ashrrev_i32_e32 v1, 31, v0
	v_lshl_add_u64 v[0:1], v[0:1], 3, s[2:3]
	global_load_dwordx4 v[8:11], v[0:1], off offset:16
	global_load_dwordx4 v[12:15], v[0:1], off
	global_load_dword v2, v[22:23], off offset:-32
	global_load_dwordx4 v[50:53], v[18:19], off offset:560
	global_load_dwordx4 v[70:73], v[18:19], off offset:544
	;; [unrolled: 1-line block ×4, first 2 shown]
	s_waitcnt vmcnt(6)
	v_mov_b32_e32 v56, v11
	s_waitcnt vmcnt(4)
	v_subrev_u32_e32 v0, s16, v2
	v_lshlrev_b32_e32 v0, 2, v0
	v_ashrrev_i32_e32 v1, 31, v0
	v_lshl_add_u64 v[54:55], v[0:1], 3, s[2:3]
	global_load_dwordx4 v[0:3], v[54:55], off offset:16
	global_load_dwordx4 v[4:7], v[54:55], off
	global_load_dwordx4 v[58:61], v[18:19], off offset:48
	global_load_dwordx4 v[66:69], v[18:19], off offset:32
	global_load_dwordx4 v[78:81], v[18:19], off offset:16
	global_load_dwordx4 v[82:85], v[18:19], off
	v_mov_b32_e32 v54, v15
	s_waitcnt vmcnt(0)
	v_mov_b32_e32 v46, v82
	v_pk_fma_f32 v[42:43], v[12:13], v[46:47], v[42:43] op_sel_hi:[0,1,1]
	v_mov_b32_e32 v49, v82
	v_pk_fma_f32 v[42:43], v[12:13], v[48:49], v[42:43] op_sel:[1,0,0]
	v_mov_b32_e32 v46, v83
	v_pk_fma_f32 v[42:43], v[14:15], v[46:47], v[42:43] op_sel_hi:[0,1,1]
	v_mov_b32_e32 v49, v83
	v_pk_fma_f32 v[42:43], v[54:55], v[48:49], v[42:43] op_sel_hi:[0,1,1]
	v_mov_b32_e32 v46, v84
	v_pk_fma_f32 v[42:43], v[8:9], v[46:47], v[42:43] op_sel_hi:[0,1,1]
	v_mov_b32_e32 v49, v84
	v_pk_fma_f32 v[42:43], v[8:9], v[48:49], v[42:43] op_sel:[1,0,0]
	v_mov_b32_e32 v46, v85
	v_pk_fma_f32 v[42:43], v[10:11], v[46:47], v[42:43] op_sel_hi:[0,1,1]
	v_mov_b32_e32 v49, v85
	v_pk_fma_f32 v[42:43], v[56:57], v[48:49], v[42:43] op_sel_hi:[0,1,1]
	v_mov_b32_e32 v46, v62
	v_pk_fma_f32 v[42:43], v[4:5], v[46:47], v[42:43] op_sel_hi:[0,1,1]
	v_mov_b32_e32 v49, v62
	v_mov_b32_e32 v46, v78
	v_pk_fma_f32 v[42:43], v[4:5], v[48:49], v[42:43] op_sel:[1,0,0]
	v_pk_fma_f32 v[40:41], v[12:13], v[46:47], v[40:41] op_sel_hi:[0,1,1]
	v_mov_b32_e32 v49, v78
	v_pk_fma_f32 v[40:41], v[12:13], v[48:49], v[40:41] op_sel:[1,0,0]
	v_mov_b32_e32 v46, v79
	v_pk_fma_f32 v[40:41], v[14:15], v[46:47], v[40:41] op_sel_hi:[0,1,1]
	v_mov_b32_e32 v49, v79
	v_pk_fma_f32 v[40:41], v[54:55], v[48:49], v[40:41] op_sel_hi:[0,1,1]
	v_mov_b32_e32 v46, v80
	v_pk_fma_f32 v[40:41], v[8:9], v[46:47], v[40:41] op_sel_hi:[0,1,1]
	v_mov_b32_e32 v49, v80
	v_pk_fma_f32 v[40:41], v[8:9], v[48:49], v[40:41] op_sel:[1,0,0]
	v_mov_b32_e32 v46, v81
	v_pk_fma_f32 v[40:41], v[10:11], v[46:47], v[40:41] op_sel_hi:[0,1,1]
	v_mov_b32_e32 v49, v81
	v_pk_fma_f32 v[40:41], v[56:57], v[48:49], v[40:41] op_sel_hi:[0,1,1]
	v_mov_b32_e32 v46, v74
	v_pk_fma_f32 v[40:41], v[4:5], v[46:47], v[40:41] op_sel_hi:[0,1,1]
	v_mov_b32_e32 v49, v74
	v_mov_b32_e32 v46, v66
	v_pk_fma_f32 v[40:41], v[4:5], v[48:49], v[40:41] op_sel:[1,0,0]
	;; [unrolled: 20-line block ×3, first 2 shown]
	v_pk_fma_f32 v[38:39], v[12:13], v[46:47], v[38:39] op_sel_hi:[0,1,1]
	v_mov_b32_e32 v49, v58
	v_pk_fma_f32 v[12:13], v[12:13], v[48:49], v[38:39] op_sel:[1,0,0]
	v_mov_b32_e32 v46, v59
	v_pk_fma_f32 v[12:13], v[14:15], v[46:47], v[12:13] op_sel_hi:[0,1,1]
	v_mov_b32_e32 v49, v59
	v_pk_fma_f32 v[12:13], v[54:55], v[48:49], v[12:13] op_sel_hi:[0,1,1]
	;; [unrolled: 2-line block ×3, first 2 shown]
	v_mov_b32_e32 v49, v60
	v_pk_fma_f32 v[8:9], v[8:9], v[48:49], v[12:13] op_sel:[1,0,0]
	v_mov_b32_e32 v46, v61
	v_pk_fma_f32 v[8:9], v[10:11], v[46:47], v[8:9] op_sel_hi:[0,1,1]
	v_mov_b32_e32 v49, v61
	v_pk_fma_f32 v[8:9], v[56:57], v[48:49], v[8:9] op_sel_hi:[0,1,1]
	;; [unrolled: 2-line block ×3, first 2 shown]
	v_mov_b32_e32 v49, v50
	v_pk_fma_f32 v[4:5], v[4:5], v[48:49], v[8:9] op_sel:[1,0,0]
	global_load_dword v8, v[22:23], off
	v_mov_b32_e32 v46, v63
	v_mov_b32_e32 v50, v7
	;; [unrolled: 1-line block ×4, first 2 shown]
	s_waitcnt vmcnt(0)
	v_subrev_u32_e32 v8, s16, v8
	v_lshlrev_b32_e32 v8, 2, v8
	v_ashrrev_i32_e32 v9, 31, v8
	v_lshl_add_u64 v[12:13], v[8:9], 3, s[2:3]
	global_load_dwordx4 v[8:11], v[12:13], off offset:16
	global_load_dwordx4 v[54:57], v[12:13], off
	global_load_dword v14, v[22:23], off offset:32
	v_lshl_add_u64 v[22:23], v[22:23], 0, s[20:21]
	s_waitcnt vmcnt(0)
	v_subrev_u32_e32 v12, s16, v14
	v_lshlrev_b32_e32 v12, 2, v12
	v_ashrrev_i32_e32 v13, 31, v12
	v_lshl_add_u64 v[38:39], v[12:13], 3, s[2:3]
	global_load_dwordx4 v[12:15], v[38:39], off offset:16
	global_load_dwordx4 v[58:61], v[38:39], off
	global_load_dwordx4 v[78:81], v[18:19], off offset:1072
	global_load_dwordx4 v[82:85], v[18:19], off offset:1056
	;; [unrolled: 1-line block ×8, first 2 shown]
	v_pk_fma_f32 v[38:39], v[6:7], v[46:47], v[42:43] op_sel_hi:[0,1,1]
	v_pk_fma_f32 v[38:39], v[50:51], v[48:49], v[38:39] op_sel_hi:[0,1,1]
	v_mov_b32_e32 v46, v64
	v_pk_fma_f32 v[38:39], v[0:1], v[46:47], v[38:39] op_sel_hi:[0,1,1]
	v_mov_b32_e32 v49, v64
	v_pk_fma_f32 v[38:39], v[0:1], v[48:49], v[38:39] op_sel:[1,0,0]
	v_mov_b32_e32 v46, v65
	v_pk_fma_f32 v[38:39], v[2:3], v[46:47], v[38:39] op_sel_hi:[0,1,1]
	v_mov_b32_e32 v49, v65
	v_pk_fma_f32 v[38:39], v[62:63], v[48:49], v[38:39] op_sel_hi:[0,1,1]
	v_mov_b32_e32 v64, v57
	v_lshl_add_u64 v[18:19], v[18:19], 0, s[18:19]
	s_waitcnt vmcnt(9)
	v_mov_b32_e32 v70, v15
	s_waitcnt vmcnt(4)
	v_mov_b32_e32 v46, v66
	v_pk_fma_f32 v[38:39], v[54:55], v[46:47], v[38:39] op_sel_hi:[0,1,1]
	v_mov_b32_e32 v49, v66
	v_pk_fma_f32 v[38:39], v[54:55], v[48:49], v[38:39] op_sel:[1,0,0]
	v_mov_b32_e32 v46, v67
	v_pk_fma_f32 v[38:39], v[56:57], v[46:47], v[38:39] op_sel_hi:[0,1,1]
	v_mov_b32_e32 v49, v67
	v_pk_fma_f32 v[38:39], v[64:65], v[48:49], v[38:39] op_sel_hi:[0,1,1]
	;; [unrolled: 2-line block ×3, first 2 shown]
	v_mov_b32_e32 v49, v68
	v_pk_fma_f32 v[38:39], v[8:9], v[48:49], v[38:39] op_sel:[1,0,0]
	v_mov_b32_e32 v46, v69
	v_pk_fma_f32 v[38:39], v[10:11], v[46:47], v[38:39] op_sel_hi:[0,1,1]
	v_mov_b32_e32 v66, v11
	v_mov_b32_e32 v49, v69
	v_pk_fma_f32 v[38:39], v[66:67], v[48:49], v[38:39] op_sel_hi:[0,1,1]
	s_waitcnt vmcnt(0)
	v_mov_b32_e32 v46, v102
	v_pk_fma_f32 v[38:39], v[58:59], v[46:47], v[38:39] op_sel_hi:[0,1,1]
	v_mov_b32_e32 v49, v102
	v_pk_fma_f32 v[38:39], v[58:59], v[48:49], v[38:39] op_sel:[1,0,0]
	v_mov_b32_e32 v46, v103
	v_pk_fma_f32 v[38:39], v[60:61], v[46:47], v[38:39] op_sel_hi:[0,1,1]
	v_mov_b32_e32 v68, v61
	v_mov_b32_e32 v49, v103
	v_pk_fma_f32 v[38:39], v[68:69], v[48:49], v[38:39] op_sel_hi:[0,1,1]
	v_mov_b32_e32 v46, v104
	v_pk_fma_f32 v[38:39], v[12:13], v[46:47], v[38:39] op_sel_hi:[0,1,1]
	v_mov_b32_e32 v49, v104
	v_pk_fma_f32 v[38:39], v[12:13], v[48:49], v[38:39] op_sel:[1,0,0]
	v_mov_b32_e32 v46, v105
	v_pk_fma_f32 v[38:39], v[14:15], v[46:47], v[38:39] op_sel_hi:[0,1,1]
	v_mov_b32_e32 v49, v105
	v_mov_b32_e32 v46, v75
	v_pk_fma_f32 v[42:43], v[70:71], v[48:49], v[38:39] op_sel_hi:[0,1,1]
	v_pk_fma_f32 v[38:39], v[6:7], v[46:47], v[40:41] op_sel_hi:[0,1,1]
	v_mov_b32_e32 v49, v75
	v_pk_fma_f32 v[38:39], v[50:51], v[48:49], v[38:39] op_sel_hi:[0,1,1]
	v_mov_b32_e32 v46, v76
	v_pk_fma_f32 v[38:39], v[0:1], v[46:47], v[38:39] op_sel_hi:[0,1,1]
	v_mov_b32_e32 v49, v76
	v_pk_fma_f32 v[38:39], v[0:1], v[48:49], v[38:39] op_sel:[1,0,0]
	v_mov_b32_e32 v46, v77
	v_pk_fma_f32 v[38:39], v[2:3], v[46:47], v[38:39] op_sel_hi:[0,1,1]
	v_mov_b32_e32 v49, v77
	v_pk_fma_f32 v[38:39], v[62:63], v[48:49], v[38:39] op_sel_hi:[0,1,1]
	v_mov_b32_e32 v46, v86
	v_pk_fma_f32 v[38:39], v[54:55], v[46:47], v[38:39] op_sel_hi:[0,1,1]
	v_mov_b32_e32 v49, v86
	v_pk_fma_f32 v[38:39], v[54:55], v[48:49], v[38:39] op_sel:[1,0,0]
	v_mov_b32_e32 v46, v87
	v_pk_fma_f32 v[38:39], v[56:57], v[46:47], v[38:39] op_sel_hi:[0,1,1]
	v_mov_b32_e32 v49, v87
	v_pk_fma_f32 v[38:39], v[64:65], v[48:49], v[38:39] op_sel_hi:[0,1,1]
	v_mov_b32_e32 v46, v88
	v_pk_fma_f32 v[38:39], v[46:47], v[8:9], v[38:39] op_sel_hi:[1,0,1]
	v_mov_b32_e32 v49, v88
	v_pk_fma_f32 v[38:39], v[8:9], v[48:49], v[38:39] op_sel:[1,0,0]
	v_mov_b32_e32 v46, v89
	v_pk_fma_f32 v[38:39], v[10:11], v[46:47], v[38:39] op_sel_hi:[0,1,1]
	v_mov_b32_e32 v49, v89
	v_pk_fma_f32 v[38:39], v[66:67], v[48:49], v[38:39] op_sel_hi:[0,1,1]
	v_mov_b32_e32 v46, v98
	v_pk_fma_f32 v[38:39], v[58:59], v[46:47], v[38:39] op_sel_hi:[0,1,1]
	v_mov_b32_e32 v49, v98
	v_pk_fma_f32 v[38:39], v[58:59], v[48:49], v[38:39] op_sel:[1,0,0]
	v_mov_b32_e32 v46, v99
	v_pk_fma_f32 v[38:39], v[60:61], v[46:47], v[38:39] op_sel_hi:[0,1,1]
	v_mov_b32_e32 v49, v99
	v_pk_fma_f32 v[38:39], v[68:69], v[48:49], v[38:39] op_sel_hi:[0,1,1]
	v_mov_b32_e32 v46, v100
	v_pk_fma_f32 v[38:39], v[12:13], v[46:47], v[38:39] op_sel_hi:[0,1,1]
	v_mov_b32_e32 v49, v100
	v_pk_fma_f32 v[38:39], v[12:13], v[48:49], v[38:39] op_sel:[1,0,0]
	v_mov_b32_e32 v46, v101
	v_pk_fma_f32 v[38:39], v[14:15], v[46:47], v[38:39] op_sel_hi:[0,1,1]
	v_mov_b32_e32 v49, v101
	v_mov_b32_e32 v46, v71
	v_pk_fma_f32 v[40:41], v[70:71], v[48:49], v[38:39] op_sel_hi:[0,1,1]
	v_pk_fma_f32 v[38:39], v[6:7], v[46:47], v[44:45] op_sel_hi:[0,1,1]
	v_mov_b32_e32 v49, v71
	v_pk_fma_f32 v[38:39], v[50:51], v[48:49], v[38:39] op_sel_hi:[0,1,1]
	v_mov_b32_e32 v46, v72
	v_pk_fma_f32 v[38:39], v[0:1], v[46:47], v[38:39] op_sel_hi:[0,1,1]
	v_mov_b32_e32 v49, v72
	v_pk_fma_f32 v[38:39], v[0:1], v[48:49], v[38:39] op_sel:[1,0,0]
	v_mov_b32_e32 v46, v73
	v_pk_fma_f32 v[38:39], v[2:3], v[46:47], v[38:39] op_sel_hi:[0,1,1]
	v_mov_b32_e32 v49, v73
	v_pk_fma_f32 v[38:39], v[62:63], v[48:49], v[38:39] op_sel_hi:[0,1,1]
	v_mov_b32_e32 v46, v82
	v_pk_fma_f32 v[38:39], v[54:55], v[46:47], v[38:39] op_sel_hi:[0,1,1]
	v_mov_b32_e32 v49, v82
	v_pk_fma_f32 v[38:39], v[54:55], v[48:49], v[38:39] op_sel:[1,0,0]
	v_mov_b32_e32 v46, v83
	v_pk_fma_f32 v[38:39], v[56:57], v[46:47], v[38:39] op_sel_hi:[0,1,1]
	v_mov_b32_e32 v49, v83
	v_pk_fma_f32 v[38:39], v[64:65], v[48:49], v[38:39] op_sel_hi:[0,1,1]
	v_mov_b32_e32 v46, v84
	v_pk_fma_f32 v[38:39], v[46:47], v[8:9], v[38:39] op_sel_hi:[1,0,1]
	v_mov_b32_e32 v49, v84
	v_pk_fma_f32 v[38:39], v[8:9], v[48:49], v[38:39] op_sel:[1,0,0]
	v_mov_b32_e32 v46, v85
	v_pk_fma_f32 v[38:39], v[10:11], v[46:47], v[38:39] op_sel_hi:[0,1,1]
	v_mov_b32_e32 v49, v85
	v_pk_fma_f32 v[38:39], v[66:67], v[48:49], v[38:39] op_sel_hi:[0,1,1]
	v_mov_b32_e32 v46, v94
	v_pk_fma_f32 v[38:39], v[58:59], v[46:47], v[38:39] op_sel_hi:[0,1,1]
	v_mov_b32_e32 v49, v94
	v_pk_fma_f32 v[38:39], v[58:59], v[48:49], v[38:39] op_sel:[1,0,0]
	v_mov_b32_e32 v46, v95
	v_pk_fma_f32 v[38:39], v[60:61], v[46:47], v[38:39] op_sel_hi:[0,1,1]
	;; [unrolled: 44-line block ×3, first 2 shown]
	v_mov_b32_e32 v49, v91
	v_pk_fma_f32 v[0:1], v[68:69], v[48:49], v[0:1] op_sel_hi:[0,1,1]
	v_mov_b32_e32 v46, v92
	v_pk_fma_f32 v[0:1], v[12:13], v[46:47], v[0:1] op_sel_hi:[0,1,1]
	v_mov_b32_e32 v49, v92
	v_pk_fma_f32 v[0:1], v[12:13], v[48:49], v[0:1] op_sel:[1,0,0]
	v_mov_b32_e32 v46, v93
	v_pk_fma_f32 v[0:1], v[14:15], v[46:47], v[0:1] op_sel_hi:[0,1,1]
	v_mov_b32_e32 v49, v93
	v_pk_fma_f32 v[38:39], v[70:71], v[48:49], v[0:1] op_sel_hi:[0,1,1]
	s_andn2_b64 exec, exec, s[14:15]
	s_cbranch_execnz .LBB126_17
; %bb.18:
	s_or_b64 exec, exec, s[14:15]
.LBB126_19:
	s_or_b64 exec, exec, s[10:11]
	v_mov_b32_e32 v31, v43
.LBB126_20:
	s_or_b64 exec, exec, s[8:9]
	s_cbranch_execz .LBB126_22
	s_branch .LBB126_33
.LBB126_21:
                                        ; implicit-def: $vgpr42
                                        ; implicit-def: $vgpr41
                                        ; implicit-def: $vgpr45
                                        ; implicit-def: $vgpr39
.LBB126_22:
	v_mov_b32_e32 v31, 0
	v_mov_b32_e32 v42, 0
	;; [unrolled: 1-line block ×8, first 2 shown]
	s_and_saveexec_b64 s[8:9], s[4:5]
	s_cbranch_execz .LBB126_32
; %bb.23:
	v_or_b32_e32 v0, 8, v30
	v_subrev_co_u32_e32 v0, vcc, s16, v0
	v_not_b32_e32 v3, v17
	s_nop 0
	v_subb_co_u32_e64 v1, s[4:5], 0, 0, vcc
	v_lshl_add_u64 v[0:1], v[0:1], 0, v[16:17]
	v_cmp_gt_i64_e32 vcc, v[0:1], v[34:35]
	v_not_b32_e32 v2, v16
	v_mov_b32_e32 v39, 0
	v_cndmask_b32_e32 v1, v35, v1, vcc
	v_cndmask_b32_e32 v0, v34, v0, vcc
	v_sub_co_u32_e32 v4, vcc, s16, v30
	v_mov_b32_e32 v44, v39
	s_nop 0
	v_subb_co_u32_e64 v5, s[4:5], 0, 0, vcc
	v_lshl_add_u64 v[2:3], v[4:5], 0, v[2:3]
	v_lshl_add_u64 v[0:1], v[2:3], 0, v[0:1]
	v_and_b32_e32 v38, 24, v0
	v_cmp_ne_u64_e32 vcc, 24, v[38:39]
	v_mov_b32_e32 v38, v39
	v_mov_b32_e32 v45, v39
	;; [unrolled: 1-line block ×6, first 2 shown]
	s_and_saveexec_b64 s[4:5], vcc
	s_cbranch_execz .LBB126_27
; %bb.24:
	v_lshrrev_b32_e32 v2, 3, v0
	v_add_u32_e32 v2, 1, v2
	v_and_b32_e32 v2, 3, v2
	v_sub_co_u32_e32 v6, vcc, 0, v2
	v_mov_b32_e32 v3, 0
	s_nop 0
	v_subb_co_u32_e64 v7, s[14:15], 0, 0, vcc
	v_lshl_add_u64 v[4:5], v[32:33], 2, s[12:13]
	s_mov_b64 s[10:11], 0
	s_mov_b64 s[14:15], 0x200
	v_bfrev_b32_e32 v8, 1
	v_mov_b32_e32 v38, v3
	v_mov_b32_e32 v39, v3
	;; [unrolled: 1-line block ×8, first 2 shown]
.LBB126_25:                             ; =>This Inner Loop Header: Depth=1
	global_load_dword v2, v[4:5], off
	global_load_dwordx4 v[46:49], v[36:37], off offset:32
	global_load_dwordx4 v[50:53], v[36:37], off offset:16
	global_load_dwordx4 v[54:57], v[36:37], off
	v_lshl_add_u64 v[6:7], v[6:7], 0, 1
	v_cmp_eq_u64_e32 vcc, 0, v[6:7]
	v_lshl_add_u64 v[32:33], v[32:33], 0, 8
	v_lshl_add_u64 v[4:5], v[4:5], 0, 32
	s_or_b64 s[10:11], vcc, s[10:11]
	s_waitcnt vmcnt(3)
	v_subrev_u32_e32 v2, s16, v2
	v_lshlrev_b32_e32 v10, 2, v2
	v_ashrrev_i32_e32 v11, 31, v10
	v_lshl_add_u64 v[18:19], v[10:11], 3, s[2:3]
	global_load_dwordx4 v[10:13], v[18:19], off
	global_load_dwordx4 v[14:17], v[18:19], off offset:16
	global_load_dwordx4 v[58:61], v[36:37], off offset:48
	s_waitcnt vmcnt(3)
	v_mov_b32_e32 v2, v54
	v_mov_b32_e32 v9, v54
	v_lshl_add_u64 v[36:37], v[36:37], 0, s[14:15]
	s_waitcnt vmcnt(2)
	v_pk_fma_f32 v[18:19], v[10:11], v[2:3], v[42:43] op_sel_hi:[0,1,1]
	v_mov_b32_e32 v2, v50
	v_pk_fma_f32 v[18:19], v[10:11], v[8:9], v[18:19] op_sel:[1,0,0]
	v_mov_b32_e32 v20, v13
	v_mov_b32_e32 v9, v50
	v_pk_fma_f32 v[18:19], v[12:13], v[2:3], v[18:19] op_sel_hi:[0,1,1]
	v_mov_b32_e32 v2, v46
	v_pk_fma_f32 v[18:19], v[20:21], v[8:9], v[18:19] op_sel_hi:[0,1,1]
	v_mov_b32_e32 v9, v46
	s_waitcnt vmcnt(1)
	v_pk_fma_f32 v[18:19], v[14:15], v[2:3], v[18:19] op_sel_hi:[0,1,1]
	s_waitcnt vmcnt(0)
	v_mov_b32_e32 v2, v58
	v_pk_fma_f32 v[18:19], v[14:15], v[8:9], v[18:19] op_sel:[1,0,0]
	v_mov_b32_e32 v22, v17
	v_mov_b32_e32 v9, v58
	v_pk_fma_f32 v[18:19], v[16:17], v[2:3], v[18:19] op_sel_hi:[0,1,1]
	v_mov_b32_e32 v2, v55
	v_pk_fma_f32 v[42:43], v[22:23], v[8:9], v[18:19] op_sel_hi:[0,1,1]
	v_pk_fma_f32 v[18:19], v[10:11], v[2:3], v[40:41] op_sel_hi:[0,1,1]
	v_mov_b32_e32 v9, v55
	v_mov_b32_e32 v2, v51
	v_pk_fma_f32 v[18:19], v[10:11], v[8:9], v[18:19] op_sel:[1,0,0]
	v_mov_b32_e32 v9, v51
	v_pk_fma_f32 v[18:19], v[12:13], v[2:3], v[18:19] op_sel_hi:[0,1,1]
	v_mov_b32_e32 v2, v47
	v_pk_fma_f32 v[18:19], v[20:21], v[8:9], v[18:19] op_sel_hi:[0,1,1]
	v_mov_b32_e32 v9, v47
	v_pk_fma_f32 v[18:19], v[14:15], v[2:3], v[18:19] op_sel_hi:[0,1,1]
	v_mov_b32_e32 v2, v59
	v_pk_fma_f32 v[18:19], v[14:15], v[8:9], v[18:19] op_sel:[1,0,0]
	v_mov_b32_e32 v9, v59
	v_pk_fma_f32 v[18:19], v[16:17], v[2:3], v[18:19] op_sel_hi:[0,1,1]
	v_mov_b32_e32 v2, v56
	v_pk_fma_f32 v[40:41], v[22:23], v[8:9], v[18:19] op_sel_hi:[0,1,1]
	v_pk_fma_f32 v[18:19], v[10:11], v[2:3], v[44:45] op_sel_hi:[0,1,1]
	v_mov_b32_e32 v9, v56
	v_mov_b32_e32 v2, v52
	v_pk_fma_f32 v[18:19], v[10:11], v[8:9], v[18:19] op_sel:[1,0,0]
	v_mov_b32_e32 v9, v52
	v_pk_fma_f32 v[18:19], v[12:13], v[2:3], v[18:19] op_sel_hi:[0,1,1]
	v_mov_b32_e32 v2, v48
	v_pk_fma_f32 v[18:19], v[20:21], v[8:9], v[18:19] op_sel_hi:[0,1,1]
	v_mov_b32_e32 v9, v48
	v_pk_fma_f32 v[18:19], v[14:15], v[2:3], v[18:19] op_sel_hi:[0,1,1]
	v_mov_b32_e32 v2, v60
	v_pk_fma_f32 v[18:19], v[14:15], v[8:9], v[18:19] op_sel:[1,0,0]
	;; [unrolled: 16-line block ×3, first 2 shown]
	v_mov_b32_e32 v9, v61
	v_pk_fma_f32 v[10:11], v[16:17], v[2:3], v[10:11] op_sel_hi:[0,1,1]
	v_pk_fma_f32 v[38:39], v[22:23], v[8:9], v[10:11] op_sel_hi:[0,1,1]
	s_andn2_b64 exec, exec, s[10:11]
	s_cbranch_execnz .LBB126_25
; %bb.26:
	s_or_b64 exec, exec, s[10:11]
.LBB126_27:
	s_or_b64 exec, exec, s[4:5]
	v_cmp_lt_u64_e32 vcc, 23, v[0:1]
	s_and_saveexec_b64 s[4:5], vcc
	s_cbranch_execz .LBB126_31
; %bb.28:
	v_lshl_add_u64 v[0:1], v[32:33], 2, s[12:13]
	v_lshl_add_u64 v[46:47], v[0:1], 0, 64
	s_mov_b64 s[10:11], 0
	v_mov_b32_e32 v49, 0
	s_mov_b64 s[12:13], 0x80
	s_mov_b64 s[14:15], 0x800
	v_bfrev_b32_e32 v50, 1
.LBB126_29:                             ; =>This Inner Loop Header: Depth=1
	global_load_dword v0, v[46:47], off offset:-64
	global_load_dword v1, v[46:47], off offset:-32
	global_load_dwordx4 v[60:63], v[36:37], off
	global_load_dword v2, v[46:47], off
	global_load_dword v3, v[46:47], off offset:32
	global_load_dwordx4 v[126:129], v[36:37], off offset:16
	global_load_dwordx4 v[108:111], v[36:37], off offset:48
	global_load_dwordx4 v[130:133], v[36:37], off offset:32
	global_load_dwordx4 v[92:95], v[36:37], off offset:560
	global_load_dwordx4 v[100:103], v[36:37], off offset:544
	global_load_dwordx4 v[104:107], v[36:37], off offset:528
	global_load_dwordx4 v[112:115], v[36:37], off offset:512
	global_load_dwordx4 v[72:75], v[36:37], off offset:1072
	global_load_dwordx4 v[80:83], v[36:37], off offset:1056
	global_load_dwordx4 v[88:91], v[36:37], off offset:1040
	global_load_dwordx4 v[96:99], v[36:37], off offset:1024
	global_load_dwordx4 v[64:67], v[36:37], off offset:1584
	global_load_dwordx4 v[68:71], v[36:37], off offset:1568
	global_load_dwordx4 v[76:79], v[36:37], off offset:1552
	global_load_dwordx4 v[84:87], v[36:37], off offset:1536
	v_lshl_add_u64 v[32:33], v[32:33], 0, 32
	v_cmp_ge_i64_e32 vcc, v[32:33], v[34:35]
	v_lshl_add_u64 v[46:47], v[46:47], 0, s[12:13]
	v_lshl_add_u64 v[36:37], v[36:37], 0, s[14:15]
	s_or_b64 s[10:11], vcc, s[10:11]
	s_waitcnt vmcnt(19)
	v_subrev_u32_e32 v0, s16, v0
	s_waitcnt vmcnt(18)
	v_subrev_u32_e32 v1, s16, v1
	v_lshlrev_b32_e32 v0, 2, v0
	s_waitcnt vmcnt(16)
	v_subrev_u32_e32 v4, s16, v2
	s_waitcnt vmcnt(15)
	v_subrev_u32_e32 v3, s16, v3
	v_lshlrev_b32_e32 v2, 2, v1
	v_lshlrev_b32_e32 v4, 2, v4
	;; [unrolled: 1-line block ×3, first 2 shown]
	v_ashrrev_i32_e32 v1, 31, v0
	v_ashrrev_i32_e32 v3, 31, v2
	;; [unrolled: 1-line block ×4, first 2 shown]
	v_lshl_add_u64 v[0:1], v[0:1], 3, s[2:3]
	v_lshl_add_u64 v[2:3], v[2:3], 3, s[2:3]
	;; [unrolled: 1-line block ×4, first 2 shown]
	global_load_dwordx4 v[116:119], v[0:1], off
	global_load_dwordx4 v[120:123], v[0:1], off offset:16
	global_load_dwordx4 v[20:23], v[2:3], off
	global_load_dwordx4 v[16:19], v[2:3], off offset:16
	;; [unrolled: 2-line block ×3, first 2 shown]
	global_load_dwordx4 v[4:7], v[54:55], off
                                        ; kill: killed $vgpr52_vgpr53
                                        ; kill: killed $vgpr0_vgpr1
                                        ; kill: killed $vgpr2_vgpr3
	s_nop 0
	global_load_dwordx4 v[0:3], v[54:55], off offset:16
	v_mov_b32_e32 v48, v60
	v_mov_b32_e32 v51, v60
	s_waitcnt vmcnt(7)
	v_pk_fma_f32 v[56:57], v[116:117], v[48:49], v[42:43] op_sel_hi:[0,1,1]
	v_mov_b32_e32 v48, v126
	v_pk_fma_f32 v[56:57], v[116:117], v[50:51], v[56:57] op_sel:[1,0,0]
	v_mov_b32_e32 v124, v119
	v_mov_b32_e32 v51, v126
	v_pk_fma_f32 v[56:57], v[118:119], v[48:49], v[56:57] op_sel_hi:[0,1,1]
	v_mov_b32_e32 v48, v130
	v_pk_fma_f32 v[56:57], v[124:125], v[50:51], v[56:57] op_sel_hi:[0,1,1]
	v_mov_b32_e32 v51, v130
	s_waitcnt vmcnt(6)
	v_pk_fma_f32 v[56:57], v[120:121], v[48:49], v[56:57] op_sel_hi:[0,1,1]
	v_mov_b32_e32 v48, v108
	v_pk_fma_f32 v[56:57], v[120:121], v[50:51], v[56:57] op_sel:[1,0,0]
	v_mov_b32_e32 v54, v123
	v_mov_b32_e32 v51, v108
	v_pk_fma_f32 v[56:57], v[122:123], v[48:49], v[56:57] op_sel_hi:[0,1,1]
	v_mov_b32_e32 v48, v112
	v_pk_fma_f32 v[56:57], v[54:55], v[50:51], v[56:57] op_sel_hi:[0,1,1]
	v_mov_b32_e32 v51, v112
	s_waitcnt vmcnt(5)
	v_pk_fma_f32 v[56:57], v[20:21], v[48:49], v[56:57] op_sel_hi:[0,1,1]
	v_mov_b32_e32 v48, v61
	v_pk_fma_f32 v[58:59], v[20:21], v[50:51], v[56:57] op_sel:[1,0,0]
	v_pk_fma_f32 v[40:41], v[116:117], v[48:49], v[40:41] op_sel_hi:[0,1,1]
	v_mov_b32_e32 v51, v61
	v_mov_b32_e32 v48, v127
	v_pk_fma_f32 v[40:41], v[116:117], v[50:51], v[40:41] op_sel:[1,0,0]
	v_mov_b32_e32 v51, v127
	v_pk_fma_f32 v[40:41], v[118:119], v[48:49], v[40:41] op_sel_hi:[0,1,1]
	v_mov_b32_e32 v48, v131
	v_pk_fma_f32 v[40:41], v[124:125], v[50:51], v[40:41] op_sel_hi:[0,1,1]
	;; [unrolled: 2-line block ×3, first 2 shown]
	v_mov_b32_e32 v48, v109
	v_pk_fma_f32 v[40:41], v[120:121], v[50:51], v[40:41] op_sel:[1,0,0]
	v_mov_b32_e32 v51, v109
	v_pk_fma_f32 v[40:41], v[122:123], v[48:49], v[40:41] op_sel_hi:[0,1,1]
	v_mov_b32_e32 v48, v113
	v_pk_fma_f32 v[40:41], v[54:55], v[50:51], v[40:41] op_sel_hi:[0,1,1]
	;; [unrolled: 2-line block ×3, first 2 shown]
	v_mov_b32_e32 v48, v62
	v_pk_fma_f32 v[56:57], v[20:21], v[50:51], v[40:41] op_sel:[1,0,0]
	v_pk_fma_f32 v[40:41], v[116:117], v[48:49], v[44:45] op_sel_hi:[0,1,1]
	v_mov_b32_e32 v51, v62
	v_mov_b32_e32 v48, v128
	v_pk_fma_f32 v[40:41], v[116:117], v[50:51], v[40:41] op_sel:[1,0,0]
	v_mov_b32_e32 v51, v128
	v_pk_fma_f32 v[40:41], v[118:119], v[48:49], v[40:41] op_sel_hi:[0,1,1]
	v_mov_b32_e32 v48, v132
	v_pk_fma_f32 v[40:41], v[124:125], v[50:51], v[40:41] op_sel_hi:[0,1,1]
	;; [unrolled: 2-line block ×3, first 2 shown]
	v_mov_b32_e32 v48, v110
	v_pk_fma_f32 v[40:41], v[120:121], v[50:51], v[40:41] op_sel:[1,0,0]
	v_mov_b32_e32 v51, v110
	v_pk_fma_f32 v[40:41], v[122:123], v[48:49], v[40:41] op_sel_hi:[0,1,1]
	v_mov_b32_e32 v48, v114
	v_pk_fma_f32 v[40:41], v[54:55], v[50:51], v[40:41] op_sel_hi:[0,1,1]
	;; [unrolled: 2-line block ×3, first 2 shown]
	v_mov_b32_e32 v48, v63
	v_pk_fma_f32 v[40:41], v[20:21], v[50:51], v[40:41] op_sel:[1,0,0]
	v_pk_fma_f32 v[38:39], v[116:117], v[48:49], v[38:39] op_sel_hi:[0,1,1]
	v_mov_b32_e32 v51, v63
	v_mov_b32_e32 v48, v129
	v_pk_fma_f32 v[38:39], v[116:117], v[50:51], v[38:39] op_sel:[1,0,0]
	v_mov_b32_e32 v51, v129
	v_pk_fma_f32 v[38:39], v[118:119], v[48:49], v[38:39] op_sel_hi:[0,1,1]
	v_pk_fma_f32 v[62:63], v[124:125], v[50:51], v[38:39] op_sel_hi:[0,1,1]
	v_mov_b32_e32 v48, v133
	v_mov_b32_e32 v51, v133
	v_pk_fma_f32 v[62:63], v[120:121], v[48:49], v[62:63] op_sel_hi:[0,1,1]
	v_mov_b32_e32 v48, v111
	v_pk_fma_f32 v[62:63], v[120:121], v[50:51], v[62:63] op_sel:[1,0,0]
	v_mov_b32_e32 v51, v111
	v_pk_fma_f32 v[108:109], v[122:123], v[48:49], v[62:63] op_sel_hi:[0,1,1]
	v_mov_b32_e32 v48, v115
	v_pk_fma_f32 v[54:55], v[54:55], v[50:51], v[108:109] op_sel_hi:[0,1,1]
	;; [unrolled: 2-line block ×3, first 2 shown]
	v_mov_b32_e32 v48, v104
	v_mov_b32_e32 v52, v23
	v_pk_fma_f32 v[20:21], v[20:21], v[50:51], v[54:55] op_sel:[1,0,0]
	v_pk_fma_f32 v[54:55], v[22:23], v[48:49], v[58:59] op_sel_hi:[0,1,1]
	v_mov_b32_e32 v51, v104
	v_mov_b32_e32 v48, v100
	v_pk_fma_f32 v[54:55], v[52:53], v[50:51], v[54:55] op_sel_hi:[0,1,1]
	v_mov_b32_e32 v51, v100
	s_waitcnt vmcnt(4)
	v_pk_fma_f32 v[54:55], v[16:17], v[48:49], v[54:55] op_sel_hi:[0,1,1]
	v_mov_b32_e32 v48, v92
	v_pk_fma_f32 v[54:55], v[16:17], v[50:51], v[54:55] op_sel:[1,0,0]
	v_mov_b32_e32 v42, v19
	v_mov_b32_e32 v51, v92
	v_pk_fma_f32 v[54:55], v[18:19], v[48:49], v[54:55] op_sel_hi:[0,1,1]
	v_mov_b32_e32 v48, v96
	v_pk_fma_f32 v[54:55], v[42:43], v[50:51], v[54:55] op_sel_hi:[0,1,1]
	v_mov_b32_e32 v51, v96
	s_waitcnt vmcnt(3)
	v_pk_fma_f32 v[54:55], v[12:13], v[48:49], v[54:55] op_sel_hi:[0,1,1]
	v_mov_b32_e32 v48, v88
	v_pk_fma_f32 v[54:55], v[12:13], v[50:51], v[54:55] op_sel:[1,0,0]
	v_mov_b32_e32 v44, v15
	v_mov_b32_e32 v51, v88
	v_pk_fma_f32 v[54:55], v[14:15], v[48:49], v[54:55] op_sel_hi:[0,1,1]
	v_mov_b32_e32 v48, v80
	v_pk_fma_f32 v[54:55], v[44:45], v[50:51], v[54:55] op_sel_hi:[0,1,1]
	s_waitcnt vmcnt(2)
	v_pk_fma_f32 v[54:55], v[8:9], v[48:49], v[54:55] op_sel_hi:[0,1,1]
	v_mov_b32_e32 v48, v105
	v_mov_b32_e32 v51, v105
	v_pk_fma_f32 v[56:57], v[22:23], v[48:49], v[56:57] op_sel_hi:[0,1,1]
	v_mov_b32_e32 v48, v101
	v_pk_fma_f32 v[56:57], v[52:53], v[50:51], v[56:57] op_sel_hi:[0,1,1]
	v_mov_b32_e32 v51, v101
	v_pk_fma_f32 v[56:57], v[16:17], v[48:49], v[56:57] op_sel_hi:[0,1,1]
	v_mov_b32_e32 v48, v93
	v_pk_fma_f32 v[56:57], v[16:17], v[50:51], v[56:57] op_sel:[1,0,0]
	v_mov_b32_e32 v51, v93
	v_pk_fma_f32 v[56:57], v[18:19], v[48:49], v[56:57] op_sel_hi:[0,1,1]
	v_mov_b32_e32 v48, v97
	v_pk_fma_f32 v[56:57], v[42:43], v[50:51], v[56:57] op_sel_hi:[0,1,1]
	v_mov_b32_e32 v51, v97
	v_pk_fma_f32 v[56:57], v[12:13], v[48:49], v[56:57] op_sel_hi:[0,1,1]
	v_mov_b32_e32 v48, v89
	v_pk_fma_f32 v[56:57], v[12:13], v[50:51], v[56:57] op_sel:[1,0,0]
	v_mov_b32_e32 v51, v89
	v_pk_fma_f32 v[56:57], v[14:15], v[48:49], v[56:57] op_sel_hi:[0,1,1]
	v_mov_b32_e32 v48, v81
	v_pk_fma_f32 v[56:57], v[44:45], v[50:51], v[56:57] op_sel_hi:[0,1,1]
	v_pk_fma_f32 v[56:57], v[8:9], v[48:49], v[56:57] op_sel_hi:[0,1,1]
	v_mov_b32_e32 v48, v106
	v_mov_b32_e32 v51, v106
	v_pk_fma_f32 v[40:41], v[22:23], v[48:49], v[40:41] op_sel_hi:[0,1,1]
	v_mov_b32_e32 v48, v102
	v_pk_fma_f32 v[40:41], v[52:53], v[50:51], v[40:41] op_sel_hi:[0,1,1]
	v_mov_b32_e32 v51, v102
	v_pk_fma_f32 v[40:41], v[16:17], v[48:49], v[40:41] op_sel_hi:[0,1,1]
	v_mov_b32_e32 v48, v94
	v_pk_fma_f32 v[40:41], v[16:17], v[50:51], v[40:41] op_sel:[1,0,0]
	v_mov_b32_e32 v51, v94
	v_pk_fma_f32 v[40:41], v[18:19], v[48:49], v[40:41] op_sel_hi:[0,1,1]
	v_mov_b32_e32 v48, v98
	v_pk_fma_f32 v[40:41], v[42:43], v[50:51], v[40:41] op_sel_hi:[0,1,1]
	v_mov_b32_e32 v51, v98
	v_pk_fma_f32 v[40:41], v[12:13], v[48:49], v[40:41] op_sel_hi:[0,1,1]
	v_mov_b32_e32 v48, v90
	v_pk_fma_f32 v[40:41], v[12:13], v[50:51], v[40:41] op_sel:[1,0,0]
	v_mov_b32_e32 v51, v90
	v_pk_fma_f32 v[40:41], v[14:15], v[48:49], v[40:41] op_sel_hi:[0,1,1]
	v_mov_b32_e32 v48, v82
	v_pk_fma_f32 v[40:41], v[44:45], v[50:51], v[40:41] op_sel_hi:[0,1,1]
	;; [unrolled: 22-line block ×3, first 2 shown]
	v_mov_b32_e32 v51, v80
	v_pk_fma_f32 v[12:13], v[8:9], v[48:49], v[12:13] op_sel_hi:[0,1,1]
	v_pk_fma_f32 v[14:15], v[8:9], v[50:51], v[54:55] op_sel:[1,0,0]
	v_mov_b32_e32 v48, v72
	v_mov_b32_e32 v60, v11
	;; [unrolled: 1-line block ×3, first 2 shown]
	v_pk_fma_f32 v[14:15], v[10:11], v[48:49], v[14:15] op_sel_hi:[0,1,1]
	v_mov_b32_e32 v48, v84
	v_pk_fma_f32 v[14:15], v[60:61], v[50:51], v[14:15] op_sel_hi:[0,1,1]
	v_mov_b32_e32 v51, v84
	s_waitcnt vmcnt(1)
	v_pk_fma_f32 v[14:15], v[4:5], v[48:49], v[14:15] op_sel_hi:[0,1,1]
	v_mov_b32_e32 v48, v76
	v_pk_fma_f32 v[14:15], v[4:5], v[50:51], v[14:15] op_sel:[1,0,0]
	v_mov_b32_e32 v38, v7
	v_mov_b32_e32 v51, v76
	v_pk_fma_f32 v[14:15], v[6:7], v[48:49], v[14:15] op_sel_hi:[0,1,1]
	v_mov_b32_e32 v48, v68
	v_pk_fma_f32 v[14:15], v[38:39], v[50:51], v[14:15] op_sel_hi:[0,1,1]
	v_mov_b32_e32 v51, v68
	s_waitcnt vmcnt(0)
	v_pk_fma_f32 v[14:15], v[0:1], v[48:49], v[14:15] op_sel_hi:[0,1,1]
	v_mov_b32_e32 v48, v64
	v_pk_fma_f32 v[14:15], v[0:1], v[50:51], v[14:15] op_sel:[1,0,0]
	v_mov_b32_e32 v62, v3
	v_mov_b32_e32 v51, v64
	v_pk_fma_f32 v[14:15], v[2:3], v[48:49], v[14:15] op_sel_hi:[0,1,1]
	v_pk_fma_f32 v[42:43], v[62:63], v[50:51], v[14:15] op_sel_hi:[0,1,1]
	v_mov_b32_e32 v51, v81
	v_mov_b32_e32 v48, v73
	v_pk_fma_f32 v[14:15], v[8:9], v[50:51], v[56:57] op_sel:[1,0,0]
	v_mov_b32_e32 v51, v73
	v_pk_fma_f32 v[14:15], v[10:11], v[48:49], v[14:15] op_sel_hi:[0,1,1]
	v_mov_b32_e32 v48, v85
	v_pk_fma_f32 v[14:15], v[60:61], v[50:51], v[14:15] op_sel_hi:[0,1,1]
	v_mov_b32_e32 v51, v85
	v_pk_fma_f32 v[14:15], v[4:5], v[48:49], v[14:15] op_sel_hi:[0,1,1]
	v_mov_b32_e32 v48, v77
	v_pk_fma_f32 v[14:15], v[4:5], v[50:51], v[14:15] op_sel:[1,0,0]
	v_mov_b32_e32 v51, v77
	v_pk_fma_f32 v[14:15], v[6:7], v[48:49], v[14:15] op_sel_hi:[0,1,1]
	v_mov_b32_e32 v48, v69
	v_pk_fma_f32 v[14:15], v[38:39], v[50:51], v[14:15] op_sel_hi:[0,1,1]
	v_mov_b32_e32 v51, v69
	v_pk_fma_f32 v[14:15], v[0:1], v[48:49], v[14:15] op_sel_hi:[0,1,1]
	v_mov_b32_e32 v48, v65
	v_pk_fma_f32 v[14:15], v[0:1], v[50:51], v[14:15] op_sel:[1,0,0]
	v_mov_b32_e32 v51, v65
	v_pk_fma_f32 v[14:15], v[2:3], v[48:49], v[14:15] op_sel_hi:[0,1,1]
	v_pk_fma_f32 v[40:41], v[62:63], v[50:51], v[14:15] op_sel_hi:[0,1,1]
	v_mov_b32_e32 v51, v82
	v_mov_b32_e32 v48, v74
	v_pk_fma_f32 v[14:15], v[8:9], v[50:51], v[58:59] op_sel:[1,0,0]
	v_mov_b32_e32 v51, v74
	v_pk_fma_f32 v[14:15], v[10:11], v[48:49], v[14:15] op_sel_hi:[0,1,1]
	v_mov_b32_e32 v48, v86
	v_pk_fma_f32 v[14:15], v[60:61], v[50:51], v[14:15] op_sel_hi:[0,1,1]
	v_mov_b32_e32 v51, v86
	v_pk_fma_f32 v[14:15], v[4:5], v[48:49], v[14:15] op_sel_hi:[0,1,1]
	v_mov_b32_e32 v48, v78
	v_pk_fma_f32 v[14:15], v[4:5], v[50:51], v[14:15] op_sel:[1,0,0]
	v_mov_b32_e32 v51, v78
	v_pk_fma_f32 v[14:15], v[6:7], v[48:49], v[14:15] op_sel_hi:[0,1,1]
	v_mov_b32_e32 v48, v70
	v_pk_fma_f32 v[14:15], v[38:39], v[50:51], v[14:15] op_sel_hi:[0,1,1]
	v_mov_b32_e32 v51, v70
	v_pk_fma_f32 v[14:15], v[0:1], v[48:49], v[14:15] op_sel_hi:[0,1,1]
	v_mov_b32_e32 v48, v66
	v_pk_fma_f32 v[14:15], v[0:1], v[50:51], v[14:15] op_sel:[1,0,0]
	;; [unrolled: 22-line block ×3, first 2 shown]
	v_mov_b32_e32 v51, v67
	v_pk_fma_f32 v[0:1], v[2:3], v[48:49], v[0:1] op_sel_hi:[0,1,1]
	v_pk_fma_f32 v[38:39], v[62:63], v[50:51], v[0:1] op_sel_hi:[0,1,1]
	s_andn2_b64 exec, exec, s[10:11]
	s_cbranch_execnz .LBB126_29
; %bb.30:
	s_or_b64 exec, exec, s[10:11]
.LBB126_31:
	s_or_b64 exec, exec, s[4:5]
	v_mov_b32_e32 v31, v43
.LBB126_32:
	s_or_b64 exec, exec, s[8:9]
.LBB126_33:
	v_mov_b32_dpp v6, v41 row_shr:1 row_mask:0xf bank_mask:0xf
	v_add_f32_e32 v6, v41, v6
	v_mov_b32_dpp v0, v42 row_shr:1 row_mask:0xf bank_mask:0xf
	v_mov_b32_dpp v2, v31 row_shr:1 row_mask:0xf bank_mask:0xf
	;; [unrolled: 1-line block ×3, first 2 shown]
	v_add_f32_e32 v7, v6, v7
	v_mov_b32_dpp v6, v44 row_shr:1 row_mask:0xf bank_mask:0xf
	v_add_f32_e32 v6, v44, v6
	v_mov_b32_dpp v4, v40 row_shr:1 row_mask:0xf bank_mask:0xf
	;; [unrolled: 2-line block ×4, first 2 shown]
	v_add_f32_e32 v6, v45, v6
	v_add_f32_e32 v2, v31, v2
	;; [unrolled: 1-line block ×3, first 2 shown]
	v_mov_b32_dpp v11, v6 row_shr:2 row_mask:0xf bank_mask:0xf
	v_add_f32_e32 v11, v6, v11
	v_mov_b32_dpp v6, v38 row_shr:1 row_mask:0xf bank_mask:0xf
	v_add_f32_e32 v6, v38, v6
	v_mov_b32_dpp v1, v0 row_shr:2 row_mask:0xf bank_mask:0xf
	v_mov_b32_dpp v3, v2 row_shr:2 row_mask:0xf bank_mask:0xf
	;; [unrolled: 1-line block ×3, first 2 shown]
	v_add_f32_e32 v15, v6, v12
	v_mov_b32_dpp v6, v39 row_shr:1 row_mask:0xf bank_mask:0xf
	v_add_f32_e32 v6, v39, v6
	v_mov_b32_dpp v5, v4 row_shr:2 row_mask:0xf bank_mask:0xf
	;; [unrolled: 2-line block ×3, first 2 shown]
	v_add_f32_e32 v2, v2, v3
	v_add_f32_e32 v4, v4, v5
	v_add_f32_e32 v17, v6, v12
	v_mov_b32_dpp v1, v0 row_shr:4 row_mask:0xf bank_mask:0xe
	v_mov_b32_dpp v3, v2 row_shr:4 row_mask:0xf bank_mask:0xe
	;; [unrolled: 1-line block ×8, first 2 shown]
	v_cmp_eq_u32_e32 vcc, 7, v30
	s_and_b64 exec, exec, vcc
	s_cbranch_execz .LBB126_6
; %bb.34:
	s_load_dwordx2 s[0:1], s[0:1], 0x50
	v_cmp_eq_f32_e32 vcc, 0, v26
	s_xor_b64 s[2:3], s[6:7], -1
	v_add_f32_e32 v6, v0, v1
	v_add_f32_e32 v14, v2, v3
	;; [unrolled: 1-line block ×8, first 2 shown]
	s_and_b64 s[2:3], vcc, s[2:3]
	v_lshlrev_b32_e32 v16, 2, v28
	s_and_saveexec_b64 s[4:5], s[2:3]
	s_xor_b64 s[2:3], exec, s[4:5]
	s_cbranch_execz .LBB126_36
; %bb.35:
	v_xor_b32_e32 v18, 0x80000000, v25
	v_mov_b32_e32 v19, v24
	v_pk_mul_f32 v[14:15], v[14:15], v[18:19] op_sel_hi:[0,1]
	v_ashrrev_i32_e32 v17, 31, v16
	v_pk_fma_f32 v[14:15], v[24:25], v[6:7], v[14:15] op_sel_hi:[1,0,1]
	v_pk_mul_f32 v[6:7], v[12:13], v[18:19] op_sel_hi:[0,1]
	s_waitcnt lgkmcnt(0)
	v_lshl_add_u64 v[20:21], v[16:17], 3, s[0:1]
	v_pk_fma_f32 v[16:17], v[24:25], v[4:5], v[6:7] op_sel_hi:[1,0,1]
	v_pk_mul_f32 v[4:5], v[10:11], v[18:19] op_sel_hi:[0,1]
	v_pk_fma_f32 v[2:3], v[24:25], v[2:3], v[4:5] op_sel_hi:[1,0,1]
	v_pk_mul_f32 v[4:5], v[8:9], v[18:19] op_sel_hi:[0,1]
	v_pk_fma_f32 v[4:5], v[24:25], v[0:1], v[4:5] op_sel_hi:[1,0,1]
	global_store_dwordx4 v[20:21], v[14:17], off
	global_store_dwordx4 v[20:21], v[2:5], off offset:16
                                        ; implicit-def: $vgpr6
                                        ; implicit-def: $vgpr14
                                        ; implicit-def: $vgpr4
                                        ; implicit-def: $vgpr12
                                        ; implicit-def: $vgpr2
                                        ; implicit-def: $vgpr10
                                        ; implicit-def: $vgpr0
                                        ; implicit-def: $vgpr8
                                        ; implicit-def: $vgpr24_vgpr25
                                        ; implicit-def: $vgpr26_vgpr27
                                        ; implicit-def: $vgpr16
.LBB126_36:
	s_andn2_saveexec_b64 s[2:3], s[2:3]
	s_cbranch_execz .LBB126_6
; %bb.37:
	v_ashrrev_i32_e32 v17, 31, v16
	s_waitcnt lgkmcnt(0)
	v_lshl_add_u64 v[28:29], v[16:17], 3, s[0:1]
	global_load_dwordx4 v[16:19], v[28:29], off
	global_load_dwordx4 v[20:23], v[28:29], off offset:16
	v_xor_b32_e32 v30, 0x80000000, v25
	v_mov_b32_e32 v31, v24
	v_pk_mul_f32 v[14:15], v[14:15], v[30:31] op_sel_hi:[0,1]
	v_pk_mul_f32 v[12:13], v[12:13], v[30:31] op_sel_hi:[0,1]
	;; [unrolled: 1-line block ×4, first 2 shown]
	v_pk_fma_f32 v[6:7], v[24:25], v[6:7], v[14:15] op_sel_hi:[1,0,1]
	v_pk_fma_f32 v[4:5], v[24:25], v[4:5], v[12:13] op_sel_hi:[1,0,1]
	v_xor_b32_e32 v32, 0x80000000, v27
	v_mov_b32_e32 v33, v26
	v_pk_fma_f32 v[2:3], v[24:25], v[2:3], v[10:11] op_sel_hi:[1,0,1]
	v_pk_fma_f32 v[0:1], v[24:25], v[0:1], v[8:9] op_sel_hi:[1,0,1]
	s_waitcnt vmcnt(1)
	v_pk_fma_f32 v[6:7], v[26:27], v[16:17], v[6:7] op_sel_hi:[1,0,1]
	v_pk_fma_f32 v[4:5], v[26:27], v[18:19], v[4:5] op_sel_hi:[1,0,1]
	v_mov_b32_e32 v8, v19
	s_waitcnt vmcnt(0)
	v_pk_fma_f32 v[10:11], v[26:27], v[20:21], v[2:3] op_sel_hi:[1,0,1]
	v_pk_fma_f32 v[12:13], v[26:27], v[22:23], v[0:1] op_sel_hi:[1,0,1]
	v_mov_b32_e32 v14, v23
	v_pk_fma_f32 v[0:1], v[32:33], v[16:17], v[6:7] op_sel:[0,1,0]
	v_pk_fma_f32 v[2:3], v[32:33], v[8:9], v[4:5] op_sel_hi:[1,0,1]
	v_pk_fma_f32 v[4:5], v[32:33], v[20:21], v[10:11] op_sel:[0,1,0]
	v_pk_fma_f32 v[6:7], v[32:33], v[14:15], v[12:13] op_sel_hi:[1,0,1]
	global_store_dwordx4 v[28:29], v[0:3], off
	global_store_dwordx4 v[28:29], v[4:7], off offset:16
	s_endpgm
	.section	.rodata,"a",@progbits
	.p2align	6, 0x0
	.amdhsa_kernel _ZN9rocsparseL18bsrxmvn_4x4_kernelILj128ELj8E21rocsparse_complex_numIfElifS2_S2_EEvT3_20rocsparse_direction_NS_24const_host_device_scalarIT1_EES3_PKS3_PKT2_SC_S9_PKT4_PKT5_S7_PT6_21rocsparse_index_base_b
		.amdhsa_group_segment_fixed_size 0
		.amdhsa_private_segment_fixed_size 0
		.amdhsa_kernarg_size 96
		.amdhsa_user_sgpr_count 2
		.amdhsa_user_sgpr_dispatch_ptr 0
		.amdhsa_user_sgpr_queue_ptr 0
		.amdhsa_user_sgpr_kernarg_segment_ptr 1
		.amdhsa_user_sgpr_dispatch_id 0
		.amdhsa_user_sgpr_kernarg_preload_length 0
		.amdhsa_user_sgpr_kernarg_preload_offset 0
		.amdhsa_user_sgpr_private_segment_size 0
		.amdhsa_uses_dynamic_stack 0
		.amdhsa_enable_private_segment 0
		.amdhsa_system_sgpr_workgroup_id_x 1
		.amdhsa_system_sgpr_workgroup_id_y 0
		.amdhsa_system_sgpr_workgroup_id_z 0
		.amdhsa_system_sgpr_workgroup_info 0
		.amdhsa_system_vgpr_workitem_id 0
		.amdhsa_next_free_vgpr 134
		.amdhsa_next_free_sgpr 22
		.amdhsa_accum_offset 136
		.amdhsa_reserve_vcc 1
		.amdhsa_float_round_mode_32 0
		.amdhsa_float_round_mode_16_64 0
		.amdhsa_float_denorm_mode_32 3
		.amdhsa_float_denorm_mode_16_64 3
		.amdhsa_dx10_clamp 1
		.amdhsa_ieee_mode 1
		.amdhsa_fp16_overflow 0
		.amdhsa_tg_split 0
		.amdhsa_exception_fp_ieee_invalid_op 0
		.amdhsa_exception_fp_denorm_src 0
		.amdhsa_exception_fp_ieee_div_zero 0
		.amdhsa_exception_fp_ieee_overflow 0
		.amdhsa_exception_fp_ieee_underflow 0
		.amdhsa_exception_fp_ieee_inexact 0
		.amdhsa_exception_int_div_zero 0
	.end_amdhsa_kernel
	.section	.text._ZN9rocsparseL18bsrxmvn_4x4_kernelILj128ELj8E21rocsparse_complex_numIfElifS2_S2_EEvT3_20rocsparse_direction_NS_24const_host_device_scalarIT1_EES3_PKS3_PKT2_SC_S9_PKT4_PKT5_S7_PT6_21rocsparse_index_base_b,"axG",@progbits,_ZN9rocsparseL18bsrxmvn_4x4_kernelILj128ELj8E21rocsparse_complex_numIfElifS2_S2_EEvT3_20rocsparse_direction_NS_24const_host_device_scalarIT1_EES3_PKS3_PKT2_SC_S9_PKT4_PKT5_S7_PT6_21rocsparse_index_base_b,comdat
.Lfunc_end126:
	.size	_ZN9rocsparseL18bsrxmvn_4x4_kernelILj128ELj8E21rocsparse_complex_numIfElifS2_S2_EEvT3_20rocsparse_direction_NS_24const_host_device_scalarIT1_EES3_PKS3_PKT2_SC_S9_PKT4_PKT5_S7_PT6_21rocsparse_index_base_b, .Lfunc_end126-_ZN9rocsparseL18bsrxmvn_4x4_kernelILj128ELj8E21rocsparse_complex_numIfElifS2_S2_EEvT3_20rocsparse_direction_NS_24const_host_device_scalarIT1_EES3_PKS3_PKT2_SC_S9_PKT4_PKT5_S7_PT6_21rocsparse_index_base_b
                                        ; -- End function
	.set _ZN9rocsparseL18bsrxmvn_4x4_kernelILj128ELj8E21rocsparse_complex_numIfElifS2_S2_EEvT3_20rocsparse_direction_NS_24const_host_device_scalarIT1_EES3_PKS3_PKT2_SC_S9_PKT4_PKT5_S7_PT6_21rocsparse_index_base_b.num_vgpr, 134
	.set _ZN9rocsparseL18bsrxmvn_4x4_kernelILj128ELj8E21rocsparse_complex_numIfElifS2_S2_EEvT3_20rocsparse_direction_NS_24const_host_device_scalarIT1_EES3_PKS3_PKT2_SC_S9_PKT4_PKT5_S7_PT6_21rocsparse_index_base_b.num_agpr, 0
	.set _ZN9rocsparseL18bsrxmvn_4x4_kernelILj128ELj8E21rocsparse_complex_numIfElifS2_S2_EEvT3_20rocsparse_direction_NS_24const_host_device_scalarIT1_EES3_PKS3_PKT2_SC_S9_PKT4_PKT5_S7_PT6_21rocsparse_index_base_b.numbered_sgpr, 22
	.set _ZN9rocsparseL18bsrxmvn_4x4_kernelILj128ELj8E21rocsparse_complex_numIfElifS2_S2_EEvT3_20rocsparse_direction_NS_24const_host_device_scalarIT1_EES3_PKS3_PKT2_SC_S9_PKT4_PKT5_S7_PT6_21rocsparse_index_base_b.num_named_barrier, 0
	.set _ZN9rocsparseL18bsrxmvn_4x4_kernelILj128ELj8E21rocsparse_complex_numIfElifS2_S2_EEvT3_20rocsparse_direction_NS_24const_host_device_scalarIT1_EES3_PKS3_PKT2_SC_S9_PKT4_PKT5_S7_PT6_21rocsparse_index_base_b.private_seg_size, 0
	.set _ZN9rocsparseL18bsrxmvn_4x4_kernelILj128ELj8E21rocsparse_complex_numIfElifS2_S2_EEvT3_20rocsparse_direction_NS_24const_host_device_scalarIT1_EES3_PKS3_PKT2_SC_S9_PKT4_PKT5_S7_PT6_21rocsparse_index_base_b.uses_vcc, 1
	.set _ZN9rocsparseL18bsrxmvn_4x4_kernelILj128ELj8E21rocsparse_complex_numIfElifS2_S2_EEvT3_20rocsparse_direction_NS_24const_host_device_scalarIT1_EES3_PKS3_PKT2_SC_S9_PKT4_PKT5_S7_PT6_21rocsparse_index_base_b.uses_flat_scratch, 0
	.set _ZN9rocsparseL18bsrxmvn_4x4_kernelILj128ELj8E21rocsparse_complex_numIfElifS2_S2_EEvT3_20rocsparse_direction_NS_24const_host_device_scalarIT1_EES3_PKS3_PKT2_SC_S9_PKT4_PKT5_S7_PT6_21rocsparse_index_base_b.has_dyn_sized_stack, 0
	.set _ZN9rocsparseL18bsrxmvn_4x4_kernelILj128ELj8E21rocsparse_complex_numIfElifS2_S2_EEvT3_20rocsparse_direction_NS_24const_host_device_scalarIT1_EES3_PKS3_PKT2_SC_S9_PKT4_PKT5_S7_PT6_21rocsparse_index_base_b.has_recursion, 0
	.set _ZN9rocsparseL18bsrxmvn_4x4_kernelILj128ELj8E21rocsparse_complex_numIfElifS2_S2_EEvT3_20rocsparse_direction_NS_24const_host_device_scalarIT1_EES3_PKS3_PKT2_SC_S9_PKT4_PKT5_S7_PT6_21rocsparse_index_base_b.has_indirect_call, 0
	.section	.AMDGPU.csdata,"",@progbits
; Kernel info:
; codeLenInByte = 6828
; TotalNumSgprs: 28
; NumVgprs: 134
; NumAgprs: 0
; TotalNumVgprs: 134
; ScratchSize: 0
; MemoryBound: 0
; FloatMode: 240
; IeeeMode: 1
; LDSByteSize: 0 bytes/workgroup (compile time only)
; SGPRBlocks: 3
; VGPRBlocks: 16
; NumSGPRsForWavesPerEU: 28
; NumVGPRsForWavesPerEU: 134
; AccumOffset: 136
; Occupancy: 3
; WaveLimiterHint : 1
; COMPUTE_PGM_RSRC2:SCRATCH_EN: 0
; COMPUTE_PGM_RSRC2:USER_SGPR: 2
; COMPUTE_PGM_RSRC2:TRAP_HANDLER: 0
; COMPUTE_PGM_RSRC2:TGID_X_EN: 1
; COMPUTE_PGM_RSRC2:TGID_Y_EN: 0
; COMPUTE_PGM_RSRC2:TGID_Z_EN: 0
; COMPUTE_PGM_RSRC2:TIDIG_COMP_CNT: 0
; COMPUTE_PGM_RSRC3_GFX90A:ACCUM_OFFSET: 33
; COMPUTE_PGM_RSRC3_GFX90A:TG_SPLIT: 0
	.section	.text._ZN9rocsparseL18bsrxmvn_4x4_kernelILj128ELj16E21rocsparse_complex_numIfElifS2_S2_EEvT3_20rocsparse_direction_NS_24const_host_device_scalarIT1_EES3_PKS3_PKT2_SC_S9_PKT4_PKT5_S7_PT6_21rocsparse_index_base_b,"axG",@progbits,_ZN9rocsparseL18bsrxmvn_4x4_kernelILj128ELj16E21rocsparse_complex_numIfElifS2_S2_EEvT3_20rocsparse_direction_NS_24const_host_device_scalarIT1_EES3_PKS3_PKT2_SC_S9_PKT4_PKT5_S7_PT6_21rocsparse_index_base_b,comdat
	.globl	_ZN9rocsparseL18bsrxmvn_4x4_kernelILj128ELj16E21rocsparse_complex_numIfElifS2_S2_EEvT3_20rocsparse_direction_NS_24const_host_device_scalarIT1_EES3_PKS3_PKT2_SC_S9_PKT4_PKT5_S7_PT6_21rocsparse_index_base_b ; -- Begin function _ZN9rocsparseL18bsrxmvn_4x4_kernelILj128ELj16E21rocsparse_complex_numIfElifS2_S2_EEvT3_20rocsparse_direction_NS_24const_host_device_scalarIT1_EES3_PKS3_PKT2_SC_S9_PKT4_PKT5_S7_PT6_21rocsparse_index_base_b
	.p2align	8
	.type	_ZN9rocsparseL18bsrxmvn_4x4_kernelILj128ELj16E21rocsparse_complex_numIfElifS2_S2_EEvT3_20rocsparse_direction_NS_24const_host_device_scalarIT1_EES3_PKS3_PKT2_SC_S9_PKT4_PKT5_S7_PT6_21rocsparse_index_base_b,@function
_ZN9rocsparseL18bsrxmvn_4x4_kernelILj128ELj16E21rocsparse_complex_numIfElifS2_S2_EEvT3_20rocsparse_direction_NS_24const_host_device_scalarIT1_EES3_PKS3_PKT2_SC_S9_PKT4_PKT5_S7_PT6_21rocsparse_index_base_b: ; @_ZN9rocsparseL18bsrxmvn_4x4_kernelILj128ELj16E21rocsparse_complex_numIfElifS2_S2_EEvT3_20rocsparse_direction_NS_24const_host_device_scalarIT1_EES3_PKS3_PKT2_SC_S9_PKT4_PKT5_S7_PT6_21rocsparse_index_base_b
; %bb.0:
	s_load_dwordx2 s[4:5], s[0:1], 0x8
	s_load_dwordx2 s[16:17], s[0:1], 0x58
	s_add_u32 s3, s0, 8
	s_addc_u32 s8, s1, 0
	s_load_dwordx2 s[6:7], s[0:1], 0x48
	s_add_u32 s9, s0, 0x48
	s_addc_u32 s10, s1, 0
	s_waitcnt lgkmcnt(0)
	s_bitcmp1_b32 s17, 0
	s_cselect_b32 s3, s3, s4
	s_cselect_b32 s5, s8, s5
	v_mov_b32_e32 v2, s3
	s_cselect_b32 s3, s10, s7
	s_cselect_b32 s4, s9, s6
	v_mov_b32_e32 v3, s5
	v_mov_b32_e32 v4, s4
	;; [unrolled: 1-line block ×3, first 2 shown]
	flat_load_dwordx2 v[24:25], v[2:3]
	flat_load_dwordx2 v[26:27], v[4:5]
	s_waitcnt vmcnt(0) lgkmcnt(0)
	v_cmp_neq_f32_e32 vcc, 0, v24
	v_cmp_neq_f32_e64 s[4:5], 0, v25
	v_cmp_neq_f32_e64 s[8:9], 1.0, v26
	v_cmp_neq_f32_e64 s[6:7], 0, v27
	s_or_b64 s[4:5], vcc, s[4:5]
	s_or_b64 s[8:9], s[8:9], s[6:7]
	s_or_b64 s[4:5], s[4:5], s[8:9]
	s_and_saveexec_b64 s[8:9], s[4:5]
	s_cbranch_execz .LBB127_6
; %bb.1:
	s_load_dwordx2 s[8:9], s[0:1], 0x18
	s_load_dwordx2 s[4:5], s[0:1], 0x0
	v_lshrrev_b32_e32 v1, 4, v0
	v_lshl_or_b32 v28, s2, 3, v1
	s_mov_b64 s[2:3], 0
	s_waitcnt lgkmcnt(0)
	s_cmp_lg_u64 s[8:9], 0
	s_cbranch_scc0 .LBB127_7
; %bb.2:
	s_load_dword s10, s[0:1], 0x10
                                        ; implicit-def: $vgpr1
	s_waitcnt lgkmcnt(0)
	v_cmp_gt_i32_e32 vcc, s10, v28
	s_and_saveexec_b64 s[10:11], vcc
	s_xor_b64 s[10:11], exec, s[10:11]
	s_cbranch_execz .LBB127_4
; %bb.3:
	v_ashrrev_i32_e32 v29, 31, v28
	v_lshl_add_u64 v[2:3], v[28:29], 2, s[8:9]
	global_load_dword v1, v[2:3], off
	s_mov_b64 s[2:3], exec
	s_waitcnt vmcnt(0)
	v_subrev_u32_e32 v1, s16, v1
.LBB127_4:
	s_or_b64 exec, exec, s[10:11]
	s_branch .LBB127_8
.LBB127_5:
	v_cmp_gt_i32_e32 vcc, s4, v28
	s_andn2_b64 s[2:3], s[2:3], exec
	s_and_b64 s[8:9], vcc, exec
	s_or_b64 s[2:3], s[2:3], s[8:9]
	s_and_b64 exec, exec, s[2:3]
	s_cbranch_execnz .LBB127_9
.LBB127_6:
	s_endpgm
.LBB127_7:
                                        ; implicit-def: $vgpr1
	s_cbranch_execnz .LBB127_5
.LBB127_8:
	v_mov_b32_e32 v28, v1
	s_and_b64 exec, exec, s[2:3]
	s_cbranch_execz .LBB127_6
.LBB127_9:
	s_load_dwordx8 s[8:15], s[0:1], 0x20
	v_ashrrev_i32_e32 v29, 31, v28
	v_lshlrev_b64 v[2:3], 3, v[28:29]
	s_load_dwordx2 s[2:3], s[0:1], 0x40
	v_and_b32_e32 v30, 15, v0
	s_waitcnt lgkmcnt(0)
	v_lshl_add_u64 v[4:5], s[8:9], 0, v[2:3]
	s_cmp_eq_u64 s[10:11], 0
	v_lshl_add_u64 v[2:3], s[10:11], 0, v[2:3]
	global_load_dwordx2 v[16:17], v[4:5], off
	v_lshl_add_u64 v[4:5], v[4:5], 0, 8
	s_cselect_b64 vcc, -1, 0
	v_cndmask_b32_e32 v3, v3, v5, vcc
	v_cndmask_b32_e32 v2, v2, v4, vcc
	global_load_dwordx2 v[2:3], v[2:3], off
	v_mov_b32_e32 v31, 0
	s_cmp_eq_u32 s5, 1
	s_waitcnt vmcnt(1)
	v_subrev_co_u32_e32 v0, vcc, s16, v16
	s_nop 1
	v_subbrev_co_u32_e32 v1, vcc, 0, v17, vcc
	v_lshl_add_u64 v[32:33], v[0:1], 0, v[30:31]
	s_waitcnt vmcnt(0)
	v_subrev_co_u32_e32 v34, vcc, s16, v2
	v_lshlrev_b64 v[0:1], 6, v[32:33]
	s_nop 0
	v_subbrev_co_u32_e32 v35, vcc, 0, v3, vcc
	v_lshl_add_u64 v[36:37], s[14:15], 0, v[0:1]
	v_cmp_lt_i64_e64 s[4:5], v[32:33], v[34:35]
	s_cbranch_scc1 .LBB127_21
; %bb.10:
	v_mov_b32_e32 v42, v31
	v_mov_b32_e32 v41, v31
	;; [unrolled: 1-line block ×7, first 2 shown]
	s_and_saveexec_b64 s[8:9], s[4:5]
	s_cbranch_execz .LBB127_20
; %bb.11:
	v_or_b32_e32 v0, 16, v30
	v_subrev_co_u32_e32 v0, vcc, s16, v0
	v_not_b32_e32 v3, v17
	s_nop 0
	v_subb_co_u32_e64 v1, s[10:11], 0, 0, vcc
	v_lshl_add_u64 v[0:1], v[0:1], 0, v[16:17]
	v_cmp_gt_i64_e32 vcc, v[0:1], v[34:35]
	v_not_b32_e32 v2, v16
	v_mov_b32_e32 v39, 0
	v_cndmask_b32_e32 v1, v35, v1, vcc
	v_cndmask_b32_e32 v0, v34, v0, vcc
	v_sub_co_u32_e32 v4, vcc, s16, v30
	v_mov_b32_e32 v44, v39
	s_nop 0
	v_subb_co_u32_e64 v5, s[10:11], 0, 0, vcc
	v_lshl_add_u64 v[2:3], v[4:5], 0, v[2:3]
	v_lshl_add_u64 v[0:1], v[2:3], 0, v[0:1]
	v_and_b32_e32 v38, 48, v0
	v_cmp_ne_u64_e32 vcc, 48, v[38:39]
	v_mov_b32_e32 v38, v39
	v_mov_b32_e32 v45, v39
	;; [unrolled: 1-line block ×6, first 2 shown]
	v_mov_b64_e32 v[18:19], v[36:37]
	v_mov_b64_e32 v[20:21], v[32:33]
	s_and_saveexec_b64 s[10:11], vcc
	s_cbranch_execz .LBB127_15
; %bb.12:
	v_lshrrev_b32_e32 v2, 4, v0
	v_add_u32_e32 v2, 1, v2
	v_and_b32_e32 v2, 3, v2
	v_sub_co_u32_e32 v6, vcc, 0, v2
	v_mov_b32_e32 v3, 0
	s_nop 0
	v_subb_co_u32_e64 v7, s[18:19], 0, 0, vcc
	v_lshl_add_u64 v[4:5], v[32:33], 2, s[12:13]
	s_mov_b64 s[14:15], 0
	s_mov_b64 s[18:19], 0x400
	v_bfrev_b32_e32 v8, 1
	v_mov_b64_e32 v[20:21], v[32:33]
	v_mov_b64_e32 v[18:19], v[36:37]
	v_mov_b32_e32 v38, v3
	v_mov_b32_e32 v39, v3
	;; [unrolled: 1-line block ×8, first 2 shown]
.LBB127_13:                             ; =>This Inner Loop Header: Depth=1
	global_load_dword v2, v[4:5], off
	global_load_dwordx4 v[52:55], v[18:19], off offset:16
	global_load_dwordx4 v[56:59], v[18:19], off
	v_lshl_add_u64 v[6:7], v[6:7], 0, 1
	v_cmp_eq_u64_e32 vcc, 0, v[6:7]
	v_lshl_add_u64 v[20:21], v[20:21], 0, 16
	v_lshl_add_u64 v[4:5], v[4:5], 0, 64
	s_or_b64 s[14:15], vcc, s[14:15]
	s_waitcnt vmcnt(2)
	v_subrev_u32_e32 v2, s16, v2
	v_lshlrev_b32_e32 v10, 2, v2
	v_ashrrev_i32_e32 v11, 31, v10
	v_lshl_add_u64 v[14:15], v[10:11], 3, s[2:3]
	global_load_dwordx4 v[10:13], v[14:15], off
	global_load_dwordx4 v[46:49], v[14:15], off offset:16
	global_load_dwordx4 v[60:63], v[18:19], off offset:32
	;; [unrolled: 1-line block ×3, first 2 shown]
	s_waitcnt vmcnt(4)
	v_mov_b32_e32 v2, v56
	v_mov_b32_e32 v9, v56
	v_lshl_add_u64 v[18:19], v[18:19], 0, s[18:19]
	s_waitcnt vmcnt(3)
	v_pk_fma_f32 v[14:15], v[10:11], v[2:3], v[42:43] op_sel_hi:[0,1,1]
	v_mov_b32_e32 v2, v57
	v_pk_fma_f32 v[14:15], v[10:11], v[8:9], v[14:15] op_sel:[1,0,0]
	v_mov_b32_e32 v22, v13
	v_mov_b32_e32 v9, v57
	v_pk_fma_f32 v[14:15], v[12:13], v[2:3], v[14:15] op_sel_hi:[0,1,1]
	v_mov_b32_e32 v2, v58
	v_pk_fma_f32 v[14:15], v[22:23], v[8:9], v[14:15] op_sel_hi:[0,1,1]
	v_mov_b32_e32 v9, v58
	s_waitcnt vmcnt(2)
	v_pk_fma_f32 v[14:15], v[46:47], v[2:3], v[14:15] op_sel_hi:[0,1,1]
	v_mov_b32_e32 v2, v59
	v_pk_fma_f32 v[14:15], v[46:47], v[8:9], v[14:15] op_sel:[1,0,0]
	v_mov_b32_e32 v50, v49
	v_mov_b32_e32 v9, v59
	v_pk_fma_f32 v[14:15], v[48:49], v[2:3], v[14:15] op_sel_hi:[0,1,1]
	v_mov_b32_e32 v2, v52
	v_pk_fma_f32 v[42:43], v[50:51], v[8:9], v[14:15] op_sel_hi:[0,1,1]
	v_pk_fma_f32 v[14:15], v[10:11], v[2:3], v[40:41] op_sel_hi:[0,1,1]
	v_mov_b32_e32 v9, v52
	v_mov_b32_e32 v2, v53
	v_pk_fma_f32 v[14:15], v[10:11], v[8:9], v[14:15] op_sel:[1,0,0]
	v_mov_b32_e32 v9, v53
	v_pk_fma_f32 v[14:15], v[12:13], v[2:3], v[14:15] op_sel_hi:[0,1,1]
	v_mov_b32_e32 v2, v54
	v_pk_fma_f32 v[14:15], v[22:23], v[8:9], v[14:15] op_sel_hi:[0,1,1]
	;; [unrolled: 2-line block ×3, first 2 shown]
	v_mov_b32_e32 v2, v55
	v_pk_fma_f32 v[14:15], v[46:47], v[8:9], v[14:15] op_sel:[1,0,0]
	v_mov_b32_e32 v9, v55
	v_pk_fma_f32 v[14:15], v[48:49], v[2:3], v[14:15] op_sel_hi:[0,1,1]
	s_waitcnt vmcnt(1)
	v_mov_b32_e32 v2, v60
	v_pk_fma_f32 v[40:41], v[50:51], v[8:9], v[14:15] op_sel_hi:[0,1,1]
	v_pk_fma_f32 v[14:15], v[10:11], v[2:3], v[44:45] op_sel_hi:[0,1,1]
	v_mov_b32_e32 v9, v60
	v_mov_b32_e32 v2, v61
	v_pk_fma_f32 v[14:15], v[10:11], v[8:9], v[14:15] op_sel:[1,0,0]
	v_mov_b32_e32 v9, v61
	v_pk_fma_f32 v[14:15], v[12:13], v[2:3], v[14:15] op_sel_hi:[0,1,1]
	v_mov_b32_e32 v2, v62
	v_pk_fma_f32 v[14:15], v[22:23], v[8:9], v[14:15] op_sel_hi:[0,1,1]
	;; [unrolled: 2-line block ×3, first 2 shown]
	v_mov_b32_e32 v2, v63
	v_pk_fma_f32 v[14:15], v[46:47], v[8:9], v[14:15] op_sel:[1,0,0]
	v_mov_b32_e32 v9, v63
	v_pk_fma_f32 v[14:15], v[48:49], v[2:3], v[14:15] op_sel_hi:[0,1,1]
	s_waitcnt vmcnt(0)
	v_mov_b32_e32 v2, v64
	v_pk_fma_f32 v[44:45], v[50:51], v[8:9], v[14:15] op_sel_hi:[0,1,1]
	v_pk_fma_f32 v[14:15], v[10:11], v[2:3], v[38:39] op_sel_hi:[0,1,1]
	v_mov_b32_e32 v9, v64
	v_mov_b32_e32 v2, v65
	v_pk_fma_f32 v[10:11], v[10:11], v[8:9], v[14:15] op_sel:[1,0,0]
	v_mov_b32_e32 v9, v65
	v_pk_fma_f32 v[10:11], v[12:13], v[2:3], v[10:11] op_sel_hi:[0,1,1]
	v_mov_b32_e32 v2, v66
	v_pk_fma_f32 v[10:11], v[22:23], v[8:9], v[10:11] op_sel_hi:[0,1,1]
	;; [unrolled: 2-line block ×3, first 2 shown]
	v_mov_b32_e32 v2, v67
	v_pk_fma_f32 v[10:11], v[46:47], v[8:9], v[10:11] op_sel:[1,0,0]
	v_mov_b32_e32 v9, v67
	v_pk_fma_f32 v[10:11], v[48:49], v[2:3], v[10:11] op_sel_hi:[0,1,1]
	v_pk_fma_f32 v[38:39], v[50:51], v[8:9], v[10:11] op_sel_hi:[0,1,1]
	s_andn2_b64 exec, exec, s[14:15]
	s_cbranch_execnz .LBB127_13
; %bb.14:
	s_or_b64 exec, exec, s[14:15]
.LBB127_15:
	s_or_b64 exec, exec, s[10:11]
	v_cmp_lt_u64_e32 vcc, 47, v[0:1]
	s_and_saveexec_b64 s[10:11], vcc
	s_cbranch_execz .LBB127_19
; %bb.16:
	v_lshl_add_u64 v[0:1], v[20:21], 2, s[12:13]
	s_mov_b64 s[14:15], 0x80
	v_lshl_add_u64 v[22:23], v[0:1], 0, s[14:15]
	s_mov_b64 s[14:15], 0
	v_mov_b32_e32 v47, 0
	s_mov_b64 s[18:19], 0x1000
	s_mov_b64 s[20:21], 0x100
	v_bfrev_b32_e32 v48, 1
.LBB127_17:                             ; =>This Inner Loop Header: Depth=1
	global_load_dword v0, v[22:23], off offset:-128
	v_lshl_add_u64 v[20:21], v[20:21], 0, 64
	v_cmp_ge_i64_e32 vcc, v[20:21], v[34:35]
	s_or_b64 s[14:15], vcc, s[14:15]
	s_waitcnt vmcnt(0)
	v_subrev_u32_e32 v0, s16, v0
	v_lshlrev_b32_e32 v0, 2, v0
	v_ashrrev_i32_e32 v1, 31, v0
	v_lshl_add_u64 v[0:1], v[0:1], 3, s[2:3]
	global_load_dwordx4 v[8:11], v[0:1], off offset:16
	global_load_dwordx4 v[12:15], v[0:1], off
	global_load_dword v2, v[22:23], off offset:-64
	global_load_dwordx4 v[50:53], v[18:19], off offset:1072
	global_load_dwordx4 v[70:73], v[18:19], off offset:1056
	;; [unrolled: 1-line block ×4, first 2 shown]
	s_waitcnt vmcnt(6)
	v_mov_b32_e32 v56, v11
	s_waitcnt vmcnt(4)
	v_subrev_u32_e32 v0, s16, v2
	v_lshlrev_b32_e32 v0, 2, v0
	v_ashrrev_i32_e32 v1, 31, v0
	v_lshl_add_u64 v[54:55], v[0:1], 3, s[2:3]
	global_load_dwordx4 v[0:3], v[54:55], off offset:16
	global_load_dwordx4 v[4:7], v[54:55], off
	global_load_dwordx4 v[58:61], v[18:19], off offset:48
	global_load_dwordx4 v[66:69], v[18:19], off offset:32
	;; [unrolled: 1-line block ×3, first 2 shown]
	global_load_dwordx4 v[82:85], v[18:19], off
	v_mov_b32_e32 v54, v15
	s_waitcnt vmcnt(0)
	v_mov_b32_e32 v46, v82
	v_pk_fma_f32 v[42:43], v[12:13], v[46:47], v[42:43] op_sel_hi:[0,1,1]
	v_mov_b32_e32 v49, v82
	v_pk_fma_f32 v[42:43], v[12:13], v[48:49], v[42:43] op_sel:[1,0,0]
	v_mov_b32_e32 v46, v83
	v_pk_fma_f32 v[42:43], v[14:15], v[46:47], v[42:43] op_sel_hi:[0,1,1]
	v_mov_b32_e32 v49, v83
	v_pk_fma_f32 v[42:43], v[54:55], v[48:49], v[42:43] op_sel_hi:[0,1,1]
	v_mov_b32_e32 v46, v84
	v_pk_fma_f32 v[42:43], v[8:9], v[46:47], v[42:43] op_sel_hi:[0,1,1]
	v_mov_b32_e32 v49, v84
	v_pk_fma_f32 v[42:43], v[8:9], v[48:49], v[42:43] op_sel:[1,0,0]
	v_mov_b32_e32 v46, v85
	v_pk_fma_f32 v[42:43], v[10:11], v[46:47], v[42:43] op_sel_hi:[0,1,1]
	v_mov_b32_e32 v49, v85
	v_pk_fma_f32 v[42:43], v[56:57], v[48:49], v[42:43] op_sel_hi:[0,1,1]
	v_mov_b32_e32 v46, v62
	v_pk_fma_f32 v[42:43], v[4:5], v[46:47], v[42:43] op_sel_hi:[0,1,1]
	v_mov_b32_e32 v49, v62
	v_mov_b32_e32 v46, v78
	v_pk_fma_f32 v[42:43], v[4:5], v[48:49], v[42:43] op_sel:[1,0,0]
	v_pk_fma_f32 v[40:41], v[12:13], v[46:47], v[40:41] op_sel_hi:[0,1,1]
	v_mov_b32_e32 v49, v78
	v_pk_fma_f32 v[40:41], v[12:13], v[48:49], v[40:41] op_sel:[1,0,0]
	v_mov_b32_e32 v46, v79
	v_pk_fma_f32 v[40:41], v[14:15], v[46:47], v[40:41] op_sel_hi:[0,1,1]
	v_mov_b32_e32 v49, v79
	v_pk_fma_f32 v[40:41], v[54:55], v[48:49], v[40:41] op_sel_hi:[0,1,1]
	v_mov_b32_e32 v46, v80
	v_pk_fma_f32 v[40:41], v[8:9], v[46:47], v[40:41] op_sel_hi:[0,1,1]
	v_mov_b32_e32 v49, v80
	v_pk_fma_f32 v[40:41], v[8:9], v[48:49], v[40:41] op_sel:[1,0,0]
	v_mov_b32_e32 v46, v81
	v_pk_fma_f32 v[40:41], v[10:11], v[46:47], v[40:41] op_sel_hi:[0,1,1]
	v_mov_b32_e32 v49, v81
	v_pk_fma_f32 v[40:41], v[56:57], v[48:49], v[40:41] op_sel_hi:[0,1,1]
	v_mov_b32_e32 v46, v74
	v_pk_fma_f32 v[40:41], v[4:5], v[46:47], v[40:41] op_sel_hi:[0,1,1]
	v_mov_b32_e32 v49, v74
	v_mov_b32_e32 v46, v66
	v_pk_fma_f32 v[40:41], v[4:5], v[48:49], v[40:41] op_sel:[1,0,0]
	;; [unrolled: 20-line block ×3, first 2 shown]
	v_pk_fma_f32 v[38:39], v[12:13], v[46:47], v[38:39] op_sel_hi:[0,1,1]
	v_mov_b32_e32 v49, v58
	v_pk_fma_f32 v[12:13], v[12:13], v[48:49], v[38:39] op_sel:[1,0,0]
	v_mov_b32_e32 v46, v59
	v_pk_fma_f32 v[12:13], v[14:15], v[46:47], v[12:13] op_sel_hi:[0,1,1]
	v_mov_b32_e32 v49, v59
	v_pk_fma_f32 v[12:13], v[54:55], v[48:49], v[12:13] op_sel_hi:[0,1,1]
	;; [unrolled: 2-line block ×3, first 2 shown]
	v_mov_b32_e32 v49, v60
	v_pk_fma_f32 v[8:9], v[8:9], v[48:49], v[12:13] op_sel:[1,0,0]
	v_mov_b32_e32 v46, v61
	v_pk_fma_f32 v[8:9], v[10:11], v[46:47], v[8:9] op_sel_hi:[0,1,1]
	v_mov_b32_e32 v49, v61
	v_pk_fma_f32 v[8:9], v[56:57], v[48:49], v[8:9] op_sel_hi:[0,1,1]
	;; [unrolled: 2-line block ×3, first 2 shown]
	v_mov_b32_e32 v49, v50
	v_pk_fma_f32 v[4:5], v[4:5], v[48:49], v[8:9] op_sel:[1,0,0]
	global_load_dword v8, v[22:23], off
	v_mov_b32_e32 v46, v63
	v_mov_b32_e32 v50, v7
	;; [unrolled: 1-line block ×4, first 2 shown]
	s_waitcnt vmcnt(0)
	v_subrev_u32_e32 v8, s16, v8
	v_lshlrev_b32_e32 v8, 2, v8
	v_ashrrev_i32_e32 v9, 31, v8
	v_lshl_add_u64 v[12:13], v[8:9], 3, s[2:3]
	global_load_dwordx4 v[8:11], v[12:13], off offset:16
	global_load_dwordx4 v[54:57], v[12:13], off
	global_load_dword v14, v[22:23], off offset:64
	v_lshl_add_u64 v[22:23], v[22:23], 0, s[20:21]
	s_waitcnt vmcnt(0)
	v_subrev_u32_e32 v12, s16, v14
	v_lshlrev_b32_e32 v12, 2, v12
	v_ashrrev_i32_e32 v13, 31, v12
	v_lshl_add_u64 v[38:39], v[12:13], 3, s[2:3]
	global_load_dwordx4 v[12:15], v[38:39], off offset:16
	global_load_dwordx4 v[58:61], v[38:39], off
	global_load_dwordx4 v[78:81], v[18:19], off offset:2096
	global_load_dwordx4 v[82:85], v[18:19], off offset:2080
	;; [unrolled: 1-line block ×8, first 2 shown]
	v_pk_fma_f32 v[38:39], v[6:7], v[46:47], v[42:43] op_sel_hi:[0,1,1]
	v_pk_fma_f32 v[38:39], v[50:51], v[48:49], v[38:39] op_sel_hi:[0,1,1]
	v_mov_b32_e32 v46, v64
	v_pk_fma_f32 v[38:39], v[0:1], v[46:47], v[38:39] op_sel_hi:[0,1,1]
	v_mov_b32_e32 v49, v64
	v_pk_fma_f32 v[38:39], v[0:1], v[48:49], v[38:39] op_sel:[1,0,0]
	v_mov_b32_e32 v46, v65
	v_pk_fma_f32 v[38:39], v[2:3], v[46:47], v[38:39] op_sel_hi:[0,1,1]
	v_mov_b32_e32 v49, v65
	v_pk_fma_f32 v[38:39], v[62:63], v[48:49], v[38:39] op_sel_hi:[0,1,1]
	v_mov_b32_e32 v64, v57
	v_lshl_add_u64 v[18:19], v[18:19], 0, s[18:19]
	s_waitcnt vmcnt(9)
	v_mov_b32_e32 v70, v15
	s_waitcnt vmcnt(4)
	v_mov_b32_e32 v46, v66
	v_pk_fma_f32 v[38:39], v[54:55], v[46:47], v[38:39] op_sel_hi:[0,1,1]
	v_mov_b32_e32 v49, v66
	v_pk_fma_f32 v[38:39], v[54:55], v[48:49], v[38:39] op_sel:[1,0,0]
	v_mov_b32_e32 v46, v67
	v_pk_fma_f32 v[38:39], v[56:57], v[46:47], v[38:39] op_sel_hi:[0,1,1]
	v_mov_b32_e32 v49, v67
	v_pk_fma_f32 v[38:39], v[64:65], v[48:49], v[38:39] op_sel_hi:[0,1,1]
	;; [unrolled: 2-line block ×3, first 2 shown]
	v_mov_b32_e32 v49, v68
	v_pk_fma_f32 v[38:39], v[8:9], v[48:49], v[38:39] op_sel:[1,0,0]
	v_mov_b32_e32 v46, v69
	v_pk_fma_f32 v[38:39], v[10:11], v[46:47], v[38:39] op_sel_hi:[0,1,1]
	v_mov_b32_e32 v66, v11
	v_mov_b32_e32 v49, v69
	v_pk_fma_f32 v[38:39], v[66:67], v[48:49], v[38:39] op_sel_hi:[0,1,1]
	s_waitcnt vmcnt(0)
	v_mov_b32_e32 v46, v102
	v_pk_fma_f32 v[38:39], v[58:59], v[46:47], v[38:39] op_sel_hi:[0,1,1]
	v_mov_b32_e32 v49, v102
	v_pk_fma_f32 v[38:39], v[58:59], v[48:49], v[38:39] op_sel:[1,0,0]
	v_mov_b32_e32 v46, v103
	v_pk_fma_f32 v[38:39], v[60:61], v[46:47], v[38:39] op_sel_hi:[0,1,1]
	v_mov_b32_e32 v68, v61
	v_mov_b32_e32 v49, v103
	v_pk_fma_f32 v[38:39], v[68:69], v[48:49], v[38:39] op_sel_hi:[0,1,1]
	v_mov_b32_e32 v46, v104
	v_pk_fma_f32 v[38:39], v[12:13], v[46:47], v[38:39] op_sel_hi:[0,1,1]
	v_mov_b32_e32 v49, v104
	v_pk_fma_f32 v[38:39], v[12:13], v[48:49], v[38:39] op_sel:[1,0,0]
	v_mov_b32_e32 v46, v105
	v_pk_fma_f32 v[38:39], v[14:15], v[46:47], v[38:39] op_sel_hi:[0,1,1]
	v_mov_b32_e32 v49, v105
	v_mov_b32_e32 v46, v75
	v_pk_fma_f32 v[42:43], v[70:71], v[48:49], v[38:39] op_sel_hi:[0,1,1]
	v_pk_fma_f32 v[38:39], v[6:7], v[46:47], v[40:41] op_sel_hi:[0,1,1]
	v_mov_b32_e32 v49, v75
	v_pk_fma_f32 v[38:39], v[50:51], v[48:49], v[38:39] op_sel_hi:[0,1,1]
	v_mov_b32_e32 v46, v76
	v_pk_fma_f32 v[38:39], v[0:1], v[46:47], v[38:39] op_sel_hi:[0,1,1]
	v_mov_b32_e32 v49, v76
	v_pk_fma_f32 v[38:39], v[0:1], v[48:49], v[38:39] op_sel:[1,0,0]
	v_mov_b32_e32 v46, v77
	v_pk_fma_f32 v[38:39], v[2:3], v[46:47], v[38:39] op_sel_hi:[0,1,1]
	v_mov_b32_e32 v49, v77
	v_pk_fma_f32 v[38:39], v[62:63], v[48:49], v[38:39] op_sel_hi:[0,1,1]
	v_mov_b32_e32 v46, v86
	v_pk_fma_f32 v[38:39], v[54:55], v[46:47], v[38:39] op_sel_hi:[0,1,1]
	v_mov_b32_e32 v49, v86
	v_pk_fma_f32 v[38:39], v[54:55], v[48:49], v[38:39] op_sel:[1,0,0]
	v_mov_b32_e32 v46, v87
	v_pk_fma_f32 v[38:39], v[56:57], v[46:47], v[38:39] op_sel_hi:[0,1,1]
	v_mov_b32_e32 v49, v87
	v_pk_fma_f32 v[38:39], v[64:65], v[48:49], v[38:39] op_sel_hi:[0,1,1]
	v_mov_b32_e32 v46, v88
	v_pk_fma_f32 v[38:39], v[46:47], v[8:9], v[38:39] op_sel_hi:[1,0,1]
	v_mov_b32_e32 v49, v88
	v_pk_fma_f32 v[38:39], v[8:9], v[48:49], v[38:39] op_sel:[1,0,0]
	v_mov_b32_e32 v46, v89
	v_pk_fma_f32 v[38:39], v[10:11], v[46:47], v[38:39] op_sel_hi:[0,1,1]
	v_mov_b32_e32 v49, v89
	v_pk_fma_f32 v[38:39], v[66:67], v[48:49], v[38:39] op_sel_hi:[0,1,1]
	v_mov_b32_e32 v46, v98
	v_pk_fma_f32 v[38:39], v[58:59], v[46:47], v[38:39] op_sel_hi:[0,1,1]
	v_mov_b32_e32 v49, v98
	v_pk_fma_f32 v[38:39], v[58:59], v[48:49], v[38:39] op_sel:[1,0,0]
	v_mov_b32_e32 v46, v99
	v_pk_fma_f32 v[38:39], v[60:61], v[46:47], v[38:39] op_sel_hi:[0,1,1]
	v_mov_b32_e32 v49, v99
	v_pk_fma_f32 v[38:39], v[68:69], v[48:49], v[38:39] op_sel_hi:[0,1,1]
	v_mov_b32_e32 v46, v100
	v_pk_fma_f32 v[38:39], v[12:13], v[46:47], v[38:39] op_sel_hi:[0,1,1]
	v_mov_b32_e32 v49, v100
	v_pk_fma_f32 v[38:39], v[12:13], v[48:49], v[38:39] op_sel:[1,0,0]
	v_mov_b32_e32 v46, v101
	v_pk_fma_f32 v[38:39], v[14:15], v[46:47], v[38:39] op_sel_hi:[0,1,1]
	v_mov_b32_e32 v49, v101
	v_mov_b32_e32 v46, v71
	v_pk_fma_f32 v[40:41], v[70:71], v[48:49], v[38:39] op_sel_hi:[0,1,1]
	v_pk_fma_f32 v[38:39], v[6:7], v[46:47], v[44:45] op_sel_hi:[0,1,1]
	v_mov_b32_e32 v49, v71
	v_pk_fma_f32 v[38:39], v[50:51], v[48:49], v[38:39] op_sel_hi:[0,1,1]
	v_mov_b32_e32 v46, v72
	v_pk_fma_f32 v[38:39], v[0:1], v[46:47], v[38:39] op_sel_hi:[0,1,1]
	v_mov_b32_e32 v49, v72
	v_pk_fma_f32 v[38:39], v[0:1], v[48:49], v[38:39] op_sel:[1,0,0]
	v_mov_b32_e32 v46, v73
	v_pk_fma_f32 v[38:39], v[2:3], v[46:47], v[38:39] op_sel_hi:[0,1,1]
	v_mov_b32_e32 v49, v73
	v_pk_fma_f32 v[38:39], v[62:63], v[48:49], v[38:39] op_sel_hi:[0,1,1]
	v_mov_b32_e32 v46, v82
	v_pk_fma_f32 v[38:39], v[54:55], v[46:47], v[38:39] op_sel_hi:[0,1,1]
	v_mov_b32_e32 v49, v82
	v_pk_fma_f32 v[38:39], v[54:55], v[48:49], v[38:39] op_sel:[1,0,0]
	v_mov_b32_e32 v46, v83
	v_pk_fma_f32 v[38:39], v[56:57], v[46:47], v[38:39] op_sel_hi:[0,1,1]
	v_mov_b32_e32 v49, v83
	v_pk_fma_f32 v[38:39], v[64:65], v[48:49], v[38:39] op_sel_hi:[0,1,1]
	v_mov_b32_e32 v46, v84
	v_pk_fma_f32 v[38:39], v[46:47], v[8:9], v[38:39] op_sel_hi:[1,0,1]
	v_mov_b32_e32 v49, v84
	v_pk_fma_f32 v[38:39], v[8:9], v[48:49], v[38:39] op_sel:[1,0,0]
	v_mov_b32_e32 v46, v85
	v_pk_fma_f32 v[38:39], v[10:11], v[46:47], v[38:39] op_sel_hi:[0,1,1]
	v_mov_b32_e32 v49, v85
	v_pk_fma_f32 v[38:39], v[66:67], v[48:49], v[38:39] op_sel_hi:[0,1,1]
	v_mov_b32_e32 v46, v94
	v_pk_fma_f32 v[38:39], v[58:59], v[46:47], v[38:39] op_sel_hi:[0,1,1]
	v_mov_b32_e32 v49, v94
	v_pk_fma_f32 v[38:39], v[58:59], v[48:49], v[38:39] op_sel:[1,0,0]
	v_mov_b32_e32 v46, v95
	v_pk_fma_f32 v[38:39], v[60:61], v[46:47], v[38:39] op_sel_hi:[0,1,1]
	;; [unrolled: 44-line block ×3, first 2 shown]
	v_mov_b32_e32 v49, v91
	v_pk_fma_f32 v[0:1], v[68:69], v[48:49], v[0:1] op_sel_hi:[0,1,1]
	v_mov_b32_e32 v46, v92
	v_pk_fma_f32 v[0:1], v[12:13], v[46:47], v[0:1] op_sel_hi:[0,1,1]
	v_mov_b32_e32 v49, v92
	v_pk_fma_f32 v[0:1], v[12:13], v[48:49], v[0:1] op_sel:[1,0,0]
	v_mov_b32_e32 v46, v93
	v_pk_fma_f32 v[0:1], v[14:15], v[46:47], v[0:1] op_sel_hi:[0,1,1]
	v_mov_b32_e32 v49, v93
	v_pk_fma_f32 v[38:39], v[70:71], v[48:49], v[0:1] op_sel_hi:[0,1,1]
	s_andn2_b64 exec, exec, s[14:15]
	s_cbranch_execnz .LBB127_17
; %bb.18:
	s_or_b64 exec, exec, s[14:15]
.LBB127_19:
	s_or_b64 exec, exec, s[10:11]
	v_mov_b32_e32 v31, v43
.LBB127_20:
	s_or_b64 exec, exec, s[8:9]
	s_cbranch_execz .LBB127_22
	s_branch .LBB127_33
.LBB127_21:
                                        ; implicit-def: $vgpr42
                                        ; implicit-def: $vgpr41
                                        ; implicit-def: $vgpr45
                                        ; implicit-def: $vgpr39
.LBB127_22:
	v_mov_b32_e32 v31, 0
	v_mov_b32_e32 v42, 0
	;; [unrolled: 1-line block ×8, first 2 shown]
	s_and_saveexec_b64 s[8:9], s[4:5]
	s_cbranch_execz .LBB127_32
; %bb.23:
	v_or_b32_e32 v0, 16, v30
	v_subrev_co_u32_e32 v0, vcc, s16, v0
	v_not_b32_e32 v3, v17
	s_nop 0
	v_subb_co_u32_e64 v1, s[4:5], 0, 0, vcc
	v_lshl_add_u64 v[0:1], v[0:1], 0, v[16:17]
	v_cmp_gt_i64_e32 vcc, v[0:1], v[34:35]
	v_not_b32_e32 v2, v16
	v_mov_b32_e32 v39, 0
	v_cndmask_b32_e32 v1, v35, v1, vcc
	v_cndmask_b32_e32 v0, v34, v0, vcc
	v_sub_co_u32_e32 v4, vcc, s16, v30
	v_mov_b32_e32 v44, v39
	s_nop 0
	v_subb_co_u32_e64 v5, s[4:5], 0, 0, vcc
	v_lshl_add_u64 v[2:3], v[4:5], 0, v[2:3]
	v_lshl_add_u64 v[0:1], v[2:3], 0, v[0:1]
	v_and_b32_e32 v38, 48, v0
	v_cmp_ne_u64_e32 vcc, 48, v[38:39]
	v_mov_b32_e32 v38, v39
	v_mov_b32_e32 v45, v39
	;; [unrolled: 1-line block ×6, first 2 shown]
	s_and_saveexec_b64 s[4:5], vcc
	s_cbranch_execz .LBB127_27
; %bb.24:
	v_lshrrev_b32_e32 v2, 4, v0
	v_add_u32_e32 v2, 1, v2
	v_and_b32_e32 v2, 3, v2
	v_sub_co_u32_e32 v6, vcc, 0, v2
	v_mov_b32_e32 v3, 0
	s_nop 0
	v_subb_co_u32_e64 v7, s[14:15], 0, 0, vcc
	v_lshl_add_u64 v[4:5], v[32:33], 2, s[12:13]
	s_mov_b64 s[10:11], 0
	s_mov_b64 s[14:15], 0x400
	v_bfrev_b32_e32 v8, 1
	v_mov_b32_e32 v38, v3
	v_mov_b32_e32 v39, v3
	;; [unrolled: 1-line block ×8, first 2 shown]
.LBB127_25:                             ; =>This Inner Loop Header: Depth=1
	global_load_dword v2, v[4:5], off
	global_load_dwordx4 v[46:49], v[36:37], off offset:32
	global_load_dwordx4 v[50:53], v[36:37], off offset:16
	global_load_dwordx4 v[54:57], v[36:37], off
	v_lshl_add_u64 v[6:7], v[6:7], 0, 1
	v_cmp_eq_u64_e32 vcc, 0, v[6:7]
	v_lshl_add_u64 v[32:33], v[32:33], 0, 16
	v_lshl_add_u64 v[4:5], v[4:5], 0, 64
	s_or_b64 s[10:11], vcc, s[10:11]
	s_waitcnt vmcnt(3)
	v_subrev_u32_e32 v2, s16, v2
	v_lshlrev_b32_e32 v10, 2, v2
	v_ashrrev_i32_e32 v11, 31, v10
	v_lshl_add_u64 v[18:19], v[10:11], 3, s[2:3]
	global_load_dwordx4 v[10:13], v[18:19], off
	global_load_dwordx4 v[14:17], v[18:19], off offset:16
	global_load_dwordx4 v[58:61], v[36:37], off offset:48
	s_waitcnt vmcnt(3)
	v_mov_b32_e32 v2, v54
	v_mov_b32_e32 v9, v54
	v_lshl_add_u64 v[36:37], v[36:37], 0, s[14:15]
	s_waitcnt vmcnt(2)
	v_pk_fma_f32 v[18:19], v[10:11], v[2:3], v[42:43] op_sel_hi:[0,1,1]
	v_mov_b32_e32 v2, v50
	v_pk_fma_f32 v[18:19], v[10:11], v[8:9], v[18:19] op_sel:[1,0,0]
	v_mov_b32_e32 v20, v13
	v_mov_b32_e32 v9, v50
	v_pk_fma_f32 v[18:19], v[12:13], v[2:3], v[18:19] op_sel_hi:[0,1,1]
	v_mov_b32_e32 v2, v46
	v_pk_fma_f32 v[18:19], v[20:21], v[8:9], v[18:19] op_sel_hi:[0,1,1]
	v_mov_b32_e32 v9, v46
	s_waitcnt vmcnt(1)
	v_pk_fma_f32 v[18:19], v[14:15], v[2:3], v[18:19] op_sel_hi:[0,1,1]
	s_waitcnt vmcnt(0)
	v_mov_b32_e32 v2, v58
	v_pk_fma_f32 v[18:19], v[14:15], v[8:9], v[18:19] op_sel:[1,0,0]
	v_mov_b32_e32 v22, v17
	v_mov_b32_e32 v9, v58
	v_pk_fma_f32 v[18:19], v[16:17], v[2:3], v[18:19] op_sel_hi:[0,1,1]
	v_mov_b32_e32 v2, v55
	v_pk_fma_f32 v[42:43], v[22:23], v[8:9], v[18:19] op_sel_hi:[0,1,1]
	v_pk_fma_f32 v[18:19], v[10:11], v[2:3], v[40:41] op_sel_hi:[0,1,1]
	v_mov_b32_e32 v9, v55
	v_mov_b32_e32 v2, v51
	v_pk_fma_f32 v[18:19], v[10:11], v[8:9], v[18:19] op_sel:[1,0,0]
	v_mov_b32_e32 v9, v51
	v_pk_fma_f32 v[18:19], v[12:13], v[2:3], v[18:19] op_sel_hi:[0,1,1]
	v_mov_b32_e32 v2, v47
	v_pk_fma_f32 v[18:19], v[20:21], v[8:9], v[18:19] op_sel_hi:[0,1,1]
	v_mov_b32_e32 v9, v47
	v_pk_fma_f32 v[18:19], v[14:15], v[2:3], v[18:19] op_sel_hi:[0,1,1]
	v_mov_b32_e32 v2, v59
	v_pk_fma_f32 v[18:19], v[14:15], v[8:9], v[18:19] op_sel:[1,0,0]
	v_mov_b32_e32 v9, v59
	v_pk_fma_f32 v[18:19], v[16:17], v[2:3], v[18:19] op_sel_hi:[0,1,1]
	v_mov_b32_e32 v2, v56
	v_pk_fma_f32 v[40:41], v[22:23], v[8:9], v[18:19] op_sel_hi:[0,1,1]
	v_pk_fma_f32 v[18:19], v[10:11], v[2:3], v[44:45] op_sel_hi:[0,1,1]
	v_mov_b32_e32 v9, v56
	v_mov_b32_e32 v2, v52
	v_pk_fma_f32 v[18:19], v[10:11], v[8:9], v[18:19] op_sel:[1,0,0]
	v_mov_b32_e32 v9, v52
	v_pk_fma_f32 v[18:19], v[12:13], v[2:3], v[18:19] op_sel_hi:[0,1,1]
	v_mov_b32_e32 v2, v48
	v_pk_fma_f32 v[18:19], v[20:21], v[8:9], v[18:19] op_sel_hi:[0,1,1]
	v_mov_b32_e32 v9, v48
	v_pk_fma_f32 v[18:19], v[14:15], v[2:3], v[18:19] op_sel_hi:[0,1,1]
	v_mov_b32_e32 v2, v60
	v_pk_fma_f32 v[18:19], v[14:15], v[8:9], v[18:19] op_sel:[1,0,0]
	;; [unrolled: 16-line block ×3, first 2 shown]
	v_mov_b32_e32 v9, v61
	v_pk_fma_f32 v[10:11], v[16:17], v[2:3], v[10:11] op_sel_hi:[0,1,1]
	v_pk_fma_f32 v[38:39], v[22:23], v[8:9], v[10:11] op_sel_hi:[0,1,1]
	s_andn2_b64 exec, exec, s[10:11]
	s_cbranch_execnz .LBB127_25
; %bb.26:
	s_or_b64 exec, exec, s[10:11]
.LBB127_27:
	s_or_b64 exec, exec, s[4:5]
	v_cmp_lt_u64_e32 vcc, 47, v[0:1]
	s_and_saveexec_b64 s[4:5], vcc
	s_cbranch_execz .LBB127_31
; %bb.28:
	v_lshl_add_u64 v[0:1], v[32:33], 2, s[12:13]
	s_mov_b64 s[10:11], 0x80
	v_lshl_add_u64 v[46:47], v[0:1], 0, s[10:11]
	s_mov_b64 s[10:11], 0
	v_mov_b32_e32 v49, 0
	s_mov_b64 s[12:13], 0x100
	s_mov_b64 s[14:15], 0x1000
	v_bfrev_b32_e32 v50, 1
.LBB127_29:                             ; =>This Inner Loop Header: Depth=1
	global_load_dword v0, v[46:47], off offset:-128
	global_load_dword v1, v[46:47], off offset:-64
	global_load_dwordx4 v[60:63], v[36:37], off
	global_load_dword v2, v[46:47], off
	global_load_dword v3, v[46:47], off offset:64
	global_load_dwordx4 v[126:129], v[36:37], off offset:16
	global_load_dwordx4 v[108:111], v[36:37], off offset:48
	;; [unrolled: 1-line block ×15, first 2 shown]
	v_lshl_add_u64 v[32:33], v[32:33], 0, 64
	v_cmp_ge_i64_e32 vcc, v[32:33], v[34:35]
	v_lshl_add_u64 v[46:47], v[46:47], 0, s[12:13]
	v_lshl_add_u64 v[36:37], v[36:37], 0, s[14:15]
	s_or_b64 s[10:11], vcc, s[10:11]
	s_waitcnt vmcnt(19)
	v_subrev_u32_e32 v0, s16, v0
	s_waitcnt vmcnt(18)
	v_subrev_u32_e32 v1, s16, v1
	v_lshlrev_b32_e32 v0, 2, v0
	s_waitcnt vmcnt(16)
	v_subrev_u32_e32 v4, s16, v2
	s_waitcnt vmcnt(15)
	v_subrev_u32_e32 v3, s16, v3
	v_lshlrev_b32_e32 v2, 2, v1
	v_lshlrev_b32_e32 v4, 2, v4
	;; [unrolled: 1-line block ×3, first 2 shown]
	v_ashrrev_i32_e32 v1, 31, v0
	v_ashrrev_i32_e32 v3, 31, v2
	;; [unrolled: 1-line block ×4, first 2 shown]
	v_lshl_add_u64 v[0:1], v[0:1], 3, s[2:3]
	v_lshl_add_u64 v[2:3], v[2:3], 3, s[2:3]
	;; [unrolled: 1-line block ×4, first 2 shown]
	global_load_dwordx4 v[116:119], v[0:1], off
	global_load_dwordx4 v[120:123], v[0:1], off offset:16
	global_load_dwordx4 v[20:23], v[2:3], off
	global_load_dwordx4 v[16:19], v[2:3], off offset:16
	;; [unrolled: 2-line block ×3, first 2 shown]
	global_load_dwordx4 v[4:7], v[54:55], off
                                        ; kill: killed $vgpr52_vgpr53
                                        ; kill: killed $vgpr0_vgpr1
                                        ; kill: killed $vgpr2_vgpr3
	s_nop 0
	global_load_dwordx4 v[0:3], v[54:55], off offset:16
	v_mov_b32_e32 v48, v60
	v_mov_b32_e32 v51, v60
	s_waitcnt vmcnt(7)
	v_pk_fma_f32 v[56:57], v[116:117], v[48:49], v[42:43] op_sel_hi:[0,1,1]
	v_mov_b32_e32 v48, v126
	v_pk_fma_f32 v[56:57], v[116:117], v[50:51], v[56:57] op_sel:[1,0,0]
	v_mov_b32_e32 v124, v119
	v_mov_b32_e32 v51, v126
	v_pk_fma_f32 v[56:57], v[118:119], v[48:49], v[56:57] op_sel_hi:[0,1,1]
	v_mov_b32_e32 v48, v130
	v_pk_fma_f32 v[56:57], v[124:125], v[50:51], v[56:57] op_sel_hi:[0,1,1]
	v_mov_b32_e32 v51, v130
	s_waitcnt vmcnt(6)
	v_pk_fma_f32 v[56:57], v[120:121], v[48:49], v[56:57] op_sel_hi:[0,1,1]
	v_mov_b32_e32 v48, v108
	v_pk_fma_f32 v[56:57], v[120:121], v[50:51], v[56:57] op_sel:[1,0,0]
	v_mov_b32_e32 v54, v123
	v_mov_b32_e32 v51, v108
	v_pk_fma_f32 v[56:57], v[122:123], v[48:49], v[56:57] op_sel_hi:[0,1,1]
	v_mov_b32_e32 v48, v112
	v_pk_fma_f32 v[56:57], v[54:55], v[50:51], v[56:57] op_sel_hi:[0,1,1]
	v_mov_b32_e32 v51, v112
	s_waitcnt vmcnt(5)
	v_pk_fma_f32 v[56:57], v[20:21], v[48:49], v[56:57] op_sel_hi:[0,1,1]
	v_mov_b32_e32 v48, v61
	v_pk_fma_f32 v[58:59], v[20:21], v[50:51], v[56:57] op_sel:[1,0,0]
	v_pk_fma_f32 v[40:41], v[116:117], v[48:49], v[40:41] op_sel_hi:[0,1,1]
	v_mov_b32_e32 v51, v61
	v_mov_b32_e32 v48, v127
	v_pk_fma_f32 v[40:41], v[116:117], v[50:51], v[40:41] op_sel:[1,0,0]
	v_mov_b32_e32 v51, v127
	v_pk_fma_f32 v[40:41], v[118:119], v[48:49], v[40:41] op_sel_hi:[0,1,1]
	v_mov_b32_e32 v48, v131
	v_pk_fma_f32 v[40:41], v[124:125], v[50:51], v[40:41] op_sel_hi:[0,1,1]
	;; [unrolled: 2-line block ×3, first 2 shown]
	v_mov_b32_e32 v48, v109
	v_pk_fma_f32 v[40:41], v[120:121], v[50:51], v[40:41] op_sel:[1,0,0]
	v_mov_b32_e32 v51, v109
	v_pk_fma_f32 v[40:41], v[122:123], v[48:49], v[40:41] op_sel_hi:[0,1,1]
	v_mov_b32_e32 v48, v113
	v_pk_fma_f32 v[40:41], v[54:55], v[50:51], v[40:41] op_sel_hi:[0,1,1]
	v_mov_b32_e32 v51, v113
	v_pk_fma_f32 v[40:41], v[20:21], v[48:49], v[40:41] op_sel_hi:[0,1,1]
	v_mov_b32_e32 v48, v62
	v_pk_fma_f32 v[56:57], v[20:21], v[50:51], v[40:41] op_sel:[1,0,0]
	v_pk_fma_f32 v[40:41], v[116:117], v[48:49], v[44:45] op_sel_hi:[0,1,1]
	v_mov_b32_e32 v51, v62
	v_mov_b32_e32 v48, v128
	v_pk_fma_f32 v[40:41], v[116:117], v[50:51], v[40:41] op_sel:[1,0,0]
	v_mov_b32_e32 v51, v128
	v_pk_fma_f32 v[40:41], v[118:119], v[48:49], v[40:41] op_sel_hi:[0,1,1]
	v_mov_b32_e32 v48, v132
	v_pk_fma_f32 v[40:41], v[124:125], v[50:51], v[40:41] op_sel_hi:[0,1,1]
	v_mov_b32_e32 v51, v132
	v_pk_fma_f32 v[40:41], v[120:121], v[48:49], v[40:41] op_sel_hi:[0,1,1]
	v_mov_b32_e32 v48, v110
	v_pk_fma_f32 v[40:41], v[120:121], v[50:51], v[40:41] op_sel:[1,0,0]
	v_mov_b32_e32 v51, v110
	v_pk_fma_f32 v[40:41], v[122:123], v[48:49], v[40:41] op_sel_hi:[0,1,1]
	v_mov_b32_e32 v48, v114
	v_pk_fma_f32 v[40:41], v[54:55], v[50:51], v[40:41] op_sel_hi:[0,1,1]
	;; [unrolled: 2-line block ×3, first 2 shown]
	v_mov_b32_e32 v48, v63
	v_pk_fma_f32 v[40:41], v[20:21], v[50:51], v[40:41] op_sel:[1,0,0]
	v_pk_fma_f32 v[38:39], v[116:117], v[48:49], v[38:39] op_sel_hi:[0,1,1]
	v_mov_b32_e32 v51, v63
	v_mov_b32_e32 v48, v129
	v_pk_fma_f32 v[38:39], v[116:117], v[50:51], v[38:39] op_sel:[1,0,0]
	v_mov_b32_e32 v51, v129
	v_pk_fma_f32 v[38:39], v[118:119], v[48:49], v[38:39] op_sel_hi:[0,1,1]
	v_pk_fma_f32 v[62:63], v[124:125], v[50:51], v[38:39] op_sel_hi:[0,1,1]
	v_mov_b32_e32 v48, v133
	v_mov_b32_e32 v51, v133
	v_pk_fma_f32 v[62:63], v[120:121], v[48:49], v[62:63] op_sel_hi:[0,1,1]
	v_mov_b32_e32 v48, v111
	v_pk_fma_f32 v[62:63], v[120:121], v[50:51], v[62:63] op_sel:[1,0,0]
	v_mov_b32_e32 v51, v111
	v_pk_fma_f32 v[108:109], v[122:123], v[48:49], v[62:63] op_sel_hi:[0,1,1]
	v_mov_b32_e32 v48, v115
	v_pk_fma_f32 v[54:55], v[54:55], v[50:51], v[108:109] op_sel_hi:[0,1,1]
	;; [unrolled: 2-line block ×3, first 2 shown]
	v_mov_b32_e32 v48, v104
	v_mov_b32_e32 v52, v23
	v_pk_fma_f32 v[20:21], v[20:21], v[50:51], v[54:55] op_sel:[1,0,0]
	v_pk_fma_f32 v[54:55], v[22:23], v[48:49], v[58:59] op_sel_hi:[0,1,1]
	v_mov_b32_e32 v51, v104
	v_mov_b32_e32 v48, v100
	v_pk_fma_f32 v[54:55], v[52:53], v[50:51], v[54:55] op_sel_hi:[0,1,1]
	v_mov_b32_e32 v51, v100
	s_waitcnt vmcnt(4)
	v_pk_fma_f32 v[54:55], v[16:17], v[48:49], v[54:55] op_sel_hi:[0,1,1]
	v_mov_b32_e32 v48, v92
	v_pk_fma_f32 v[54:55], v[16:17], v[50:51], v[54:55] op_sel:[1,0,0]
	v_mov_b32_e32 v42, v19
	v_mov_b32_e32 v51, v92
	v_pk_fma_f32 v[54:55], v[18:19], v[48:49], v[54:55] op_sel_hi:[0,1,1]
	v_mov_b32_e32 v48, v96
	v_pk_fma_f32 v[54:55], v[42:43], v[50:51], v[54:55] op_sel_hi:[0,1,1]
	v_mov_b32_e32 v51, v96
	s_waitcnt vmcnt(3)
	v_pk_fma_f32 v[54:55], v[12:13], v[48:49], v[54:55] op_sel_hi:[0,1,1]
	v_mov_b32_e32 v48, v88
	v_pk_fma_f32 v[54:55], v[12:13], v[50:51], v[54:55] op_sel:[1,0,0]
	v_mov_b32_e32 v44, v15
	v_mov_b32_e32 v51, v88
	v_pk_fma_f32 v[54:55], v[14:15], v[48:49], v[54:55] op_sel_hi:[0,1,1]
	v_mov_b32_e32 v48, v80
	v_pk_fma_f32 v[54:55], v[44:45], v[50:51], v[54:55] op_sel_hi:[0,1,1]
	s_waitcnt vmcnt(2)
	v_pk_fma_f32 v[54:55], v[8:9], v[48:49], v[54:55] op_sel_hi:[0,1,1]
	v_mov_b32_e32 v48, v105
	v_mov_b32_e32 v51, v105
	v_pk_fma_f32 v[56:57], v[22:23], v[48:49], v[56:57] op_sel_hi:[0,1,1]
	v_mov_b32_e32 v48, v101
	v_pk_fma_f32 v[56:57], v[52:53], v[50:51], v[56:57] op_sel_hi:[0,1,1]
	v_mov_b32_e32 v51, v101
	v_pk_fma_f32 v[56:57], v[16:17], v[48:49], v[56:57] op_sel_hi:[0,1,1]
	v_mov_b32_e32 v48, v93
	v_pk_fma_f32 v[56:57], v[16:17], v[50:51], v[56:57] op_sel:[1,0,0]
	v_mov_b32_e32 v51, v93
	v_pk_fma_f32 v[56:57], v[18:19], v[48:49], v[56:57] op_sel_hi:[0,1,1]
	v_mov_b32_e32 v48, v97
	v_pk_fma_f32 v[56:57], v[42:43], v[50:51], v[56:57] op_sel_hi:[0,1,1]
	v_mov_b32_e32 v51, v97
	v_pk_fma_f32 v[56:57], v[12:13], v[48:49], v[56:57] op_sel_hi:[0,1,1]
	v_mov_b32_e32 v48, v89
	v_pk_fma_f32 v[56:57], v[12:13], v[50:51], v[56:57] op_sel:[1,0,0]
	v_mov_b32_e32 v51, v89
	v_pk_fma_f32 v[56:57], v[14:15], v[48:49], v[56:57] op_sel_hi:[0,1,1]
	v_mov_b32_e32 v48, v81
	v_pk_fma_f32 v[56:57], v[44:45], v[50:51], v[56:57] op_sel_hi:[0,1,1]
	v_pk_fma_f32 v[56:57], v[8:9], v[48:49], v[56:57] op_sel_hi:[0,1,1]
	v_mov_b32_e32 v48, v106
	v_mov_b32_e32 v51, v106
	v_pk_fma_f32 v[40:41], v[22:23], v[48:49], v[40:41] op_sel_hi:[0,1,1]
	v_mov_b32_e32 v48, v102
	v_pk_fma_f32 v[40:41], v[52:53], v[50:51], v[40:41] op_sel_hi:[0,1,1]
	v_mov_b32_e32 v51, v102
	v_pk_fma_f32 v[40:41], v[16:17], v[48:49], v[40:41] op_sel_hi:[0,1,1]
	v_mov_b32_e32 v48, v94
	v_pk_fma_f32 v[40:41], v[16:17], v[50:51], v[40:41] op_sel:[1,0,0]
	v_mov_b32_e32 v51, v94
	v_pk_fma_f32 v[40:41], v[18:19], v[48:49], v[40:41] op_sel_hi:[0,1,1]
	v_mov_b32_e32 v48, v98
	v_pk_fma_f32 v[40:41], v[42:43], v[50:51], v[40:41] op_sel_hi:[0,1,1]
	v_mov_b32_e32 v51, v98
	v_pk_fma_f32 v[40:41], v[12:13], v[48:49], v[40:41] op_sel_hi:[0,1,1]
	v_mov_b32_e32 v48, v90
	v_pk_fma_f32 v[40:41], v[12:13], v[50:51], v[40:41] op_sel:[1,0,0]
	v_mov_b32_e32 v51, v90
	v_pk_fma_f32 v[40:41], v[14:15], v[48:49], v[40:41] op_sel_hi:[0,1,1]
	v_mov_b32_e32 v48, v82
	v_pk_fma_f32 v[40:41], v[44:45], v[50:51], v[40:41] op_sel_hi:[0,1,1]
	;; [unrolled: 22-line block ×3, first 2 shown]
	v_mov_b32_e32 v51, v80
	v_pk_fma_f32 v[12:13], v[8:9], v[48:49], v[12:13] op_sel_hi:[0,1,1]
	v_pk_fma_f32 v[14:15], v[8:9], v[50:51], v[54:55] op_sel:[1,0,0]
	v_mov_b32_e32 v48, v72
	v_mov_b32_e32 v60, v11
	;; [unrolled: 1-line block ×3, first 2 shown]
	v_pk_fma_f32 v[14:15], v[10:11], v[48:49], v[14:15] op_sel_hi:[0,1,1]
	v_mov_b32_e32 v48, v84
	v_pk_fma_f32 v[14:15], v[60:61], v[50:51], v[14:15] op_sel_hi:[0,1,1]
	v_mov_b32_e32 v51, v84
	s_waitcnt vmcnt(1)
	v_pk_fma_f32 v[14:15], v[4:5], v[48:49], v[14:15] op_sel_hi:[0,1,1]
	v_mov_b32_e32 v48, v76
	v_pk_fma_f32 v[14:15], v[4:5], v[50:51], v[14:15] op_sel:[1,0,0]
	v_mov_b32_e32 v38, v7
	v_mov_b32_e32 v51, v76
	v_pk_fma_f32 v[14:15], v[6:7], v[48:49], v[14:15] op_sel_hi:[0,1,1]
	v_mov_b32_e32 v48, v68
	v_pk_fma_f32 v[14:15], v[38:39], v[50:51], v[14:15] op_sel_hi:[0,1,1]
	v_mov_b32_e32 v51, v68
	s_waitcnt vmcnt(0)
	v_pk_fma_f32 v[14:15], v[0:1], v[48:49], v[14:15] op_sel_hi:[0,1,1]
	v_mov_b32_e32 v48, v64
	v_pk_fma_f32 v[14:15], v[0:1], v[50:51], v[14:15] op_sel:[1,0,0]
	v_mov_b32_e32 v62, v3
	v_mov_b32_e32 v51, v64
	v_pk_fma_f32 v[14:15], v[2:3], v[48:49], v[14:15] op_sel_hi:[0,1,1]
	v_pk_fma_f32 v[42:43], v[62:63], v[50:51], v[14:15] op_sel_hi:[0,1,1]
	v_mov_b32_e32 v51, v81
	v_mov_b32_e32 v48, v73
	v_pk_fma_f32 v[14:15], v[8:9], v[50:51], v[56:57] op_sel:[1,0,0]
	v_mov_b32_e32 v51, v73
	v_pk_fma_f32 v[14:15], v[10:11], v[48:49], v[14:15] op_sel_hi:[0,1,1]
	v_mov_b32_e32 v48, v85
	v_pk_fma_f32 v[14:15], v[60:61], v[50:51], v[14:15] op_sel_hi:[0,1,1]
	v_mov_b32_e32 v51, v85
	v_pk_fma_f32 v[14:15], v[4:5], v[48:49], v[14:15] op_sel_hi:[0,1,1]
	v_mov_b32_e32 v48, v77
	v_pk_fma_f32 v[14:15], v[4:5], v[50:51], v[14:15] op_sel:[1,0,0]
	v_mov_b32_e32 v51, v77
	v_pk_fma_f32 v[14:15], v[6:7], v[48:49], v[14:15] op_sel_hi:[0,1,1]
	v_mov_b32_e32 v48, v69
	v_pk_fma_f32 v[14:15], v[38:39], v[50:51], v[14:15] op_sel_hi:[0,1,1]
	v_mov_b32_e32 v51, v69
	v_pk_fma_f32 v[14:15], v[0:1], v[48:49], v[14:15] op_sel_hi:[0,1,1]
	v_mov_b32_e32 v48, v65
	v_pk_fma_f32 v[14:15], v[0:1], v[50:51], v[14:15] op_sel:[1,0,0]
	v_mov_b32_e32 v51, v65
	v_pk_fma_f32 v[14:15], v[2:3], v[48:49], v[14:15] op_sel_hi:[0,1,1]
	v_pk_fma_f32 v[40:41], v[62:63], v[50:51], v[14:15] op_sel_hi:[0,1,1]
	v_mov_b32_e32 v51, v82
	v_mov_b32_e32 v48, v74
	v_pk_fma_f32 v[14:15], v[8:9], v[50:51], v[58:59] op_sel:[1,0,0]
	v_mov_b32_e32 v51, v74
	v_pk_fma_f32 v[14:15], v[10:11], v[48:49], v[14:15] op_sel_hi:[0,1,1]
	v_mov_b32_e32 v48, v86
	v_pk_fma_f32 v[14:15], v[60:61], v[50:51], v[14:15] op_sel_hi:[0,1,1]
	v_mov_b32_e32 v51, v86
	v_pk_fma_f32 v[14:15], v[4:5], v[48:49], v[14:15] op_sel_hi:[0,1,1]
	v_mov_b32_e32 v48, v78
	v_pk_fma_f32 v[14:15], v[4:5], v[50:51], v[14:15] op_sel:[1,0,0]
	v_mov_b32_e32 v51, v78
	v_pk_fma_f32 v[14:15], v[6:7], v[48:49], v[14:15] op_sel_hi:[0,1,1]
	v_mov_b32_e32 v48, v70
	v_pk_fma_f32 v[14:15], v[38:39], v[50:51], v[14:15] op_sel_hi:[0,1,1]
	v_mov_b32_e32 v51, v70
	v_pk_fma_f32 v[14:15], v[0:1], v[48:49], v[14:15] op_sel_hi:[0,1,1]
	v_mov_b32_e32 v48, v66
	v_pk_fma_f32 v[14:15], v[0:1], v[50:51], v[14:15] op_sel:[1,0,0]
	;; [unrolled: 22-line block ×3, first 2 shown]
	v_mov_b32_e32 v51, v67
	v_pk_fma_f32 v[0:1], v[2:3], v[48:49], v[0:1] op_sel_hi:[0,1,1]
	v_pk_fma_f32 v[38:39], v[62:63], v[50:51], v[0:1] op_sel_hi:[0,1,1]
	s_andn2_b64 exec, exec, s[10:11]
	s_cbranch_execnz .LBB127_29
; %bb.30:
	s_or_b64 exec, exec, s[10:11]
.LBB127_31:
	s_or_b64 exec, exec, s[4:5]
	v_mov_b32_e32 v31, v43
.LBB127_32:
	s_or_b64 exec, exec, s[8:9]
.LBB127_33:
	v_mov_b32_dpp v6, v41 row_shr:1 row_mask:0xf bank_mask:0xf
	v_add_f32_e32 v6, v41, v6
	v_mov_b32_dpp v0, v42 row_shr:1 row_mask:0xf bank_mask:0xf
	v_mov_b32_dpp v2, v31 row_shr:1 row_mask:0xf bank_mask:0xf
	v_mov_b32_dpp v7, v6 row_shr:2 row_mask:0xf bank_mask:0xf
	v_add_f32_e32 v6, v6, v7
	v_mov_b32_dpp v4, v40 row_shr:1 row_mask:0xf bank_mask:0xf
	v_add_f32_e32 v0, v42, v0
	v_mov_b32_dpp v7, v6 row_shr:4 row_mask:0xf bank_mask:0xe
	;; [unrolled: 2-line block ×3, first 2 shown]
	v_add_f32_e32 v6, v44, v6
	v_add_f32_e32 v2, v31, v2
	;; [unrolled: 1-line block ×3, first 2 shown]
	v_mov_b32_dpp v9, v6 row_shr:2 row_mask:0xf bank_mask:0xf
	v_add_f32_e32 v6, v6, v9
	v_mov_b32_dpp v1, v0 row_shr:2 row_mask:0xf bank_mask:0xf
	v_mov_b32_dpp v3, v2 row_shr:2 row_mask:0xf bank_mask:0xf
	;; [unrolled: 1-line block ×3, first 2 shown]
	v_add_f32_e32 v9, v6, v9
	v_mov_b32_dpp v6, v45 row_shr:1 row_mask:0xf bank_mask:0xf
	v_add_f32_e32 v6, v45, v6
	v_mov_b32_dpp v5, v4 row_shr:2 row_mask:0xf bank_mask:0xf
	;; [unrolled: 2-line block ×3, first 2 shown]
	v_add_f32_e32 v6, v6, v11
	v_add_f32_e32 v2, v2, v3
	;; [unrolled: 1-line block ×3, first 2 shown]
	v_mov_b32_dpp v11, v6 row_shr:4 row_mask:0xf bank_mask:0xe
	v_add_f32_e32 v11, v6, v11
	v_mov_b32_dpp v6, v38 row_shr:1 row_mask:0xf bank_mask:0xf
	v_add_f32_e32 v6, v38, v6
	v_mov_b32_dpp v1, v0 row_shr:4 row_mask:0xf bank_mask:0xe
	v_mov_b32_dpp v3, v2 row_shr:4 row_mask:0xf bank_mask:0xe
	;; [unrolled: 1-line block ×3, first 2 shown]
	v_add_f32_e32 v6, v6, v12
	v_mov_b32_dpp v5, v4 row_shr:4 row_mask:0xf bank_mask:0xe
	v_add_f32_e32 v0, v0, v1
	v_mov_b32_dpp v12, v6 row_shr:4 row_mask:0xf bank_mask:0xe
	v_add_f32_e32 v15, v6, v12
	v_mov_b32_dpp v6, v39 row_shr:1 row_mask:0xf bank_mask:0xf
	v_add_f32_e32 v6, v39, v6
	v_add_f32_e32 v2, v2, v3
	;; [unrolled: 1-line block ×3, first 2 shown]
	v_mov_b32_dpp v12, v6 row_shr:2 row_mask:0xf bank_mask:0xf
	v_add_f32_e32 v6, v6, v12
	v_mov_b32_dpp v1, v0 row_shr:8 row_mask:0xf bank_mask:0xc
	v_mov_b32_dpp v3, v2 row_shr:8 row_mask:0xf bank_mask:0xc
	;; [unrolled: 1-line block ×3, first 2 shown]
	v_add_f32_e32 v17, v6, v12
	v_mov_b32_dpp v5, v4 row_shr:8 row_mask:0xf bank_mask:0xc
	v_mov_b32_dpp v8, v7 row_shr:8 row_mask:0xf bank_mask:0xc
	;; [unrolled: 1-line block ×6, first 2 shown]
	v_cmp_eq_u32_e32 vcc, 15, v30
	s_and_b64 exec, exec, vcc
	s_cbranch_execz .LBB127_6
; %bb.34:
	s_load_dwordx2 s[0:1], s[0:1], 0x50
	v_cmp_eq_f32_e32 vcc, 0, v26
	s_xor_b64 s[2:3], s[6:7], -1
	v_add_f32_e32 v6, v0, v1
	v_add_f32_e32 v14, v2, v3
	;; [unrolled: 1-line block ×8, first 2 shown]
	s_and_b64 s[2:3], vcc, s[2:3]
	v_lshlrev_b32_e32 v16, 2, v28
	s_and_saveexec_b64 s[4:5], s[2:3]
	s_xor_b64 s[2:3], exec, s[4:5]
	s_cbranch_execz .LBB127_36
; %bb.35:
	v_xor_b32_e32 v18, 0x80000000, v25
	v_mov_b32_e32 v19, v24
	v_pk_mul_f32 v[14:15], v[14:15], v[18:19] op_sel_hi:[0,1]
	v_ashrrev_i32_e32 v17, 31, v16
	v_pk_fma_f32 v[14:15], v[24:25], v[6:7], v[14:15] op_sel_hi:[1,0,1]
	v_pk_mul_f32 v[6:7], v[12:13], v[18:19] op_sel_hi:[0,1]
	s_waitcnt lgkmcnt(0)
	v_lshl_add_u64 v[20:21], v[16:17], 3, s[0:1]
	v_pk_fma_f32 v[16:17], v[24:25], v[4:5], v[6:7] op_sel_hi:[1,0,1]
	v_pk_mul_f32 v[4:5], v[10:11], v[18:19] op_sel_hi:[0,1]
	v_pk_fma_f32 v[2:3], v[24:25], v[2:3], v[4:5] op_sel_hi:[1,0,1]
	v_pk_mul_f32 v[4:5], v[8:9], v[18:19] op_sel_hi:[0,1]
	v_pk_fma_f32 v[4:5], v[24:25], v[0:1], v[4:5] op_sel_hi:[1,0,1]
	global_store_dwordx4 v[20:21], v[14:17], off
	global_store_dwordx4 v[20:21], v[2:5], off offset:16
                                        ; implicit-def: $vgpr6
                                        ; implicit-def: $vgpr14
                                        ; implicit-def: $vgpr4
                                        ; implicit-def: $vgpr12
                                        ; implicit-def: $vgpr2
                                        ; implicit-def: $vgpr10
                                        ; implicit-def: $vgpr0
                                        ; implicit-def: $vgpr8
                                        ; implicit-def: $vgpr24_vgpr25
                                        ; implicit-def: $vgpr26_vgpr27
                                        ; implicit-def: $vgpr16
.LBB127_36:
	s_andn2_saveexec_b64 s[2:3], s[2:3]
	s_cbranch_execz .LBB127_6
; %bb.37:
	v_ashrrev_i32_e32 v17, 31, v16
	s_waitcnt lgkmcnt(0)
	v_lshl_add_u64 v[28:29], v[16:17], 3, s[0:1]
	global_load_dwordx4 v[16:19], v[28:29], off
	global_load_dwordx4 v[20:23], v[28:29], off offset:16
	v_xor_b32_e32 v30, 0x80000000, v25
	v_mov_b32_e32 v31, v24
	v_pk_mul_f32 v[14:15], v[14:15], v[30:31] op_sel_hi:[0,1]
	v_pk_mul_f32 v[12:13], v[12:13], v[30:31] op_sel_hi:[0,1]
	;; [unrolled: 1-line block ×4, first 2 shown]
	v_pk_fma_f32 v[6:7], v[24:25], v[6:7], v[14:15] op_sel_hi:[1,0,1]
	v_pk_fma_f32 v[4:5], v[24:25], v[4:5], v[12:13] op_sel_hi:[1,0,1]
	v_xor_b32_e32 v32, 0x80000000, v27
	v_mov_b32_e32 v33, v26
	v_pk_fma_f32 v[2:3], v[24:25], v[2:3], v[10:11] op_sel_hi:[1,0,1]
	v_pk_fma_f32 v[0:1], v[24:25], v[0:1], v[8:9] op_sel_hi:[1,0,1]
	s_waitcnt vmcnt(1)
	v_pk_fma_f32 v[6:7], v[26:27], v[16:17], v[6:7] op_sel_hi:[1,0,1]
	v_pk_fma_f32 v[4:5], v[26:27], v[18:19], v[4:5] op_sel_hi:[1,0,1]
	v_mov_b32_e32 v8, v19
	s_waitcnt vmcnt(0)
	v_pk_fma_f32 v[10:11], v[26:27], v[20:21], v[2:3] op_sel_hi:[1,0,1]
	v_pk_fma_f32 v[12:13], v[26:27], v[22:23], v[0:1] op_sel_hi:[1,0,1]
	v_mov_b32_e32 v14, v23
	v_pk_fma_f32 v[0:1], v[32:33], v[16:17], v[6:7] op_sel:[0,1,0]
	v_pk_fma_f32 v[2:3], v[32:33], v[8:9], v[4:5] op_sel_hi:[1,0,1]
	v_pk_fma_f32 v[4:5], v[32:33], v[20:21], v[10:11] op_sel:[0,1,0]
	v_pk_fma_f32 v[6:7], v[32:33], v[14:15], v[12:13] op_sel_hi:[1,0,1]
	global_store_dwordx4 v[28:29], v[0:3], off
	global_store_dwordx4 v[28:29], v[4:7], off offset:16
	s_endpgm
	.section	.rodata,"a",@progbits
	.p2align	6, 0x0
	.amdhsa_kernel _ZN9rocsparseL18bsrxmvn_4x4_kernelILj128ELj16E21rocsparse_complex_numIfElifS2_S2_EEvT3_20rocsparse_direction_NS_24const_host_device_scalarIT1_EES3_PKS3_PKT2_SC_S9_PKT4_PKT5_S7_PT6_21rocsparse_index_base_b
		.amdhsa_group_segment_fixed_size 0
		.amdhsa_private_segment_fixed_size 0
		.amdhsa_kernarg_size 96
		.amdhsa_user_sgpr_count 2
		.amdhsa_user_sgpr_dispatch_ptr 0
		.amdhsa_user_sgpr_queue_ptr 0
		.amdhsa_user_sgpr_kernarg_segment_ptr 1
		.amdhsa_user_sgpr_dispatch_id 0
		.amdhsa_user_sgpr_kernarg_preload_length 0
		.amdhsa_user_sgpr_kernarg_preload_offset 0
		.amdhsa_user_sgpr_private_segment_size 0
		.amdhsa_uses_dynamic_stack 0
		.amdhsa_enable_private_segment 0
		.amdhsa_system_sgpr_workgroup_id_x 1
		.amdhsa_system_sgpr_workgroup_id_y 0
		.amdhsa_system_sgpr_workgroup_id_z 0
		.amdhsa_system_sgpr_workgroup_info 0
		.amdhsa_system_vgpr_workitem_id 0
		.amdhsa_next_free_vgpr 134
		.amdhsa_next_free_sgpr 22
		.amdhsa_accum_offset 136
		.amdhsa_reserve_vcc 1
		.amdhsa_float_round_mode_32 0
		.amdhsa_float_round_mode_16_64 0
		.amdhsa_float_denorm_mode_32 3
		.amdhsa_float_denorm_mode_16_64 3
		.amdhsa_dx10_clamp 1
		.amdhsa_ieee_mode 1
		.amdhsa_fp16_overflow 0
		.amdhsa_tg_split 0
		.amdhsa_exception_fp_ieee_invalid_op 0
		.amdhsa_exception_fp_denorm_src 0
		.amdhsa_exception_fp_ieee_div_zero 0
		.amdhsa_exception_fp_ieee_overflow 0
		.amdhsa_exception_fp_ieee_underflow 0
		.amdhsa_exception_fp_ieee_inexact 0
		.amdhsa_exception_int_div_zero 0
	.end_amdhsa_kernel
	.section	.text._ZN9rocsparseL18bsrxmvn_4x4_kernelILj128ELj16E21rocsparse_complex_numIfElifS2_S2_EEvT3_20rocsparse_direction_NS_24const_host_device_scalarIT1_EES3_PKS3_PKT2_SC_S9_PKT4_PKT5_S7_PT6_21rocsparse_index_base_b,"axG",@progbits,_ZN9rocsparseL18bsrxmvn_4x4_kernelILj128ELj16E21rocsparse_complex_numIfElifS2_S2_EEvT3_20rocsparse_direction_NS_24const_host_device_scalarIT1_EES3_PKS3_PKT2_SC_S9_PKT4_PKT5_S7_PT6_21rocsparse_index_base_b,comdat
.Lfunc_end127:
	.size	_ZN9rocsparseL18bsrxmvn_4x4_kernelILj128ELj16E21rocsparse_complex_numIfElifS2_S2_EEvT3_20rocsparse_direction_NS_24const_host_device_scalarIT1_EES3_PKS3_PKT2_SC_S9_PKT4_PKT5_S7_PT6_21rocsparse_index_base_b, .Lfunc_end127-_ZN9rocsparseL18bsrxmvn_4x4_kernelILj128ELj16E21rocsparse_complex_numIfElifS2_S2_EEvT3_20rocsparse_direction_NS_24const_host_device_scalarIT1_EES3_PKS3_PKT2_SC_S9_PKT4_PKT5_S7_PT6_21rocsparse_index_base_b
                                        ; -- End function
	.set _ZN9rocsparseL18bsrxmvn_4x4_kernelILj128ELj16E21rocsparse_complex_numIfElifS2_S2_EEvT3_20rocsparse_direction_NS_24const_host_device_scalarIT1_EES3_PKS3_PKT2_SC_S9_PKT4_PKT5_S7_PT6_21rocsparse_index_base_b.num_vgpr, 134
	.set _ZN9rocsparseL18bsrxmvn_4x4_kernelILj128ELj16E21rocsparse_complex_numIfElifS2_S2_EEvT3_20rocsparse_direction_NS_24const_host_device_scalarIT1_EES3_PKS3_PKT2_SC_S9_PKT4_PKT5_S7_PT6_21rocsparse_index_base_b.num_agpr, 0
	.set _ZN9rocsparseL18bsrxmvn_4x4_kernelILj128ELj16E21rocsparse_complex_numIfElifS2_S2_EEvT3_20rocsparse_direction_NS_24const_host_device_scalarIT1_EES3_PKS3_PKT2_SC_S9_PKT4_PKT5_S7_PT6_21rocsparse_index_base_b.numbered_sgpr, 22
	.set _ZN9rocsparseL18bsrxmvn_4x4_kernelILj128ELj16E21rocsparse_complex_numIfElifS2_S2_EEvT3_20rocsparse_direction_NS_24const_host_device_scalarIT1_EES3_PKS3_PKT2_SC_S9_PKT4_PKT5_S7_PT6_21rocsparse_index_base_b.num_named_barrier, 0
	.set _ZN9rocsparseL18bsrxmvn_4x4_kernelILj128ELj16E21rocsparse_complex_numIfElifS2_S2_EEvT3_20rocsparse_direction_NS_24const_host_device_scalarIT1_EES3_PKS3_PKT2_SC_S9_PKT4_PKT5_S7_PT6_21rocsparse_index_base_b.private_seg_size, 0
	.set _ZN9rocsparseL18bsrxmvn_4x4_kernelILj128ELj16E21rocsparse_complex_numIfElifS2_S2_EEvT3_20rocsparse_direction_NS_24const_host_device_scalarIT1_EES3_PKS3_PKT2_SC_S9_PKT4_PKT5_S7_PT6_21rocsparse_index_base_b.uses_vcc, 1
	.set _ZN9rocsparseL18bsrxmvn_4x4_kernelILj128ELj16E21rocsparse_complex_numIfElifS2_S2_EEvT3_20rocsparse_direction_NS_24const_host_device_scalarIT1_EES3_PKS3_PKT2_SC_S9_PKT4_PKT5_S7_PT6_21rocsparse_index_base_b.uses_flat_scratch, 0
	.set _ZN9rocsparseL18bsrxmvn_4x4_kernelILj128ELj16E21rocsparse_complex_numIfElifS2_S2_EEvT3_20rocsparse_direction_NS_24const_host_device_scalarIT1_EES3_PKS3_PKT2_SC_S9_PKT4_PKT5_S7_PT6_21rocsparse_index_base_b.has_dyn_sized_stack, 0
	.set _ZN9rocsparseL18bsrxmvn_4x4_kernelILj128ELj16E21rocsparse_complex_numIfElifS2_S2_EEvT3_20rocsparse_direction_NS_24const_host_device_scalarIT1_EES3_PKS3_PKT2_SC_S9_PKT4_PKT5_S7_PT6_21rocsparse_index_base_b.has_recursion, 0
	.set _ZN9rocsparseL18bsrxmvn_4x4_kernelILj128ELj16E21rocsparse_complex_numIfElifS2_S2_EEvT3_20rocsparse_direction_NS_24const_host_device_scalarIT1_EES3_PKS3_PKT2_SC_S9_PKT4_PKT5_S7_PT6_21rocsparse_index_base_b.has_indirect_call, 0
	.section	.AMDGPU.csdata,"",@progbits
; Kernel info:
; codeLenInByte = 6940
; TotalNumSgprs: 28
; NumVgprs: 134
; NumAgprs: 0
; TotalNumVgprs: 134
; ScratchSize: 0
; MemoryBound: 0
; FloatMode: 240
; IeeeMode: 1
; LDSByteSize: 0 bytes/workgroup (compile time only)
; SGPRBlocks: 3
; VGPRBlocks: 16
; NumSGPRsForWavesPerEU: 28
; NumVGPRsForWavesPerEU: 134
; AccumOffset: 136
; Occupancy: 3
; WaveLimiterHint : 1
; COMPUTE_PGM_RSRC2:SCRATCH_EN: 0
; COMPUTE_PGM_RSRC2:USER_SGPR: 2
; COMPUTE_PGM_RSRC2:TRAP_HANDLER: 0
; COMPUTE_PGM_RSRC2:TGID_X_EN: 1
; COMPUTE_PGM_RSRC2:TGID_Y_EN: 0
; COMPUTE_PGM_RSRC2:TGID_Z_EN: 0
; COMPUTE_PGM_RSRC2:TIDIG_COMP_CNT: 0
; COMPUTE_PGM_RSRC3_GFX90A:ACCUM_OFFSET: 33
; COMPUTE_PGM_RSRC3_GFX90A:TG_SPLIT: 0
	.section	.text._ZN9rocsparseL18bsrxmvn_4x4_kernelILj128ELj32E21rocsparse_complex_numIfElifS2_S2_EEvT3_20rocsparse_direction_NS_24const_host_device_scalarIT1_EES3_PKS3_PKT2_SC_S9_PKT4_PKT5_S7_PT6_21rocsparse_index_base_b,"axG",@progbits,_ZN9rocsparseL18bsrxmvn_4x4_kernelILj128ELj32E21rocsparse_complex_numIfElifS2_S2_EEvT3_20rocsparse_direction_NS_24const_host_device_scalarIT1_EES3_PKS3_PKT2_SC_S9_PKT4_PKT5_S7_PT6_21rocsparse_index_base_b,comdat
	.globl	_ZN9rocsparseL18bsrxmvn_4x4_kernelILj128ELj32E21rocsparse_complex_numIfElifS2_S2_EEvT3_20rocsparse_direction_NS_24const_host_device_scalarIT1_EES3_PKS3_PKT2_SC_S9_PKT4_PKT5_S7_PT6_21rocsparse_index_base_b ; -- Begin function _ZN9rocsparseL18bsrxmvn_4x4_kernelILj128ELj32E21rocsparse_complex_numIfElifS2_S2_EEvT3_20rocsparse_direction_NS_24const_host_device_scalarIT1_EES3_PKS3_PKT2_SC_S9_PKT4_PKT5_S7_PT6_21rocsparse_index_base_b
	.p2align	8
	.type	_ZN9rocsparseL18bsrxmvn_4x4_kernelILj128ELj32E21rocsparse_complex_numIfElifS2_S2_EEvT3_20rocsparse_direction_NS_24const_host_device_scalarIT1_EES3_PKS3_PKT2_SC_S9_PKT4_PKT5_S7_PT6_21rocsparse_index_base_b,@function
_ZN9rocsparseL18bsrxmvn_4x4_kernelILj128ELj32E21rocsparse_complex_numIfElifS2_S2_EEvT3_20rocsparse_direction_NS_24const_host_device_scalarIT1_EES3_PKS3_PKT2_SC_S9_PKT4_PKT5_S7_PT6_21rocsparse_index_base_b: ; @_ZN9rocsparseL18bsrxmvn_4x4_kernelILj128ELj32E21rocsparse_complex_numIfElifS2_S2_EEvT3_20rocsparse_direction_NS_24const_host_device_scalarIT1_EES3_PKS3_PKT2_SC_S9_PKT4_PKT5_S7_PT6_21rocsparse_index_base_b
; %bb.0:
	s_load_dwordx2 s[4:5], s[0:1], 0x8
	s_load_dwordx2 s[16:17], s[0:1], 0x58
	s_add_u32 s3, s0, 8
	s_addc_u32 s8, s1, 0
	s_load_dwordx2 s[6:7], s[0:1], 0x48
	s_add_u32 s9, s0, 0x48
	s_addc_u32 s10, s1, 0
	s_waitcnt lgkmcnt(0)
	s_bitcmp1_b32 s17, 0
	s_cselect_b32 s3, s3, s4
	s_cselect_b32 s5, s8, s5
	v_mov_b32_e32 v2, s3
	s_cselect_b32 s3, s10, s7
	s_cselect_b32 s4, s9, s6
	v_mov_b32_e32 v3, s5
	v_mov_b32_e32 v4, s4
	;; [unrolled: 1-line block ×3, first 2 shown]
	flat_load_dwordx2 v[24:25], v[2:3]
	flat_load_dwordx2 v[26:27], v[4:5]
	s_waitcnt vmcnt(0) lgkmcnt(0)
	v_cmp_neq_f32_e32 vcc, 0, v24
	v_cmp_neq_f32_e64 s[4:5], 0, v25
	v_cmp_neq_f32_e64 s[8:9], 1.0, v26
	v_cmp_neq_f32_e64 s[6:7], 0, v27
	s_or_b64 s[4:5], vcc, s[4:5]
	s_or_b64 s[8:9], s[8:9], s[6:7]
	s_or_b64 s[4:5], s[4:5], s[8:9]
	s_and_saveexec_b64 s[8:9], s[4:5]
	s_cbranch_execz .LBB128_6
; %bb.1:
	s_load_dwordx2 s[8:9], s[0:1], 0x18
	s_load_dwordx2 s[4:5], s[0:1], 0x0
	v_lshrrev_b32_e32 v1, 5, v0
	v_lshl_or_b32 v28, s2, 2, v1
	s_mov_b64 s[2:3], 0
	s_waitcnt lgkmcnt(0)
	s_cmp_lg_u64 s[8:9], 0
	s_cbranch_scc0 .LBB128_7
; %bb.2:
	s_load_dword s10, s[0:1], 0x10
                                        ; implicit-def: $vgpr1
	s_waitcnt lgkmcnt(0)
	v_cmp_gt_i32_e32 vcc, s10, v28
	s_and_saveexec_b64 s[10:11], vcc
	s_xor_b64 s[10:11], exec, s[10:11]
	s_cbranch_execz .LBB128_4
; %bb.3:
	v_ashrrev_i32_e32 v29, 31, v28
	v_lshl_add_u64 v[2:3], v[28:29], 2, s[8:9]
	global_load_dword v1, v[2:3], off
	s_mov_b64 s[2:3], exec
	s_waitcnt vmcnt(0)
	v_subrev_u32_e32 v1, s16, v1
.LBB128_4:
	s_or_b64 exec, exec, s[10:11]
	s_branch .LBB128_8
.LBB128_5:
	v_cmp_gt_i32_e32 vcc, s4, v28
	s_andn2_b64 s[2:3], s[2:3], exec
	s_and_b64 s[8:9], vcc, exec
	s_or_b64 s[2:3], s[2:3], s[8:9]
	s_and_b64 exec, exec, s[2:3]
	s_cbranch_execnz .LBB128_9
.LBB128_6:
	s_endpgm
.LBB128_7:
                                        ; implicit-def: $vgpr1
	s_cbranch_execnz .LBB128_5
.LBB128_8:
	v_mov_b32_e32 v28, v1
	s_and_b64 exec, exec, s[2:3]
	s_cbranch_execz .LBB128_6
.LBB128_9:
	s_load_dwordx8 s[8:15], s[0:1], 0x20
	v_ashrrev_i32_e32 v29, 31, v28
	v_lshlrev_b64 v[2:3], 3, v[28:29]
	s_load_dwordx2 s[2:3], s[0:1], 0x40
	v_and_b32_e32 v30, 31, v0
	s_waitcnt lgkmcnt(0)
	v_lshl_add_u64 v[4:5], s[8:9], 0, v[2:3]
	s_cmp_eq_u64 s[10:11], 0
	v_lshl_add_u64 v[2:3], s[10:11], 0, v[2:3]
	global_load_dwordx2 v[16:17], v[4:5], off
	v_lshl_add_u64 v[4:5], v[4:5], 0, 8
	s_cselect_b64 vcc, -1, 0
	v_cndmask_b32_e32 v3, v3, v5, vcc
	v_cndmask_b32_e32 v2, v2, v4, vcc
	global_load_dwordx2 v[2:3], v[2:3], off
	v_mov_b32_e32 v31, 0
	s_cmp_eq_u32 s5, 1
	s_waitcnt vmcnt(1)
	v_subrev_co_u32_e32 v0, vcc, s16, v16
	s_nop 1
	v_subbrev_co_u32_e32 v1, vcc, 0, v17, vcc
	v_lshl_add_u64 v[32:33], v[0:1], 0, v[30:31]
	s_waitcnt vmcnt(0)
	v_subrev_co_u32_e32 v34, vcc, s16, v2
	v_lshlrev_b64 v[0:1], 6, v[32:33]
	s_nop 0
	v_subbrev_co_u32_e32 v35, vcc, 0, v3, vcc
	v_lshl_add_u64 v[36:37], s[14:15], 0, v[0:1]
	v_cmp_lt_i64_e64 s[4:5], v[32:33], v[34:35]
	s_cbranch_scc1 .LBB128_21
; %bb.10:
	v_mov_b32_e32 v44, v31
	v_mov_b32_e32 v41, v31
	;; [unrolled: 1-line block ×7, first 2 shown]
	s_and_saveexec_b64 s[8:9], s[4:5]
	s_cbranch_execz .LBB128_20
; %bb.11:
	v_or_b32_e32 v0, 32, v30
	v_subrev_co_u32_e32 v0, vcc, s16, v0
	v_not_b32_e32 v3, v17
	s_nop 0
	v_subb_co_u32_e64 v1, s[10:11], 0, 0, vcc
	v_lshl_add_u64 v[0:1], v[0:1], 0, v[16:17]
	v_cmp_gt_i64_e32 vcc, v[0:1], v[34:35]
	v_not_b32_e32 v2, v16
	v_mov_b32_e32 v39, 0
	v_cndmask_b32_e32 v1, v35, v1, vcc
	v_cndmask_b32_e32 v0, v34, v0, vcc
	v_sub_co_u32_e32 v4, vcc, s16, v30
	v_mov_b32_e32 v42, v39
	s_nop 0
	v_subb_co_u32_e64 v5, s[10:11], 0, 0, vcc
	v_lshl_add_u64 v[2:3], v[4:5], 0, v[2:3]
	v_lshl_add_u64 v[0:1], v[2:3], 0, v[0:1]
	v_and_b32_e32 v38, 0x60, v0
	s_mov_b64 s[10:11], 0x60
	v_cmp_ne_u64_e32 vcc, s[10:11], v[38:39]
	v_mov_b32_e32 v38, v39
	v_mov_b32_e32 v43, v39
	v_mov_b32_e32 v40, v39
	v_mov_b32_e32 v41, v39
	v_mov_b32_e32 v44, v39
	v_mov_b32_e32 v45, v39
	v_mov_b64_e32 v[2:3], v[36:37]
	v_mov_b64_e32 v[18:19], v[32:33]
	s_and_saveexec_b64 s[10:11], vcc
	s_cbranch_execz .LBB128_15
; %bb.12:
	v_lshrrev_b32_e32 v2, 5, v0
	v_add_u32_e32 v2, 1, v2
	v_and_b32_e32 v2, 3, v2
	v_sub_co_u32_e32 v8, vcc, 0, v2
	v_mov_b32_e32 v5, 0
	s_nop 0
	v_subb_co_u32_e64 v9, s[18:19], 0, 0, vcc
	v_lshl_add_u64 v[6:7], v[32:33], 2, s[12:13]
	s_mov_b64 s[14:15], 0
	s_mov_b64 s[18:19], 0x800
	;; [unrolled: 1-line block ×3, first 2 shown]
	v_bfrev_b32_e32 v10, 1
	v_mov_b64_e32 v[18:19], v[32:33]
	v_mov_b64_e32 v[2:3], v[36:37]
	v_mov_b32_e32 v38, v5
	v_mov_b32_e32 v39, v5
	;; [unrolled: 1-line block ×8, first 2 shown]
.LBB128_13:                             ; =>This Inner Loop Header: Depth=1
	global_load_dword v4, v[6:7], off
	global_load_dwordx4 v[50:53], v[2:3], off offset:16
	global_load_dwordx4 v[54:57], v[2:3], off
	v_lshl_add_u64 v[8:9], v[8:9], 0, 1
	v_cmp_eq_u64_e32 vcc, 0, v[8:9]
	v_lshl_add_u64 v[18:19], v[18:19], 0, 32
	v_lshl_add_u64 v[6:7], v[6:7], 0, s[20:21]
	s_or_b64 s[14:15], vcc, s[14:15]
	s_waitcnt vmcnt(2)
	v_subrev_u32_e32 v4, s16, v4
	v_lshlrev_b32_e32 v12, 2, v4
	v_ashrrev_i32_e32 v13, 31, v12
	v_lshl_add_u64 v[46:47], v[12:13], 3, s[2:3]
	global_load_dwordx4 v[12:15], v[46:47], off
	global_load_dwordx4 v[20:23], v[46:47], off offset:16
	global_load_dwordx4 v[58:61], v[2:3], off offset:32
	;; [unrolled: 1-line block ×3, first 2 shown]
	s_waitcnt vmcnt(4)
	v_mov_b32_e32 v4, v54
	v_mov_b32_e32 v11, v54
	v_lshl_add_u64 v[2:3], v[2:3], 0, s[18:19]
	s_waitcnt vmcnt(3)
	v_pk_fma_f32 v[44:45], v[12:13], v[4:5], v[44:45] op_sel_hi:[0,1,1]
	v_mov_b32_e32 v4, v55
	v_pk_fma_f32 v[44:45], v[12:13], v[10:11], v[44:45] op_sel:[1,0,0]
	v_mov_b32_e32 v46, v15
	v_mov_b32_e32 v11, v55
	v_pk_fma_f32 v[44:45], v[14:15], v[4:5], v[44:45] op_sel_hi:[0,1,1]
	v_mov_b32_e32 v4, v56
	v_pk_fma_f32 v[44:45], v[46:47], v[10:11], v[44:45] op_sel_hi:[0,1,1]
	v_mov_b32_e32 v11, v56
	s_waitcnt vmcnt(2)
	v_pk_fma_f32 v[44:45], v[20:21], v[4:5], v[44:45] op_sel_hi:[0,1,1]
	v_mov_b32_e32 v4, v57
	v_pk_fma_f32 v[44:45], v[20:21], v[10:11], v[44:45] op_sel:[1,0,0]
	v_mov_b32_e32 v48, v23
	v_mov_b32_e32 v11, v57
	v_pk_fma_f32 v[44:45], v[22:23], v[4:5], v[44:45] op_sel_hi:[0,1,1]
	v_mov_b32_e32 v4, v50
	v_pk_fma_f32 v[44:45], v[48:49], v[10:11], v[44:45] op_sel_hi:[0,1,1]
	v_pk_fma_f32 v[40:41], v[12:13], v[4:5], v[40:41] op_sel_hi:[0,1,1]
	v_mov_b32_e32 v11, v50
	v_mov_b32_e32 v4, v51
	v_pk_fma_f32 v[40:41], v[12:13], v[10:11], v[40:41] op_sel:[1,0,0]
	v_mov_b32_e32 v11, v51
	v_pk_fma_f32 v[40:41], v[14:15], v[4:5], v[40:41] op_sel_hi:[0,1,1]
	v_mov_b32_e32 v4, v52
	v_pk_fma_f32 v[40:41], v[46:47], v[10:11], v[40:41] op_sel_hi:[0,1,1]
	;; [unrolled: 2-line block ×3, first 2 shown]
	v_mov_b32_e32 v4, v53
	v_pk_fma_f32 v[40:41], v[20:21], v[10:11], v[40:41] op_sel:[1,0,0]
	v_mov_b32_e32 v11, v53
	v_pk_fma_f32 v[40:41], v[22:23], v[4:5], v[40:41] op_sel_hi:[0,1,1]
	s_waitcnt vmcnt(1)
	v_mov_b32_e32 v4, v58
	v_pk_fma_f32 v[40:41], v[48:49], v[10:11], v[40:41] op_sel_hi:[0,1,1]
	v_pk_fma_f32 v[42:43], v[12:13], v[4:5], v[42:43] op_sel_hi:[0,1,1]
	v_mov_b32_e32 v11, v58
	v_mov_b32_e32 v4, v59
	v_pk_fma_f32 v[42:43], v[12:13], v[10:11], v[42:43] op_sel:[1,0,0]
	v_mov_b32_e32 v11, v59
	v_pk_fma_f32 v[42:43], v[14:15], v[4:5], v[42:43] op_sel_hi:[0,1,1]
	v_mov_b32_e32 v4, v60
	v_pk_fma_f32 v[42:43], v[46:47], v[10:11], v[42:43] op_sel_hi:[0,1,1]
	;; [unrolled: 2-line block ×3, first 2 shown]
	v_mov_b32_e32 v4, v61
	v_pk_fma_f32 v[42:43], v[20:21], v[10:11], v[42:43] op_sel:[1,0,0]
	v_mov_b32_e32 v11, v61
	v_pk_fma_f32 v[42:43], v[22:23], v[4:5], v[42:43] op_sel_hi:[0,1,1]
	s_waitcnt vmcnt(0)
	v_mov_b32_e32 v4, v62
	v_pk_fma_f32 v[42:43], v[48:49], v[10:11], v[42:43] op_sel_hi:[0,1,1]
	v_pk_fma_f32 v[38:39], v[12:13], v[4:5], v[38:39] op_sel_hi:[0,1,1]
	v_mov_b32_e32 v11, v62
	v_mov_b32_e32 v4, v63
	v_pk_fma_f32 v[12:13], v[12:13], v[10:11], v[38:39] op_sel:[1,0,0]
	v_mov_b32_e32 v11, v63
	v_pk_fma_f32 v[12:13], v[14:15], v[4:5], v[12:13] op_sel_hi:[0,1,1]
	v_mov_b32_e32 v4, v64
	v_pk_fma_f32 v[12:13], v[46:47], v[10:11], v[12:13] op_sel_hi:[0,1,1]
	;; [unrolled: 2-line block ×3, first 2 shown]
	v_mov_b32_e32 v4, v65
	v_pk_fma_f32 v[12:13], v[20:21], v[10:11], v[12:13] op_sel:[1,0,0]
	v_mov_b32_e32 v11, v65
	v_pk_fma_f32 v[12:13], v[22:23], v[4:5], v[12:13] op_sel_hi:[0,1,1]
	v_pk_fma_f32 v[38:39], v[48:49], v[10:11], v[12:13] op_sel_hi:[0,1,1]
	s_andn2_b64 exec, exec, s[14:15]
	s_cbranch_execnz .LBB128_13
; %bb.14:
	s_or_b64 exec, exec, s[14:15]
.LBB128_15:
	s_or_b64 exec, exec, s[10:11]
	s_mov_b64 s[10:11], 0x5f
	v_cmp_lt_u64_e32 vcc, s[10:11], v[0:1]
	s_and_saveexec_b64 s[10:11], vcc
	s_cbranch_execz .LBB128_19
; %bb.16:
	v_lshl_add_u64 v[0:1], v[18:19], 2, s[12:13]
	s_mov_b64 s[14:15], 0x100
	v_lshl_add_u64 v[20:21], v[0:1], 0, s[14:15]
	s_mov_b64 s[14:15], 0x1000
	;; [unrolled: 2-line block ×3, first 2 shown]
	v_mov_b32_e32 v47, 0
	s_mov_b64 s[18:19], 0x80
	s_mov_b64 s[20:21], 0x200
	;; [unrolled: 1-line block ×3, first 2 shown]
	v_bfrev_b32_e32 v48, 1
.LBB128_17:                             ; =>This Inner Loop Header: Depth=1
	global_load_dword v0, v[20:21], off offset:-256
	v_lshl_add_u64 v[18:19], v[18:19], 0, s[18:19]
	v_cmp_ge_i64_e32 vcc, v[18:19], v[34:35]
	s_or_b64 s[14:15], vcc, s[14:15]
	s_waitcnt vmcnt(0)
	v_subrev_u32_e32 v0, s16, v0
	v_lshlrev_b32_e32 v0, 2, v0
	v_ashrrev_i32_e32 v1, 31, v0
	v_lshl_add_u64 v[0:1], v[0:1], 3, s[2:3]
	global_load_dwordx4 v[8:11], v[0:1], off offset:16
	global_load_dwordx4 v[12:15], v[0:1], off
	global_load_dword v2, v[20:21], off offset:-128
	global_load_dwordx4 v[50:53], v[22:23], off offset:-2000
	global_load_dwordx4 v[70:73], v[22:23], off offset:-2016
	;; [unrolled: 1-line block ×4, first 2 shown]
	s_waitcnt vmcnt(6)
	v_mov_b32_e32 v56, v11
	s_waitcnt vmcnt(4)
	v_subrev_u32_e32 v0, s16, v2
	v_lshlrev_b32_e32 v0, 2, v0
	v_ashrrev_i32_e32 v1, 31, v0
	v_lshl_add_u64 v[54:55], v[0:1], 3, s[2:3]
	global_load_dwordx4 v[0:3], v[54:55], off offset:16
	global_load_dwordx4 v[4:7], v[54:55], off
	global_load_dwordx4 v[58:61], v[22:23], off offset:-4048
	global_load_dwordx4 v[66:69], v[22:23], off offset:-4064
	;; [unrolled: 1-line block ×4, first 2 shown]
	v_mov_b32_e32 v54, v15
	s_waitcnt vmcnt(0)
	v_mov_b32_e32 v46, v82
	v_pk_fma_f32 v[44:45], v[12:13], v[46:47], v[44:45] op_sel_hi:[0,1,1]
	v_mov_b32_e32 v49, v82
	v_pk_fma_f32 v[44:45], v[12:13], v[48:49], v[44:45] op_sel:[1,0,0]
	v_mov_b32_e32 v46, v83
	v_pk_fma_f32 v[44:45], v[14:15], v[46:47], v[44:45] op_sel_hi:[0,1,1]
	v_mov_b32_e32 v49, v83
	v_pk_fma_f32 v[44:45], v[54:55], v[48:49], v[44:45] op_sel_hi:[0,1,1]
	v_mov_b32_e32 v46, v84
	v_pk_fma_f32 v[44:45], v[8:9], v[46:47], v[44:45] op_sel_hi:[0,1,1]
	v_mov_b32_e32 v49, v84
	v_pk_fma_f32 v[44:45], v[8:9], v[48:49], v[44:45] op_sel:[1,0,0]
	v_mov_b32_e32 v46, v85
	v_pk_fma_f32 v[44:45], v[10:11], v[46:47], v[44:45] op_sel_hi:[0,1,1]
	v_mov_b32_e32 v49, v85
	v_pk_fma_f32 v[44:45], v[56:57], v[48:49], v[44:45] op_sel_hi:[0,1,1]
	v_mov_b32_e32 v46, v62
	v_pk_fma_f32 v[44:45], v[4:5], v[46:47], v[44:45] op_sel_hi:[0,1,1]
	v_mov_b32_e32 v49, v62
	v_mov_b32_e32 v46, v78
	v_pk_fma_f32 v[44:45], v[4:5], v[48:49], v[44:45] op_sel:[1,0,0]
	v_pk_fma_f32 v[40:41], v[12:13], v[46:47], v[40:41] op_sel_hi:[0,1,1]
	v_mov_b32_e32 v49, v78
	v_pk_fma_f32 v[40:41], v[12:13], v[48:49], v[40:41] op_sel:[1,0,0]
	v_mov_b32_e32 v46, v79
	v_pk_fma_f32 v[40:41], v[14:15], v[46:47], v[40:41] op_sel_hi:[0,1,1]
	v_mov_b32_e32 v49, v79
	v_pk_fma_f32 v[40:41], v[54:55], v[48:49], v[40:41] op_sel_hi:[0,1,1]
	v_mov_b32_e32 v46, v80
	v_pk_fma_f32 v[40:41], v[8:9], v[46:47], v[40:41] op_sel_hi:[0,1,1]
	v_mov_b32_e32 v49, v80
	v_pk_fma_f32 v[40:41], v[8:9], v[48:49], v[40:41] op_sel:[1,0,0]
	v_mov_b32_e32 v46, v81
	v_pk_fma_f32 v[40:41], v[10:11], v[46:47], v[40:41] op_sel_hi:[0,1,1]
	v_mov_b32_e32 v49, v81
	v_pk_fma_f32 v[40:41], v[56:57], v[48:49], v[40:41] op_sel_hi:[0,1,1]
	v_mov_b32_e32 v46, v74
	v_pk_fma_f32 v[40:41], v[4:5], v[46:47], v[40:41] op_sel_hi:[0,1,1]
	v_mov_b32_e32 v49, v74
	v_mov_b32_e32 v46, v66
	v_pk_fma_f32 v[40:41], v[4:5], v[48:49], v[40:41] op_sel:[1,0,0]
	;; [unrolled: 20-line block ×3, first 2 shown]
	v_pk_fma_f32 v[38:39], v[12:13], v[46:47], v[38:39] op_sel_hi:[0,1,1]
	v_mov_b32_e32 v49, v58
	v_pk_fma_f32 v[12:13], v[12:13], v[48:49], v[38:39] op_sel:[1,0,0]
	v_mov_b32_e32 v46, v59
	v_pk_fma_f32 v[12:13], v[14:15], v[46:47], v[12:13] op_sel_hi:[0,1,1]
	v_mov_b32_e32 v49, v59
	v_pk_fma_f32 v[12:13], v[54:55], v[48:49], v[12:13] op_sel_hi:[0,1,1]
	;; [unrolled: 2-line block ×3, first 2 shown]
	v_mov_b32_e32 v49, v60
	v_pk_fma_f32 v[8:9], v[8:9], v[48:49], v[12:13] op_sel:[1,0,0]
	v_mov_b32_e32 v46, v61
	v_pk_fma_f32 v[8:9], v[10:11], v[46:47], v[8:9] op_sel_hi:[0,1,1]
	v_mov_b32_e32 v49, v61
	v_pk_fma_f32 v[8:9], v[56:57], v[48:49], v[8:9] op_sel_hi:[0,1,1]
	;; [unrolled: 2-line block ×3, first 2 shown]
	v_mov_b32_e32 v49, v50
	v_pk_fma_f32 v[4:5], v[4:5], v[48:49], v[8:9] op_sel:[1,0,0]
	global_load_dword v8, v[20:21], off
	v_mov_b32_e32 v46, v63
	v_mov_b32_e32 v50, v7
	;; [unrolled: 1-line block ×4, first 2 shown]
	s_waitcnt vmcnt(0)
	v_subrev_u32_e32 v8, s16, v8
	v_lshlrev_b32_e32 v8, 2, v8
	v_ashrrev_i32_e32 v9, 31, v8
	v_lshl_add_u64 v[12:13], v[8:9], 3, s[2:3]
	global_load_dwordx4 v[8:11], v[12:13], off offset:16
	global_load_dwordx4 v[54:57], v[12:13], off
	global_load_dword v14, v[20:21], off offset:128
	v_lshl_add_u64 v[20:21], v[20:21], 0, s[20:21]
	s_waitcnt vmcnt(0)
	v_subrev_u32_e32 v12, s16, v14
	v_lshlrev_b32_e32 v12, 2, v12
	v_ashrrev_i32_e32 v13, 31, v12
	v_lshl_add_u64 v[38:39], v[12:13], 3, s[2:3]
	global_load_dwordx4 v[12:15], v[38:39], off offset:16
	global_load_dwordx4 v[58:61], v[38:39], off
	global_load_dwordx4 v[78:81], v[22:23], off offset:48
	global_load_dwordx4 v[82:85], v[22:23], off offset:32
	;; [unrolled: 1-line block ×3, first 2 shown]
	global_load_dwordx4 v[66:69], v[22:23], off
	global_load_dwordx4 v[90:93], v[22:23], off offset:2096
	global_load_dwordx4 v[94:97], v[22:23], off offset:2080
	;; [unrolled: 1-line block ×4, first 2 shown]
	v_pk_fma_f32 v[38:39], v[6:7], v[46:47], v[44:45] op_sel_hi:[0,1,1]
	v_pk_fma_f32 v[38:39], v[50:51], v[48:49], v[38:39] op_sel_hi:[0,1,1]
	v_mov_b32_e32 v46, v64
	v_pk_fma_f32 v[38:39], v[0:1], v[46:47], v[38:39] op_sel_hi:[0,1,1]
	v_mov_b32_e32 v49, v64
	v_pk_fma_f32 v[38:39], v[0:1], v[48:49], v[38:39] op_sel:[1,0,0]
	v_mov_b32_e32 v46, v65
	v_pk_fma_f32 v[38:39], v[2:3], v[46:47], v[38:39] op_sel_hi:[0,1,1]
	v_mov_b32_e32 v49, v65
	v_pk_fma_f32 v[38:39], v[62:63], v[48:49], v[38:39] op_sel_hi:[0,1,1]
	v_mov_b32_e32 v64, v57
	v_lshl_add_u64 v[22:23], v[22:23], 0, s[22:23]
	s_waitcnt vmcnt(9)
	v_mov_b32_e32 v70, v15
	s_waitcnt vmcnt(4)
	v_mov_b32_e32 v46, v66
	v_pk_fma_f32 v[38:39], v[54:55], v[46:47], v[38:39] op_sel_hi:[0,1,1]
	v_mov_b32_e32 v49, v66
	v_pk_fma_f32 v[38:39], v[54:55], v[48:49], v[38:39] op_sel:[1,0,0]
	v_mov_b32_e32 v46, v67
	v_pk_fma_f32 v[38:39], v[56:57], v[46:47], v[38:39] op_sel_hi:[0,1,1]
	v_mov_b32_e32 v49, v67
	v_pk_fma_f32 v[38:39], v[64:65], v[48:49], v[38:39] op_sel_hi:[0,1,1]
	;; [unrolled: 2-line block ×3, first 2 shown]
	v_mov_b32_e32 v49, v68
	v_pk_fma_f32 v[38:39], v[8:9], v[48:49], v[38:39] op_sel:[1,0,0]
	v_mov_b32_e32 v46, v69
	v_pk_fma_f32 v[38:39], v[10:11], v[46:47], v[38:39] op_sel_hi:[0,1,1]
	v_mov_b32_e32 v66, v11
	v_mov_b32_e32 v49, v69
	v_pk_fma_f32 v[38:39], v[66:67], v[48:49], v[38:39] op_sel_hi:[0,1,1]
	s_waitcnt vmcnt(0)
	v_mov_b32_e32 v46, v102
	v_pk_fma_f32 v[38:39], v[58:59], v[46:47], v[38:39] op_sel_hi:[0,1,1]
	v_mov_b32_e32 v49, v102
	v_pk_fma_f32 v[38:39], v[58:59], v[48:49], v[38:39] op_sel:[1,0,0]
	v_mov_b32_e32 v46, v103
	v_pk_fma_f32 v[38:39], v[60:61], v[46:47], v[38:39] op_sel_hi:[0,1,1]
	v_mov_b32_e32 v68, v61
	v_mov_b32_e32 v49, v103
	v_pk_fma_f32 v[38:39], v[68:69], v[48:49], v[38:39] op_sel_hi:[0,1,1]
	v_mov_b32_e32 v46, v104
	v_pk_fma_f32 v[38:39], v[12:13], v[46:47], v[38:39] op_sel_hi:[0,1,1]
	v_mov_b32_e32 v49, v104
	v_pk_fma_f32 v[38:39], v[12:13], v[48:49], v[38:39] op_sel:[1,0,0]
	v_mov_b32_e32 v46, v105
	v_pk_fma_f32 v[38:39], v[14:15], v[46:47], v[38:39] op_sel_hi:[0,1,1]
	v_mov_b32_e32 v49, v105
	v_mov_b32_e32 v46, v75
	v_pk_fma_f32 v[44:45], v[70:71], v[48:49], v[38:39] op_sel_hi:[0,1,1]
	v_pk_fma_f32 v[38:39], v[6:7], v[46:47], v[40:41] op_sel_hi:[0,1,1]
	v_mov_b32_e32 v49, v75
	v_pk_fma_f32 v[38:39], v[50:51], v[48:49], v[38:39] op_sel_hi:[0,1,1]
	v_mov_b32_e32 v46, v76
	v_pk_fma_f32 v[38:39], v[0:1], v[46:47], v[38:39] op_sel_hi:[0,1,1]
	v_mov_b32_e32 v49, v76
	v_pk_fma_f32 v[38:39], v[0:1], v[48:49], v[38:39] op_sel:[1,0,0]
	v_mov_b32_e32 v46, v77
	v_pk_fma_f32 v[38:39], v[2:3], v[46:47], v[38:39] op_sel_hi:[0,1,1]
	v_mov_b32_e32 v49, v77
	v_pk_fma_f32 v[38:39], v[62:63], v[48:49], v[38:39] op_sel_hi:[0,1,1]
	v_mov_b32_e32 v46, v86
	v_pk_fma_f32 v[38:39], v[54:55], v[46:47], v[38:39] op_sel_hi:[0,1,1]
	v_mov_b32_e32 v49, v86
	v_pk_fma_f32 v[38:39], v[54:55], v[48:49], v[38:39] op_sel:[1,0,0]
	v_mov_b32_e32 v46, v87
	v_pk_fma_f32 v[38:39], v[56:57], v[46:47], v[38:39] op_sel_hi:[0,1,1]
	v_mov_b32_e32 v49, v87
	v_pk_fma_f32 v[38:39], v[64:65], v[48:49], v[38:39] op_sel_hi:[0,1,1]
	v_mov_b32_e32 v46, v88
	v_pk_fma_f32 v[38:39], v[46:47], v[8:9], v[38:39] op_sel_hi:[1,0,1]
	v_mov_b32_e32 v49, v88
	v_pk_fma_f32 v[38:39], v[8:9], v[48:49], v[38:39] op_sel:[1,0,0]
	v_mov_b32_e32 v46, v89
	v_pk_fma_f32 v[38:39], v[10:11], v[46:47], v[38:39] op_sel_hi:[0,1,1]
	v_mov_b32_e32 v49, v89
	v_pk_fma_f32 v[38:39], v[66:67], v[48:49], v[38:39] op_sel_hi:[0,1,1]
	v_mov_b32_e32 v46, v98
	v_pk_fma_f32 v[38:39], v[58:59], v[46:47], v[38:39] op_sel_hi:[0,1,1]
	v_mov_b32_e32 v49, v98
	v_pk_fma_f32 v[38:39], v[58:59], v[48:49], v[38:39] op_sel:[1,0,0]
	v_mov_b32_e32 v46, v99
	v_pk_fma_f32 v[38:39], v[60:61], v[46:47], v[38:39] op_sel_hi:[0,1,1]
	v_mov_b32_e32 v49, v99
	v_pk_fma_f32 v[38:39], v[68:69], v[48:49], v[38:39] op_sel_hi:[0,1,1]
	v_mov_b32_e32 v46, v100
	v_pk_fma_f32 v[38:39], v[12:13], v[46:47], v[38:39] op_sel_hi:[0,1,1]
	v_mov_b32_e32 v49, v100
	v_pk_fma_f32 v[38:39], v[12:13], v[48:49], v[38:39] op_sel:[1,0,0]
	v_mov_b32_e32 v46, v101
	v_pk_fma_f32 v[38:39], v[14:15], v[46:47], v[38:39] op_sel_hi:[0,1,1]
	v_mov_b32_e32 v49, v101
	v_mov_b32_e32 v46, v71
	v_pk_fma_f32 v[40:41], v[70:71], v[48:49], v[38:39] op_sel_hi:[0,1,1]
	v_pk_fma_f32 v[38:39], v[6:7], v[46:47], v[42:43] op_sel_hi:[0,1,1]
	v_mov_b32_e32 v49, v71
	v_pk_fma_f32 v[38:39], v[50:51], v[48:49], v[38:39] op_sel_hi:[0,1,1]
	v_mov_b32_e32 v46, v72
	v_pk_fma_f32 v[38:39], v[0:1], v[46:47], v[38:39] op_sel_hi:[0,1,1]
	v_mov_b32_e32 v49, v72
	v_pk_fma_f32 v[38:39], v[0:1], v[48:49], v[38:39] op_sel:[1,0,0]
	v_mov_b32_e32 v46, v73
	v_pk_fma_f32 v[38:39], v[2:3], v[46:47], v[38:39] op_sel_hi:[0,1,1]
	v_mov_b32_e32 v49, v73
	v_pk_fma_f32 v[38:39], v[62:63], v[48:49], v[38:39] op_sel_hi:[0,1,1]
	v_mov_b32_e32 v46, v82
	v_pk_fma_f32 v[38:39], v[54:55], v[46:47], v[38:39] op_sel_hi:[0,1,1]
	v_mov_b32_e32 v49, v82
	v_pk_fma_f32 v[38:39], v[54:55], v[48:49], v[38:39] op_sel:[1,0,0]
	v_mov_b32_e32 v46, v83
	v_pk_fma_f32 v[38:39], v[56:57], v[46:47], v[38:39] op_sel_hi:[0,1,1]
	v_mov_b32_e32 v49, v83
	v_pk_fma_f32 v[38:39], v[64:65], v[48:49], v[38:39] op_sel_hi:[0,1,1]
	v_mov_b32_e32 v46, v84
	v_pk_fma_f32 v[38:39], v[46:47], v[8:9], v[38:39] op_sel_hi:[1,0,1]
	v_mov_b32_e32 v49, v84
	v_pk_fma_f32 v[38:39], v[8:9], v[48:49], v[38:39] op_sel:[1,0,0]
	v_mov_b32_e32 v46, v85
	v_pk_fma_f32 v[38:39], v[10:11], v[46:47], v[38:39] op_sel_hi:[0,1,1]
	v_mov_b32_e32 v49, v85
	v_pk_fma_f32 v[38:39], v[66:67], v[48:49], v[38:39] op_sel_hi:[0,1,1]
	v_mov_b32_e32 v46, v94
	v_pk_fma_f32 v[38:39], v[58:59], v[46:47], v[38:39] op_sel_hi:[0,1,1]
	v_mov_b32_e32 v49, v94
	v_pk_fma_f32 v[38:39], v[58:59], v[48:49], v[38:39] op_sel:[1,0,0]
	v_mov_b32_e32 v46, v95
	v_pk_fma_f32 v[38:39], v[60:61], v[46:47], v[38:39] op_sel_hi:[0,1,1]
	;; [unrolled: 44-line block ×3, first 2 shown]
	v_mov_b32_e32 v49, v91
	v_pk_fma_f32 v[0:1], v[68:69], v[48:49], v[0:1] op_sel_hi:[0,1,1]
	v_mov_b32_e32 v46, v92
	v_pk_fma_f32 v[0:1], v[12:13], v[46:47], v[0:1] op_sel_hi:[0,1,1]
	v_mov_b32_e32 v49, v92
	v_pk_fma_f32 v[0:1], v[12:13], v[48:49], v[0:1] op_sel:[1,0,0]
	v_mov_b32_e32 v46, v93
	v_pk_fma_f32 v[0:1], v[14:15], v[46:47], v[0:1] op_sel_hi:[0,1,1]
	v_mov_b32_e32 v49, v93
	v_pk_fma_f32 v[38:39], v[70:71], v[48:49], v[0:1] op_sel_hi:[0,1,1]
	s_andn2_b64 exec, exec, s[14:15]
	s_cbranch_execnz .LBB128_17
; %bb.18:
	s_or_b64 exec, exec, s[14:15]
.LBB128_19:
	s_or_b64 exec, exec, s[10:11]
	v_mov_b32_e32 v31, v45
.LBB128_20:
	s_or_b64 exec, exec, s[8:9]
	s_cbranch_execz .LBB128_22
	s_branch .LBB128_33
.LBB128_21:
                                        ; implicit-def: $vgpr44
                                        ; implicit-def: $vgpr41
                                        ; implicit-def: $vgpr43
                                        ; implicit-def: $vgpr39
.LBB128_22:
	v_mov_b32_e32 v31, 0
	v_mov_b32_e32 v44, 0
	;; [unrolled: 1-line block ×8, first 2 shown]
	s_and_saveexec_b64 s[8:9], s[4:5]
	s_cbranch_execz .LBB128_32
; %bb.23:
	v_or_b32_e32 v0, 32, v30
	v_subrev_co_u32_e32 v0, vcc, s16, v0
	v_not_b32_e32 v3, v17
	s_nop 0
	v_subb_co_u32_e64 v1, s[4:5], 0, 0, vcc
	v_lshl_add_u64 v[0:1], v[0:1], 0, v[16:17]
	v_cmp_gt_i64_e32 vcc, v[0:1], v[34:35]
	v_not_b32_e32 v2, v16
	v_mov_b32_e32 v39, 0
	v_cndmask_b32_e32 v1, v35, v1, vcc
	v_cndmask_b32_e32 v0, v34, v0, vcc
	v_sub_co_u32_e32 v4, vcc, s16, v30
	v_mov_b32_e32 v42, v39
	s_nop 0
	v_subb_co_u32_e64 v5, s[4:5], 0, 0, vcc
	v_lshl_add_u64 v[2:3], v[4:5], 0, v[2:3]
	v_lshl_add_u64 v[0:1], v[2:3], 0, v[0:1]
	v_and_b32_e32 v38, 0x60, v0
	s_mov_b64 s[4:5], 0x60
	v_cmp_ne_u64_e32 vcc, s[4:5], v[38:39]
	v_mov_b32_e32 v38, v39
	v_mov_b32_e32 v43, v39
	;; [unrolled: 1-line block ×6, first 2 shown]
	s_and_saveexec_b64 s[4:5], vcc
	s_cbranch_execz .LBB128_27
; %bb.24:
	v_lshrrev_b32_e32 v2, 5, v0
	v_add_u32_e32 v2, 1, v2
	v_and_b32_e32 v2, 3, v2
	v_sub_co_u32_e32 v6, vcc, 0, v2
	v_mov_b32_e32 v3, 0
	s_nop 0
	v_subb_co_u32_e64 v7, s[14:15], 0, 0, vcc
	v_lshl_add_u64 v[4:5], v[32:33], 2, s[12:13]
	s_mov_b64 s[10:11], 0
	s_mov_b64 s[14:15], 0x800
	;; [unrolled: 1-line block ×3, first 2 shown]
	v_bfrev_b32_e32 v8, 1
	v_mov_b32_e32 v38, v3
	v_mov_b32_e32 v39, v3
	;; [unrolled: 1-line block ×8, first 2 shown]
.LBB128_25:                             ; =>This Inner Loop Header: Depth=1
	global_load_dword v2, v[4:5], off
	global_load_dwordx4 v[46:49], v[36:37], off offset:32
	global_load_dwordx4 v[50:53], v[36:37], off offset:16
	global_load_dwordx4 v[54:57], v[36:37], off
	v_lshl_add_u64 v[6:7], v[6:7], 0, 1
	v_cmp_eq_u64_e32 vcc, 0, v[6:7]
	v_lshl_add_u64 v[32:33], v[32:33], 0, 32
	v_lshl_add_u64 v[4:5], v[4:5], 0, s[18:19]
	s_or_b64 s[10:11], vcc, s[10:11]
	s_waitcnt vmcnt(3)
	v_subrev_u32_e32 v2, s16, v2
	v_lshlrev_b32_e32 v10, 2, v2
	v_ashrrev_i32_e32 v11, 31, v10
	v_lshl_add_u64 v[18:19], v[10:11], 3, s[2:3]
	global_load_dwordx4 v[10:13], v[18:19], off
	global_load_dwordx4 v[14:17], v[18:19], off offset:16
	global_load_dwordx4 v[58:61], v[36:37], off offset:48
	s_waitcnt vmcnt(3)
	v_mov_b32_e32 v2, v54
	v_mov_b32_e32 v9, v54
	v_lshl_add_u64 v[36:37], v[36:37], 0, s[14:15]
	s_waitcnt vmcnt(2)
	v_pk_fma_f32 v[18:19], v[10:11], v[2:3], v[44:45] op_sel_hi:[0,1,1]
	v_mov_b32_e32 v2, v50
	v_pk_fma_f32 v[18:19], v[10:11], v[8:9], v[18:19] op_sel:[1,0,0]
	v_mov_b32_e32 v20, v13
	v_mov_b32_e32 v9, v50
	v_pk_fma_f32 v[18:19], v[12:13], v[2:3], v[18:19] op_sel_hi:[0,1,1]
	v_mov_b32_e32 v2, v46
	v_pk_fma_f32 v[18:19], v[20:21], v[8:9], v[18:19] op_sel_hi:[0,1,1]
	v_mov_b32_e32 v9, v46
	s_waitcnt vmcnt(1)
	v_pk_fma_f32 v[18:19], v[14:15], v[2:3], v[18:19] op_sel_hi:[0,1,1]
	s_waitcnt vmcnt(0)
	v_mov_b32_e32 v2, v58
	v_pk_fma_f32 v[18:19], v[14:15], v[8:9], v[18:19] op_sel:[1,0,0]
	v_mov_b32_e32 v22, v17
	v_mov_b32_e32 v9, v58
	v_pk_fma_f32 v[18:19], v[16:17], v[2:3], v[18:19] op_sel_hi:[0,1,1]
	v_mov_b32_e32 v2, v55
	v_pk_fma_f32 v[44:45], v[22:23], v[8:9], v[18:19] op_sel_hi:[0,1,1]
	v_pk_fma_f32 v[18:19], v[10:11], v[2:3], v[40:41] op_sel_hi:[0,1,1]
	v_mov_b32_e32 v9, v55
	v_mov_b32_e32 v2, v51
	v_pk_fma_f32 v[18:19], v[10:11], v[8:9], v[18:19] op_sel:[1,0,0]
	v_mov_b32_e32 v9, v51
	v_pk_fma_f32 v[18:19], v[12:13], v[2:3], v[18:19] op_sel_hi:[0,1,1]
	v_mov_b32_e32 v2, v47
	v_pk_fma_f32 v[18:19], v[20:21], v[8:9], v[18:19] op_sel_hi:[0,1,1]
	v_mov_b32_e32 v9, v47
	v_pk_fma_f32 v[18:19], v[14:15], v[2:3], v[18:19] op_sel_hi:[0,1,1]
	v_mov_b32_e32 v2, v59
	v_pk_fma_f32 v[18:19], v[14:15], v[8:9], v[18:19] op_sel:[1,0,0]
	v_mov_b32_e32 v9, v59
	v_pk_fma_f32 v[18:19], v[16:17], v[2:3], v[18:19] op_sel_hi:[0,1,1]
	v_mov_b32_e32 v2, v56
	v_pk_fma_f32 v[40:41], v[22:23], v[8:9], v[18:19] op_sel_hi:[0,1,1]
	v_pk_fma_f32 v[18:19], v[10:11], v[2:3], v[42:43] op_sel_hi:[0,1,1]
	v_mov_b32_e32 v9, v56
	v_mov_b32_e32 v2, v52
	v_pk_fma_f32 v[18:19], v[10:11], v[8:9], v[18:19] op_sel:[1,0,0]
	v_mov_b32_e32 v9, v52
	v_pk_fma_f32 v[18:19], v[12:13], v[2:3], v[18:19] op_sel_hi:[0,1,1]
	v_mov_b32_e32 v2, v48
	v_pk_fma_f32 v[18:19], v[20:21], v[8:9], v[18:19] op_sel_hi:[0,1,1]
	v_mov_b32_e32 v9, v48
	v_pk_fma_f32 v[18:19], v[14:15], v[2:3], v[18:19] op_sel_hi:[0,1,1]
	v_mov_b32_e32 v2, v60
	v_pk_fma_f32 v[18:19], v[14:15], v[8:9], v[18:19] op_sel:[1,0,0]
	;; [unrolled: 16-line block ×3, first 2 shown]
	v_mov_b32_e32 v9, v61
	v_pk_fma_f32 v[10:11], v[16:17], v[2:3], v[10:11] op_sel_hi:[0,1,1]
	v_pk_fma_f32 v[38:39], v[22:23], v[8:9], v[10:11] op_sel_hi:[0,1,1]
	s_andn2_b64 exec, exec, s[10:11]
	s_cbranch_execnz .LBB128_25
; %bb.26:
	s_or_b64 exec, exec, s[10:11]
.LBB128_27:
	s_or_b64 exec, exec, s[4:5]
	s_mov_b64 s[4:5], 0x5f
	v_cmp_lt_u64_e32 vcc, s[4:5], v[0:1]
	s_and_saveexec_b64 s[4:5], vcc
	s_cbranch_execz .LBB128_31
; %bb.28:
	v_lshl_add_u64 v[0:1], v[32:33], 2, s[12:13]
	s_mov_b64 s[10:11], 0x100
	v_lshl_add_u64 v[46:47], v[0:1], 0, s[10:11]
	s_mov_b64 s[10:11], 0
	v_mov_b32_e32 v49, 0
	s_mov_b64 s[12:13], 0x1000
	s_movk_i32 s17, 0x1000
	s_mov_b64 s[14:15], 0x80
	s_mov_b64 s[18:19], 0x200
	;; [unrolled: 1-line block ×3, first 2 shown]
	v_bfrev_b32_e32 v50, 1
.LBB128_29:                             ; =>This Inner Loop Header: Depth=1
	global_load_dword v0, v[46:47], off offset:-256
	global_load_dword v1, v[46:47], off offset:-128
	global_load_dwordx4 v[60:63], v[36:37], off
	global_load_dword v6, v[46:47], off
	global_load_dword v7, v[46:47], off offset:128
	global_load_dwordx4 v[118:121], v[36:37], off offset:16
	global_load_dwordx4 v[76:79], v[36:37], off offset:48
	;; [unrolled: 1-line block ×7, first 2 shown]
	v_add_co_u32_e32 v4, vcc, s17, v36
	v_lshl_add_u64 v[2:3], v[36:37], 0, s[12:13]
	s_nop 0
	v_addc_co_u32_e32 v5, vcc, 0, v37, vcc
	global_load_dwordx4 v[96:99], v[2:3], off offset:32
	global_load_dwordx4 v[126:129], v[2:3], off offset:16
	global_load_dwordx4 v[130:133], v[4:5], off
	global_load_dwordx4 v[84:87], v[2:3], off offset:2096
	global_load_dwordx4 v[88:91], v[2:3], off offset:2080
	;; [unrolled: 1-line block ×5, first 2 shown]
	v_lshl_add_u64 v[32:33], v[32:33], 0, s[14:15]
	v_cmp_ge_i64_e32 vcc, v[32:33], v[34:35]
	v_lshl_add_u64 v[46:47], v[46:47], 0, s[18:19]
	v_lshl_add_u64 v[36:37], v[36:37], 0, s[20:21]
	s_or_b64 s[10:11], vcc, s[10:11]
	s_waitcnt vmcnt(19)
	v_subrev_u32_e32 v0, s16, v0
	s_waitcnt vmcnt(18)
	v_subrev_u32_e32 v1, s16, v1
	v_lshlrev_b32_e32 v0, 2, v0
	s_waitcnt vmcnt(16)
	v_subrev_u32_e32 v3, s16, v6
	s_waitcnt vmcnt(15)
	v_subrev_u32_e32 v5, s16, v7
	v_lshlrev_b32_e32 v2, 2, v1
	v_lshlrev_b32_e32 v4, 2, v3
	;; [unrolled: 1-line block ×3, first 2 shown]
	v_ashrrev_i32_e32 v1, 31, v0
	v_ashrrev_i32_e32 v3, 31, v2
	;; [unrolled: 1-line block ×4, first 2 shown]
	v_lshl_add_u64 v[0:1], v[0:1], 3, s[2:3]
	v_lshl_add_u64 v[2:3], v[2:3], 3, s[2:3]
	;; [unrolled: 1-line block ×4, first 2 shown]
	global_load_dwordx4 v[108:111], v[0:1], off
	global_load_dwordx4 v[112:115], v[0:1], off offset:16
	global_load_dwordx4 v[20:23], v[2:3], off
	global_load_dwordx4 v[16:19], v[2:3], off offset:16
	;; [unrolled: 2-line block ×3, first 2 shown]
	global_load_dwordx4 v[4:7], v[54:55], off
                                        ; kill: killed $vgpr0_vgpr1
                                        ; kill: killed $vgpr52_vgpr53
                                        ; kill: killed $vgpr2_vgpr3
	s_nop 0
	global_load_dwordx4 v[0:3], v[54:55], off offset:16
	v_mov_b32_e32 v48, v60
	v_mov_b32_e32 v51, v60
	s_waitcnt vmcnt(7)
	v_pk_fma_f32 v[56:57], v[108:109], v[48:49], v[44:45] op_sel_hi:[0,1,1]
	v_mov_b32_e32 v48, v118
	v_pk_fma_f32 v[56:57], v[108:109], v[50:51], v[56:57] op_sel:[1,0,0]
	v_mov_b32_e32 v116, v111
	v_mov_b32_e32 v51, v118
	v_pk_fma_f32 v[56:57], v[110:111], v[48:49], v[56:57] op_sel_hi:[0,1,1]
	v_mov_b32_e32 v48, v122
	v_pk_fma_f32 v[56:57], v[116:117], v[50:51], v[56:57] op_sel_hi:[0,1,1]
	v_mov_b32_e32 v51, v122
	s_waitcnt vmcnt(6)
	v_pk_fma_f32 v[56:57], v[112:113], v[48:49], v[56:57] op_sel_hi:[0,1,1]
	v_mov_b32_e32 v48, v76
	v_pk_fma_f32 v[56:57], v[112:113], v[50:51], v[56:57] op_sel:[1,0,0]
	v_mov_b32_e32 v54, v115
	v_mov_b32_e32 v51, v76
	v_pk_fma_f32 v[56:57], v[114:115], v[48:49], v[56:57] op_sel_hi:[0,1,1]
	v_mov_b32_e32 v48, v80
	v_pk_fma_f32 v[56:57], v[54:55], v[50:51], v[56:57] op_sel_hi:[0,1,1]
	v_mov_b32_e32 v51, v80
	s_waitcnt vmcnt(5)
	v_pk_fma_f32 v[56:57], v[20:21], v[48:49], v[56:57] op_sel_hi:[0,1,1]
	v_mov_b32_e32 v48, v61
	v_pk_fma_f32 v[58:59], v[20:21], v[50:51], v[56:57] op_sel:[1,0,0]
	v_pk_fma_f32 v[40:41], v[108:109], v[48:49], v[40:41] op_sel_hi:[0,1,1]
	v_mov_b32_e32 v51, v61
	v_mov_b32_e32 v48, v119
	v_pk_fma_f32 v[40:41], v[108:109], v[50:51], v[40:41] op_sel:[1,0,0]
	v_mov_b32_e32 v51, v119
	v_pk_fma_f32 v[40:41], v[110:111], v[48:49], v[40:41] op_sel_hi:[0,1,1]
	v_mov_b32_e32 v48, v123
	v_pk_fma_f32 v[40:41], v[116:117], v[50:51], v[40:41] op_sel_hi:[0,1,1]
	;; [unrolled: 2-line block ×3, first 2 shown]
	v_mov_b32_e32 v48, v77
	v_pk_fma_f32 v[40:41], v[112:113], v[50:51], v[40:41] op_sel:[1,0,0]
	v_mov_b32_e32 v51, v77
	v_pk_fma_f32 v[40:41], v[114:115], v[48:49], v[40:41] op_sel_hi:[0,1,1]
	v_mov_b32_e32 v48, v81
	v_pk_fma_f32 v[40:41], v[54:55], v[50:51], v[40:41] op_sel_hi:[0,1,1]
	;; [unrolled: 2-line block ×3, first 2 shown]
	v_mov_b32_e32 v48, v62
	v_pk_fma_f32 v[56:57], v[20:21], v[50:51], v[40:41] op_sel:[1,0,0]
	v_pk_fma_f32 v[40:41], v[108:109], v[48:49], v[42:43] op_sel_hi:[0,1,1]
	v_mov_b32_e32 v51, v62
	v_mov_b32_e32 v48, v120
	v_pk_fma_f32 v[40:41], v[108:109], v[50:51], v[40:41] op_sel:[1,0,0]
	v_mov_b32_e32 v51, v120
	v_pk_fma_f32 v[40:41], v[110:111], v[48:49], v[40:41] op_sel_hi:[0,1,1]
	v_mov_b32_e32 v48, v124
	v_pk_fma_f32 v[40:41], v[116:117], v[50:51], v[40:41] op_sel_hi:[0,1,1]
	;; [unrolled: 2-line block ×3, first 2 shown]
	v_mov_b32_e32 v48, v78
	v_pk_fma_f32 v[40:41], v[112:113], v[50:51], v[40:41] op_sel:[1,0,0]
	v_mov_b32_e32 v51, v78
	v_pk_fma_f32 v[40:41], v[114:115], v[48:49], v[40:41] op_sel_hi:[0,1,1]
	v_mov_b32_e32 v48, v82
	v_pk_fma_f32 v[40:41], v[54:55], v[50:51], v[40:41] op_sel_hi:[0,1,1]
	;; [unrolled: 2-line block ×3, first 2 shown]
	v_mov_b32_e32 v48, v63
	v_pk_fma_f32 v[40:41], v[20:21], v[50:51], v[40:41] op_sel:[1,0,0]
	v_pk_fma_f32 v[38:39], v[108:109], v[48:49], v[38:39] op_sel_hi:[0,1,1]
	v_mov_b32_e32 v51, v63
	v_mov_b32_e32 v48, v121
	v_pk_fma_f32 v[38:39], v[108:109], v[50:51], v[38:39] op_sel:[1,0,0]
	v_mov_b32_e32 v51, v121
	v_pk_fma_f32 v[38:39], v[110:111], v[48:49], v[38:39] op_sel_hi:[0,1,1]
	v_pk_fma_f32 v[62:63], v[116:117], v[50:51], v[38:39] op_sel_hi:[0,1,1]
	v_mov_b32_e32 v48, v125
	v_mov_b32_e32 v51, v125
	v_pk_fma_f32 v[62:63], v[112:113], v[48:49], v[62:63] op_sel_hi:[0,1,1]
	v_mov_b32_e32 v48, v79
	v_pk_fma_f32 v[62:63], v[112:113], v[50:51], v[62:63] op_sel:[1,0,0]
	v_mov_b32_e32 v51, v79
	v_pk_fma_f32 v[76:77], v[114:115], v[48:49], v[62:63] op_sel_hi:[0,1,1]
	v_mov_b32_e32 v48, v83
	v_pk_fma_f32 v[54:55], v[54:55], v[50:51], v[76:77] op_sel_hi:[0,1,1]
	;; [unrolled: 2-line block ×3, first 2 shown]
	v_mov_b32_e32 v48, v72
	v_mov_b32_e32 v52, v23
	v_pk_fma_f32 v[20:21], v[20:21], v[50:51], v[54:55] op_sel:[1,0,0]
	v_pk_fma_f32 v[54:55], v[22:23], v[48:49], v[58:59] op_sel_hi:[0,1,1]
	v_mov_b32_e32 v51, v72
	v_mov_b32_e32 v48, v68
	v_pk_fma_f32 v[54:55], v[52:53], v[50:51], v[54:55] op_sel_hi:[0,1,1]
	v_mov_b32_e32 v51, v68
	s_waitcnt vmcnt(4)
	v_pk_fma_f32 v[54:55], v[16:17], v[48:49], v[54:55] op_sel_hi:[0,1,1]
	v_mov_b32_e32 v48, v64
	v_pk_fma_f32 v[54:55], v[16:17], v[50:51], v[54:55] op_sel:[1,0,0]
	v_mov_b32_e32 v44, v19
	v_mov_b32_e32 v51, v64
	v_pk_fma_f32 v[54:55], v[18:19], v[48:49], v[54:55] op_sel_hi:[0,1,1]
	v_mov_b32_e32 v48, v130
	v_pk_fma_f32 v[54:55], v[44:45], v[50:51], v[54:55] op_sel_hi:[0,1,1]
	v_mov_b32_e32 v51, v130
	s_waitcnt vmcnt(3)
	v_pk_fma_f32 v[54:55], v[12:13], v[48:49], v[54:55] op_sel_hi:[0,1,1]
	v_mov_b32_e32 v48, v126
	v_pk_fma_f32 v[54:55], v[12:13], v[50:51], v[54:55] op_sel:[1,0,0]
	v_mov_b32_e32 v42, v15
	v_mov_b32_e32 v51, v126
	v_pk_fma_f32 v[54:55], v[14:15], v[48:49], v[54:55] op_sel_hi:[0,1,1]
	v_mov_b32_e32 v48, v96
	v_pk_fma_f32 v[54:55], v[42:43], v[50:51], v[54:55] op_sel_hi:[0,1,1]
	s_waitcnt vmcnt(2)
	v_pk_fma_f32 v[54:55], v[8:9], v[48:49], v[54:55] op_sel_hi:[0,1,1]
	v_mov_b32_e32 v48, v73
	v_mov_b32_e32 v51, v73
	v_pk_fma_f32 v[56:57], v[22:23], v[48:49], v[56:57] op_sel_hi:[0,1,1]
	v_mov_b32_e32 v48, v69
	v_pk_fma_f32 v[56:57], v[52:53], v[50:51], v[56:57] op_sel_hi:[0,1,1]
	v_mov_b32_e32 v51, v69
	v_pk_fma_f32 v[56:57], v[16:17], v[48:49], v[56:57] op_sel_hi:[0,1,1]
	v_mov_b32_e32 v48, v65
	v_pk_fma_f32 v[56:57], v[16:17], v[50:51], v[56:57] op_sel:[1,0,0]
	v_mov_b32_e32 v51, v65
	v_pk_fma_f32 v[56:57], v[18:19], v[48:49], v[56:57] op_sel_hi:[0,1,1]
	v_mov_b32_e32 v48, v131
	v_pk_fma_f32 v[56:57], v[44:45], v[50:51], v[56:57] op_sel_hi:[0,1,1]
	v_mov_b32_e32 v51, v131
	v_pk_fma_f32 v[56:57], v[12:13], v[48:49], v[56:57] op_sel_hi:[0,1,1]
	v_mov_b32_e32 v48, v127
	v_pk_fma_f32 v[56:57], v[12:13], v[50:51], v[56:57] op_sel:[1,0,0]
	v_mov_b32_e32 v51, v127
	v_pk_fma_f32 v[56:57], v[14:15], v[48:49], v[56:57] op_sel_hi:[0,1,1]
	v_mov_b32_e32 v48, v97
	v_pk_fma_f32 v[56:57], v[42:43], v[50:51], v[56:57] op_sel_hi:[0,1,1]
	v_pk_fma_f32 v[56:57], v[8:9], v[48:49], v[56:57] op_sel_hi:[0,1,1]
	v_mov_b32_e32 v48, v74
	v_mov_b32_e32 v51, v74
	v_pk_fma_f32 v[40:41], v[22:23], v[48:49], v[40:41] op_sel_hi:[0,1,1]
	v_mov_b32_e32 v48, v70
	v_pk_fma_f32 v[40:41], v[52:53], v[50:51], v[40:41] op_sel_hi:[0,1,1]
	v_mov_b32_e32 v51, v70
	v_pk_fma_f32 v[40:41], v[16:17], v[48:49], v[40:41] op_sel_hi:[0,1,1]
	v_mov_b32_e32 v48, v66
	v_pk_fma_f32 v[40:41], v[16:17], v[50:51], v[40:41] op_sel:[1,0,0]
	v_mov_b32_e32 v51, v66
	v_pk_fma_f32 v[40:41], v[18:19], v[48:49], v[40:41] op_sel_hi:[0,1,1]
	v_mov_b32_e32 v48, v132
	v_pk_fma_f32 v[40:41], v[44:45], v[50:51], v[40:41] op_sel_hi:[0,1,1]
	v_mov_b32_e32 v51, v132
	v_pk_fma_f32 v[40:41], v[12:13], v[48:49], v[40:41] op_sel_hi:[0,1,1]
	v_mov_b32_e32 v48, v128
	v_pk_fma_f32 v[40:41], v[12:13], v[50:51], v[40:41] op_sel:[1,0,0]
	v_mov_b32_e32 v51, v128
	v_pk_fma_f32 v[40:41], v[14:15], v[48:49], v[40:41] op_sel_hi:[0,1,1]
	v_mov_b32_e32 v48, v98
	v_pk_fma_f32 v[40:41], v[42:43], v[50:51], v[40:41] op_sel_hi:[0,1,1]
	;; [unrolled: 22-line block ×3, first 2 shown]
	v_mov_b32_e32 v51, v96
	v_pk_fma_f32 v[12:13], v[8:9], v[48:49], v[12:13] op_sel_hi:[0,1,1]
	v_pk_fma_f32 v[14:15], v[8:9], v[50:51], v[54:55] op_sel:[1,0,0]
	v_mov_b32_e32 v48, v104
	v_mov_b32_e32 v60, v11
	;; [unrolled: 1-line block ×3, first 2 shown]
	v_pk_fma_f32 v[14:15], v[10:11], v[48:49], v[14:15] op_sel_hi:[0,1,1]
	v_mov_b32_e32 v48, v100
	v_pk_fma_f32 v[14:15], v[60:61], v[50:51], v[14:15] op_sel_hi:[0,1,1]
	v_mov_b32_e32 v51, v100
	s_waitcnt vmcnt(1)
	v_pk_fma_f32 v[14:15], v[4:5], v[48:49], v[14:15] op_sel_hi:[0,1,1]
	v_mov_b32_e32 v48, v92
	v_pk_fma_f32 v[14:15], v[4:5], v[50:51], v[14:15] op_sel:[1,0,0]
	v_mov_b32_e32 v38, v7
	v_mov_b32_e32 v51, v92
	v_pk_fma_f32 v[14:15], v[6:7], v[48:49], v[14:15] op_sel_hi:[0,1,1]
	v_mov_b32_e32 v48, v88
	v_pk_fma_f32 v[14:15], v[38:39], v[50:51], v[14:15] op_sel_hi:[0,1,1]
	v_mov_b32_e32 v51, v88
	s_waitcnt vmcnt(0)
	v_pk_fma_f32 v[14:15], v[0:1], v[48:49], v[14:15] op_sel_hi:[0,1,1]
	v_mov_b32_e32 v48, v84
	v_pk_fma_f32 v[14:15], v[0:1], v[50:51], v[14:15] op_sel:[1,0,0]
	v_mov_b32_e32 v62, v3
	v_mov_b32_e32 v51, v84
	v_pk_fma_f32 v[14:15], v[2:3], v[48:49], v[14:15] op_sel_hi:[0,1,1]
	v_pk_fma_f32 v[44:45], v[62:63], v[50:51], v[14:15] op_sel_hi:[0,1,1]
	v_mov_b32_e32 v51, v97
	v_mov_b32_e32 v48, v105
	v_pk_fma_f32 v[14:15], v[8:9], v[50:51], v[56:57] op_sel:[1,0,0]
	v_mov_b32_e32 v51, v105
	v_pk_fma_f32 v[14:15], v[10:11], v[48:49], v[14:15] op_sel_hi:[0,1,1]
	v_mov_b32_e32 v48, v101
	v_pk_fma_f32 v[14:15], v[60:61], v[50:51], v[14:15] op_sel_hi:[0,1,1]
	v_mov_b32_e32 v51, v101
	v_pk_fma_f32 v[14:15], v[4:5], v[48:49], v[14:15] op_sel_hi:[0,1,1]
	v_mov_b32_e32 v48, v93
	v_pk_fma_f32 v[14:15], v[4:5], v[50:51], v[14:15] op_sel:[1,0,0]
	v_mov_b32_e32 v51, v93
	v_pk_fma_f32 v[14:15], v[6:7], v[48:49], v[14:15] op_sel_hi:[0,1,1]
	v_mov_b32_e32 v48, v89
	v_pk_fma_f32 v[14:15], v[38:39], v[50:51], v[14:15] op_sel_hi:[0,1,1]
	v_mov_b32_e32 v51, v89
	v_pk_fma_f32 v[14:15], v[0:1], v[48:49], v[14:15] op_sel_hi:[0,1,1]
	v_mov_b32_e32 v48, v85
	v_pk_fma_f32 v[14:15], v[0:1], v[50:51], v[14:15] op_sel:[1,0,0]
	v_mov_b32_e32 v51, v85
	v_pk_fma_f32 v[14:15], v[2:3], v[48:49], v[14:15] op_sel_hi:[0,1,1]
	v_pk_fma_f32 v[40:41], v[62:63], v[50:51], v[14:15] op_sel_hi:[0,1,1]
	v_mov_b32_e32 v51, v98
	v_mov_b32_e32 v48, v106
	v_pk_fma_f32 v[14:15], v[8:9], v[50:51], v[58:59] op_sel:[1,0,0]
	v_mov_b32_e32 v51, v106
	v_pk_fma_f32 v[14:15], v[10:11], v[48:49], v[14:15] op_sel_hi:[0,1,1]
	v_mov_b32_e32 v48, v102
	v_pk_fma_f32 v[14:15], v[60:61], v[50:51], v[14:15] op_sel_hi:[0,1,1]
	v_mov_b32_e32 v51, v102
	v_pk_fma_f32 v[14:15], v[4:5], v[48:49], v[14:15] op_sel_hi:[0,1,1]
	v_mov_b32_e32 v48, v94
	v_pk_fma_f32 v[14:15], v[4:5], v[50:51], v[14:15] op_sel:[1,0,0]
	v_mov_b32_e32 v51, v94
	v_pk_fma_f32 v[14:15], v[6:7], v[48:49], v[14:15] op_sel_hi:[0,1,1]
	v_mov_b32_e32 v48, v90
	v_pk_fma_f32 v[14:15], v[38:39], v[50:51], v[14:15] op_sel_hi:[0,1,1]
	v_mov_b32_e32 v51, v90
	v_pk_fma_f32 v[14:15], v[0:1], v[48:49], v[14:15] op_sel_hi:[0,1,1]
	v_mov_b32_e32 v48, v86
	v_pk_fma_f32 v[14:15], v[0:1], v[50:51], v[14:15] op_sel:[1,0,0]
	;; [unrolled: 22-line block ×3, first 2 shown]
	v_mov_b32_e32 v51, v87
	v_pk_fma_f32 v[0:1], v[2:3], v[48:49], v[0:1] op_sel_hi:[0,1,1]
	v_pk_fma_f32 v[38:39], v[62:63], v[50:51], v[0:1] op_sel_hi:[0,1,1]
	s_andn2_b64 exec, exec, s[10:11]
	s_cbranch_execnz .LBB128_29
; %bb.30:
	s_or_b64 exec, exec, s[10:11]
.LBB128_31:
	s_or_b64 exec, exec, s[4:5]
	v_mov_b32_e32 v31, v45
.LBB128_32:
	s_or_b64 exec, exec, s[8:9]
.LBB128_33:
	v_mov_b32_dpp v6, v41 row_shr:1 row_mask:0xf bank_mask:0xf
	v_add_f32_e32 v6, v41, v6
	v_mov_b32_dpp v0, v44 row_shr:1 row_mask:0xf bank_mask:0xf
	v_mov_b32_dpp v2, v31 row_shr:1 row_mask:0xf bank_mask:0xf
	v_mov_b32_dpp v7, v6 row_shr:2 row_mask:0xf bank_mask:0xf
	v_add_f32_e32 v6, v6, v7
	v_mov_b32_dpp v4, v40 row_shr:1 row_mask:0xf bank_mask:0xf
	v_add_f32_e32 v0, v44, v0
	v_mov_b32_dpp v7, v6 row_shr:4 row_mask:0xf bank_mask:0xe
	v_add_f32_e32 v6, v6, v7
	v_add_f32_e32 v2, v31, v2
	v_add_f32_e32 v4, v40, v4
	v_mov_b32_dpp v7, v6 row_shr:8 row_mask:0xf bank_mask:0xc
	v_add_f32_e32 v7, v6, v7
	v_mov_b32_dpp v6, v42 row_shr:1 row_mask:0xf bank_mask:0xf
	v_add_f32_e32 v6, v42, v6
	v_mov_b32_dpp v1, v0 row_shr:2 row_mask:0xf bank_mask:0xf
	v_mov_b32_dpp v3, v2 row_shr:2 row_mask:0xf bank_mask:0xf
	v_mov_b32_dpp v9, v6 row_shr:2 row_mask:0xf bank_mask:0xf
	v_add_f32_e32 v6, v6, v9
	v_mov_b32_dpp v5, v4 row_shr:2 row_mask:0xf bank_mask:0xf
	v_add_f32_e32 v0, v0, v1
	v_mov_b32_dpp v9, v6 row_shr:4 row_mask:0xf bank_mask:0xe
	v_add_f32_e32 v6, v6, v9
	v_add_f32_e32 v2, v2, v3
	v_add_f32_e32 v4, v4, v5
	v_mov_b32_dpp v9, v6 row_shr:8 row_mask:0xf bank_mask:0xc
	v_add_f32_e32 v9, v6, v9
	;; [unrolled: 14-line block ×4, first 2 shown]
	v_mov_b32_dpp v6, v39 row_shr:1 row_mask:0xf bank_mask:0xf
	v_add_f32_e32 v6, v39, v6
	v_mov_b32_dpp v1, v0 row_bcast:15 row_mask:0xa bank_mask:0xf
	v_mov_b32_dpp v3, v2 row_bcast:15 row_mask:0xa bank_mask:0xf
	v_mov_b32_dpp v12, v6 row_shr:2 row_mask:0xf bank_mask:0xf
	v_add_f32_e32 v6, v6, v12
	v_mov_b32_dpp v5, v4 row_bcast:15 row_mask:0xa bank_mask:0xf
	v_mov_b32_dpp v8, v7 row_bcast:15 row_mask:0xa bank_mask:0xf
	;; [unrolled: 4-line block ×3, first 2 shown]
	v_mov_b32_dpp v12, v6 row_shr:8 row_mask:0xf bank_mask:0xc
	v_add_f32_e32 v17, v6, v12
	v_mov_b32_dpp v16, v15 row_bcast:15 row_mask:0xa bank_mask:0xf
	v_cmp_eq_u32_e32 vcc, 31, v30
	v_mov_b32_dpp v18, v17 row_bcast:15 row_mask:0xa bank_mask:0xf
	s_and_b64 exec, exec, vcc
	s_cbranch_execz .LBB128_6
; %bb.34:
	s_load_dwordx2 s[0:1], s[0:1], 0x50
	v_cmp_eq_f32_e32 vcc, 0, v26
	s_xor_b64 s[2:3], s[6:7], -1
	v_add_f32_e32 v6, v0, v1
	v_add_f32_e32 v14, v2, v3
	;; [unrolled: 1-line block ×8, first 2 shown]
	s_and_b64 s[2:3], vcc, s[2:3]
	v_lshlrev_b32_e32 v16, 2, v28
	s_and_saveexec_b64 s[4:5], s[2:3]
	s_xor_b64 s[2:3], exec, s[4:5]
	s_cbranch_execz .LBB128_36
; %bb.35:
	v_xor_b32_e32 v18, 0x80000000, v25
	v_mov_b32_e32 v19, v24
	v_pk_mul_f32 v[14:15], v[14:15], v[18:19] op_sel_hi:[0,1]
	v_ashrrev_i32_e32 v17, 31, v16
	v_pk_fma_f32 v[14:15], v[24:25], v[6:7], v[14:15] op_sel_hi:[1,0,1]
	v_pk_mul_f32 v[6:7], v[12:13], v[18:19] op_sel_hi:[0,1]
	s_waitcnt lgkmcnt(0)
	v_lshl_add_u64 v[20:21], v[16:17], 3, s[0:1]
	v_pk_fma_f32 v[16:17], v[24:25], v[4:5], v[6:7] op_sel_hi:[1,0,1]
	v_pk_mul_f32 v[4:5], v[10:11], v[18:19] op_sel_hi:[0,1]
	v_pk_fma_f32 v[2:3], v[24:25], v[2:3], v[4:5] op_sel_hi:[1,0,1]
	v_pk_mul_f32 v[4:5], v[8:9], v[18:19] op_sel_hi:[0,1]
	v_pk_fma_f32 v[4:5], v[24:25], v[0:1], v[4:5] op_sel_hi:[1,0,1]
	global_store_dwordx4 v[20:21], v[14:17], off
	global_store_dwordx4 v[20:21], v[2:5], off offset:16
                                        ; implicit-def: $vgpr6
                                        ; implicit-def: $vgpr14
                                        ; implicit-def: $vgpr4
                                        ; implicit-def: $vgpr12
                                        ; implicit-def: $vgpr2
                                        ; implicit-def: $vgpr10
                                        ; implicit-def: $vgpr0
                                        ; implicit-def: $vgpr8
                                        ; implicit-def: $vgpr24_vgpr25
                                        ; implicit-def: $vgpr26_vgpr27
                                        ; implicit-def: $vgpr16
.LBB128_36:
	s_andn2_saveexec_b64 s[2:3], s[2:3]
	s_cbranch_execz .LBB128_6
; %bb.37:
	v_ashrrev_i32_e32 v17, 31, v16
	s_waitcnt lgkmcnt(0)
	v_lshl_add_u64 v[28:29], v[16:17], 3, s[0:1]
	global_load_dwordx4 v[16:19], v[28:29], off
	global_load_dwordx4 v[20:23], v[28:29], off offset:16
	v_xor_b32_e32 v30, 0x80000000, v25
	v_mov_b32_e32 v31, v24
	v_pk_mul_f32 v[14:15], v[14:15], v[30:31] op_sel_hi:[0,1]
	v_pk_mul_f32 v[12:13], v[12:13], v[30:31] op_sel_hi:[0,1]
	v_pk_mul_f32 v[10:11], v[10:11], v[30:31] op_sel_hi:[0,1]
	v_pk_mul_f32 v[8:9], v[8:9], v[30:31] op_sel_hi:[0,1]
	v_pk_fma_f32 v[6:7], v[24:25], v[6:7], v[14:15] op_sel_hi:[1,0,1]
	v_pk_fma_f32 v[4:5], v[24:25], v[4:5], v[12:13] op_sel_hi:[1,0,1]
	v_xor_b32_e32 v32, 0x80000000, v27
	v_mov_b32_e32 v33, v26
	v_pk_fma_f32 v[2:3], v[24:25], v[2:3], v[10:11] op_sel_hi:[1,0,1]
	v_pk_fma_f32 v[0:1], v[24:25], v[0:1], v[8:9] op_sel_hi:[1,0,1]
	s_waitcnt vmcnt(1)
	v_pk_fma_f32 v[6:7], v[26:27], v[16:17], v[6:7] op_sel_hi:[1,0,1]
	v_pk_fma_f32 v[4:5], v[26:27], v[18:19], v[4:5] op_sel_hi:[1,0,1]
	v_mov_b32_e32 v8, v19
	s_waitcnt vmcnt(0)
	v_pk_fma_f32 v[10:11], v[26:27], v[20:21], v[2:3] op_sel_hi:[1,0,1]
	v_pk_fma_f32 v[12:13], v[26:27], v[22:23], v[0:1] op_sel_hi:[1,0,1]
	v_mov_b32_e32 v14, v23
	v_pk_fma_f32 v[0:1], v[32:33], v[16:17], v[6:7] op_sel:[0,1,0]
	v_pk_fma_f32 v[2:3], v[32:33], v[8:9], v[4:5] op_sel_hi:[1,0,1]
	v_pk_fma_f32 v[4:5], v[32:33], v[20:21], v[10:11] op_sel:[0,1,0]
	v_pk_fma_f32 v[6:7], v[32:33], v[14:15], v[12:13] op_sel_hi:[1,0,1]
	global_store_dwordx4 v[28:29], v[0:3], off
	global_store_dwordx4 v[28:29], v[4:7], off offset:16
	s_endpgm
	.section	.rodata,"a",@progbits
	.p2align	6, 0x0
	.amdhsa_kernel _ZN9rocsparseL18bsrxmvn_4x4_kernelILj128ELj32E21rocsparse_complex_numIfElifS2_S2_EEvT3_20rocsparse_direction_NS_24const_host_device_scalarIT1_EES3_PKS3_PKT2_SC_S9_PKT4_PKT5_S7_PT6_21rocsparse_index_base_b
		.amdhsa_group_segment_fixed_size 0
		.amdhsa_private_segment_fixed_size 0
		.amdhsa_kernarg_size 96
		.amdhsa_user_sgpr_count 2
		.amdhsa_user_sgpr_dispatch_ptr 0
		.amdhsa_user_sgpr_queue_ptr 0
		.amdhsa_user_sgpr_kernarg_segment_ptr 1
		.amdhsa_user_sgpr_dispatch_id 0
		.amdhsa_user_sgpr_kernarg_preload_length 0
		.amdhsa_user_sgpr_kernarg_preload_offset 0
		.amdhsa_user_sgpr_private_segment_size 0
		.amdhsa_uses_dynamic_stack 0
		.amdhsa_enable_private_segment 0
		.amdhsa_system_sgpr_workgroup_id_x 1
		.amdhsa_system_sgpr_workgroup_id_y 0
		.amdhsa_system_sgpr_workgroup_id_z 0
		.amdhsa_system_sgpr_workgroup_info 0
		.amdhsa_system_vgpr_workitem_id 0
		.amdhsa_next_free_vgpr 134
		.amdhsa_next_free_sgpr 24
		.amdhsa_accum_offset 136
		.amdhsa_reserve_vcc 1
		.amdhsa_float_round_mode_32 0
		.amdhsa_float_round_mode_16_64 0
		.amdhsa_float_denorm_mode_32 3
		.amdhsa_float_denorm_mode_16_64 3
		.amdhsa_dx10_clamp 1
		.amdhsa_ieee_mode 1
		.amdhsa_fp16_overflow 0
		.amdhsa_tg_split 0
		.amdhsa_exception_fp_ieee_invalid_op 0
		.amdhsa_exception_fp_denorm_src 0
		.amdhsa_exception_fp_ieee_div_zero 0
		.amdhsa_exception_fp_ieee_overflow 0
		.amdhsa_exception_fp_ieee_underflow 0
		.amdhsa_exception_fp_ieee_inexact 0
		.amdhsa_exception_int_div_zero 0
	.end_amdhsa_kernel
	.section	.text._ZN9rocsparseL18bsrxmvn_4x4_kernelILj128ELj32E21rocsparse_complex_numIfElifS2_S2_EEvT3_20rocsparse_direction_NS_24const_host_device_scalarIT1_EES3_PKS3_PKT2_SC_S9_PKT4_PKT5_S7_PT6_21rocsparse_index_base_b,"axG",@progbits,_ZN9rocsparseL18bsrxmvn_4x4_kernelILj128ELj32E21rocsparse_complex_numIfElifS2_S2_EEvT3_20rocsparse_direction_NS_24const_host_device_scalarIT1_EES3_PKS3_PKT2_SC_S9_PKT4_PKT5_S7_PT6_21rocsparse_index_base_b,comdat
.Lfunc_end128:
	.size	_ZN9rocsparseL18bsrxmvn_4x4_kernelILj128ELj32E21rocsparse_complex_numIfElifS2_S2_EEvT3_20rocsparse_direction_NS_24const_host_device_scalarIT1_EES3_PKS3_PKT2_SC_S9_PKT4_PKT5_S7_PT6_21rocsparse_index_base_b, .Lfunc_end128-_ZN9rocsparseL18bsrxmvn_4x4_kernelILj128ELj32E21rocsparse_complex_numIfElifS2_S2_EEvT3_20rocsparse_direction_NS_24const_host_device_scalarIT1_EES3_PKS3_PKT2_SC_S9_PKT4_PKT5_S7_PT6_21rocsparse_index_base_b
                                        ; -- End function
	.set _ZN9rocsparseL18bsrxmvn_4x4_kernelILj128ELj32E21rocsparse_complex_numIfElifS2_S2_EEvT3_20rocsparse_direction_NS_24const_host_device_scalarIT1_EES3_PKS3_PKT2_SC_S9_PKT4_PKT5_S7_PT6_21rocsparse_index_base_b.num_vgpr, 134
	.set _ZN9rocsparseL18bsrxmvn_4x4_kernelILj128ELj32E21rocsparse_complex_numIfElifS2_S2_EEvT3_20rocsparse_direction_NS_24const_host_device_scalarIT1_EES3_PKS3_PKT2_SC_S9_PKT4_PKT5_S7_PT6_21rocsparse_index_base_b.num_agpr, 0
	.set _ZN9rocsparseL18bsrxmvn_4x4_kernelILj128ELj32E21rocsparse_complex_numIfElifS2_S2_EEvT3_20rocsparse_direction_NS_24const_host_device_scalarIT1_EES3_PKS3_PKT2_SC_S9_PKT4_PKT5_S7_PT6_21rocsparse_index_base_b.numbered_sgpr, 24
	.set _ZN9rocsparseL18bsrxmvn_4x4_kernelILj128ELj32E21rocsparse_complex_numIfElifS2_S2_EEvT3_20rocsparse_direction_NS_24const_host_device_scalarIT1_EES3_PKS3_PKT2_SC_S9_PKT4_PKT5_S7_PT6_21rocsparse_index_base_b.num_named_barrier, 0
	.set _ZN9rocsparseL18bsrxmvn_4x4_kernelILj128ELj32E21rocsparse_complex_numIfElifS2_S2_EEvT3_20rocsparse_direction_NS_24const_host_device_scalarIT1_EES3_PKS3_PKT2_SC_S9_PKT4_PKT5_S7_PT6_21rocsparse_index_base_b.private_seg_size, 0
	.set _ZN9rocsparseL18bsrxmvn_4x4_kernelILj128ELj32E21rocsparse_complex_numIfElifS2_S2_EEvT3_20rocsparse_direction_NS_24const_host_device_scalarIT1_EES3_PKS3_PKT2_SC_S9_PKT4_PKT5_S7_PT6_21rocsparse_index_base_b.uses_vcc, 1
	.set _ZN9rocsparseL18bsrxmvn_4x4_kernelILj128ELj32E21rocsparse_complex_numIfElifS2_S2_EEvT3_20rocsparse_direction_NS_24const_host_device_scalarIT1_EES3_PKS3_PKT2_SC_S9_PKT4_PKT5_S7_PT6_21rocsparse_index_base_b.uses_flat_scratch, 0
	.set _ZN9rocsparseL18bsrxmvn_4x4_kernelILj128ELj32E21rocsparse_complex_numIfElifS2_S2_EEvT3_20rocsparse_direction_NS_24const_host_device_scalarIT1_EES3_PKS3_PKT2_SC_S9_PKT4_PKT5_S7_PT6_21rocsparse_index_base_b.has_dyn_sized_stack, 0
	.set _ZN9rocsparseL18bsrxmvn_4x4_kernelILj128ELj32E21rocsparse_complex_numIfElifS2_S2_EEvT3_20rocsparse_direction_NS_24const_host_device_scalarIT1_EES3_PKS3_PKT2_SC_S9_PKT4_PKT5_S7_PT6_21rocsparse_index_base_b.has_recursion, 0
	.set _ZN9rocsparseL18bsrxmvn_4x4_kernelILj128ELj32E21rocsparse_complex_numIfElifS2_S2_EEvT3_20rocsparse_direction_NS_24const_host_device_scalarIT1_EES3_PKS3_PKT2_SC_S9_PKT4_PKT5_S7_PT6_21rocsparse_index_base_b.has_indirect_call, 0
	.section	.AMDGPU.csdata,"",@progbits
; Kernel info:
; codeLenInByte = 7156
; TotalNumSgprs: 30
; NumVgprs: 134
; NumAgprs: 0
; TotalNumVgprs: 134
; ScratchSize: 0
; MemoryBound: 0
; FloatMode: 240
; IeeeMode: 1
; LDSByteSize: 0 bytes/workgroup (compile time only)
; SGPRBlocks: 3
; VGPRBlocks: 16
; NumSGPRsForWavesPerEU: 30
; NumVGPRsForWavesPerEU: 134
; AccumOffset: 136
; Occupancy: 3
; WaveLimiterHint : 1
; COMPUTE_PGM_RSRC2:SCRATCH_EN: 0
; COMPUTE_PGM_RSRC2:USER_SGPR: 2
; COMPUTE_PGM_RSRC2:TRAP_HANDLER: 0
; COMPUTE_PGM_RSRC2:TGID_X_EN: 1
; COMPUTE_PGM_RSRC2:TGID_Y_EN: 0
; COMPUTE_PGM_RSRC2:TGID_Z_EN: 0
; COMPUTE_PGM_RSRC2:TIDIG_COMP_CNT: 0
; COMPUTE_PGM_RSRC3_GFX90A:ACCUM_OFFSET: 33
; COMPUTE_PGM_RSRC3_GFX90A:TG_SPLIT: 0
	.section	.text._ZN9rocsparseL18bsrxmvn_4x4_kernelILj128ELj64E21rocsparse_complex_numIfElifS2_S2_EEvT3_20rocsparse_direction_NS_24const_host_device_scalarIT1_EES3_PKS3_PKT2_SC_S9_PKT4_PKT5_S7_PT6_21rocsparse_index_base_b,"axG",@progbits,_ZN9rocsparseL18bsrxmvn_4x4_kernelILj128ELj64E21rocsparse_complex_numIfElifS2_S2_EEvT3_20rocsparse_direction_NS_24const_host_device_scalarIT1_EES3_PKS3_PKT2_SC_S9_PKT4_PKT5_S7_PT6_21rocsparse_index_base_b,comdat
	.globl	_ZN9rocsparseL18bsrxmvn_4x4_kernelILj128ELj64E21rocsparse_complex_numIfElifS2_S2_EEvT3_20rocsparse_direction_NS_24const_host_device_scalarIT1_EES3_PKS3_PKT2_SC_S9_PKT4_PKT5_S7_PT6_21rocsparse_index_base_b ; -- Begin function _ZN9rocsparseL18bsrxmvn_4x4_kernelILj128ELj64E21rocsparse_complex_numIfElifS2_S2_EEvT3_20rocsparse_direction_NS_24const_host_device_scalarIT1_EES3_PKS3_PKT2_SC_S9_PKT4_PKT5_S7_PT6_21rocsparse_index_base_b
	.p2align	8
	.type	_ZN9rocsparseL18bsrxmvn_4x4_kernelILj128ELj64E21rocsparse_complex_numIfElifS2_S2_EEvT3_20rocsparse_direction_NS_24const_host_device_scalarIT1_EES3_PKS3_PKT2_SC_S9_PKT4_PKT5_S7_PT6_21rocsparse_index_base_b,@function
_ZN9rocsparseL18bsrxmvn_4x4_kernelILj128ELj64E21rocsparse_complex_numIfElifS2_S2_EEvT3_20rocsparse_direction_NS_24const_host_device_scalarIT1_EES3_PKS3_PKT2_SC_S9_PKT4_PKT5_S7_PT6_21rocsparse_index_base_b: ; @_ZN9rocsparseL18bsrxmvn_4x4_kernelILj128ELj64E21rocsparse_complex_numIfElifS2_S2_EEvT3_20rocsparse_direction_NS_24const_host_device_scalarIT1_EES3_PKS3_PKT2_SC_S9_PKT4_PKT5_S7_PT6_21rocsparse_index_base_b
; %bb.0:
	s_load_dwordx2 s[4:5], s[0:1], 0x8
	s_load_dwordx2 s[16:17], s[0:1], 0x58
	s_add_u32 s3, s0, 8
	s_addc_u32 s8, s1, 0
	s_load_dwordx2 s[6:7], s[0:1], 0x48
	s_add_u32 s9, s0, 0x48
	s_addc_u32 s10, s1, 0
	s_waitcnt lgkmcnt(0)
	s_bitcmp1_b32 s17, 0
	s_cselect_b32 s3, s3, s4
	s_cselect_b32 s5, s8, s5
	v_mov_b32_e32 v2, s3
	s_cselect_b32 s3, s10, s7
	s_cselect_b32 s4, s9, s6
	v_mov_b32_e32 v3, s5
	v_mov_b32_e32 v4, s4
	;; [unrolled: 1-line block ×3, first 2 shown]
	flat_load_dwordx2 v[24:25], v[2:3]
	flat_load_dwordx2 v[26:27], v[4:5]
	s_waitcnt vmcnt(0) lgkmcnt(0)
	v_cmp_neq_f32_e32 vcc, 0, v24
	v_cmp_neq_f32_e64 s[4:5], 0, v25
	v_cmp_neq_f32_e64 s[8:9], 1.0, v26
	v_cmp_neq_f32_e64 s[6:7], 0, v27
	s_or_b64 s[4:5], vcc, s[4:5]
	s_or_b64 s[8:9], s[8:9], s[6:7]
	s_or_b64 s[4:5], s[4:5], s[8:9]
	s_and_saveexec_b64 s[8:9], s[4:5]
	s_cbranch_execz .LBB129_6
; %bb.1:
	s_load_dwordx2 s[8:9], s[0:1], 0x18
	s_load_dwordx2 s[4:5], s[0:1], 0x0
	v_lshrrev_b32_e32 v1, 6, v0
	v_lshl_or_b32 v28, s2, 1, v1
	s_mov_b64 s[2:3], 0
	s_waitcnt lgkmcnt(0)
	s_cmp_lg_u64 s[8:9], 0
	s_cbranch_scc0 .LBB129_7
; %bb.2:
	s_load_dword s10, s[0:1], 0x10
                                        ; implicit-def: $vgpr1
	s_waitcnt lgkmcnt(0)
	v_cmp_gt_i32_e32 vcc, s10, v28
	s_and_saveexec_b64 s[10:11], vcc
	s_xor_b64 s[10:11], exec, s[10:11]
	s_cbranch_execz .LBB129_4
; %bb.3:
	v_ashrrev_i32_e32 v29, 31, v28
	v_lshl_add_u64 v[2:3], v[28:29], 2, s[8:9]
	global_load_dword v1, v[2:3], off
	s_mov_b64 s[2:3], exec
	s_waitcnt vmcnt(0)
	v_subrev_u32_e32 v1, s16, v1
.LBB129_4:
	s_or_b64 exec, exec, s[10:11]
	s_branch .LBB129_8
.LBB129_5:
	v_cmp_gt_i32_e32 vcc, s4, v28
	s_andn2_b64 s[2:3], s[2:3], exec
	s_and_b64 s[8:9], vcc, exec
	s_or_b64 s[2:3], s[2:3], s[8:9]
	s_and_b64 exec, exec, s[2:3]
	s_cbranch_execnz .LBB129_9
.LBB129_6:
	s_endpgm
.LBB129_7:
                                        ; implicit-def: $vgpr1
	s_cbranch_execnz .LBB129_5
.LBB129_8:
	v_mov_b32_e32 v28, v1
	s_and_b64 exec, exec, s[2:3]
	s_cbranch_execz .LBB129_6
.LBB129_9:
	s_load_dwordx8 s[8:15], s[0:1], 0x20
	v_ashrrev_i32_e32 v29, 31, v28
	v_lshlrev_b64 v[2:3], 3, v[28:29]
	s_load_dwordx2 s[2:3], s[0:1], 0x40
	v_and_b32_e32 v30, 63, v0
	s_waitcnt lgkmcnt(0)
	v_lshl_add_u64 v[4:5], s[8:9], 0, v[2:3]
	s_cmp_eq_u64 s[10:11], 0
	v_lshl_add_u64 v[2:3], s[10:11], 0, v[2:3]
	global_load_dwordx2 v[46:47], v[4:5], off
	v_lshl_add_u64 v[4:5], v[4:5], 0, 8
	s_cselect_b64 vcc, -1, 0
	v_cndmask_b32_e32 v3, v3, v5, vcc
	v_cndmask_b32_e32 v2, v2, v4, vcc
	global_load_dwordx2 v[2:3], v[2:3], off
	v_mov_b32_e32 v31, 0
	s_cmp_eq_u32 s5, 1
	s_waitcnt vmcnt(1)
	v_subrev_co_u32_e32 v0, vcc, s16, v46
	s_nop 1
	v_subbrev_co_u32_e32 v1, vcc, 0, v47, vcc
	v_lshl_add_u64 v[32:33], v[0:1], 0, v[30:31]
	s_waitcnt vmcnt(0)
	v_subrev_co_u32_e32 v34, vcc, s16, v2
	v_lshlrev_b64 v[0:1], 6, v[32:33]
	s_nop 0
	v_subbrev_co_u32_e32 v35, vcc, 0, v3, vcc
	v_lshl_add_u64 v[36:37], s[14:15], 0, v[0:1]
	v_cmp_lt_i64_e64 s[4:5], v[32:33], v[34:35]
	s_cbranch_scc1 .LBB129_21
; %bb.10:
	v_mov_b32_e32 v44, v31
	v_mov_b32_e32 v41, v31
	;; [unrolled: 1-line block ×7, first 2 shown]
	s_and_saveexec_b64 s[8:9], s[4:5]
	s_cbranch_execz .LBB129_20
; %bb.11:
	v_or_b32_e32 v0, 64, v30
	v_subrev_co_u32_e32 v0, vcc, s16, v0
	v_not_b32_e32 v3, v47
	s_nop 0
	v_subb_co_u32_e64 v1, s[10:11], 0, 0, vcc
	v_lshl_add_u64 v[0:1], v[0:1], 0, v[46:47]
	v_cmp_gt_i64_e32 vcc, v[0:1], v[34:35]
	v_not_b32_e32 v2, v46
	v_mov_b32_e32 v39, 0
	v_cndmask_b32_e32 v1, v35, v1, vcc
	v_cndmask_b32_e32 v0, v34, v0, vcc
	v_sub_co_u32_e32 v4, vcc, s16, v30
	v_mov_b32_e32 v42, v39
	s_nop 0
	v_subb_co_u32_e64 v5, s[10:11], 0, 0, vcc
	v_lshl_add_u64 v[2:3], v[4:5], 0, v[2:3]
	v_lshl_add_u64 v[0:1], v[2:3], 0, v[0:1]
	v_and_b32_e32 v38, 0xc0, v0
	s_mov_b64 s[10:11], 0xc0
	v_cmp_ne_u64_e32 vcc, s[10:11], v[38:39]
	v_mov_b32_e32 v38, v39
	v_mov_b32_e32 v43, v39
	;; [unrolled: 1-line block ×6, first 2 shown]
	v_mov_b64_e32 v[48:49], v[36:37]
	v_mov_b64_e32 v[50:51], v[32:33]
	s_and_saveexec_b64 s[10:11], vcc
	s_cbranch_execz .LBB129_15
; %bb.12:
	v_lshrrev_b32_e32 v2, 6, v0
	v_add_u32_e32 v2, 1, v2
	v_and_b32_e32 v2, 3, v2
	v_sub_co_u32_e32 v6, vcc, 0, v2
	v_mov_b32_e32 v3, 0
	s_nop 0
	v_subb_co_u32_e64 v7, s[18:19], 0, 0, vcc
	v_lshl_add_u64 v[4:5], v[32:33], 2, s[12:13]
	s_mov_b64 s[14:15], 0
	s_mov_b64 s[18:19], 0x1000
	s_mov_b64 s[20:21], 0x100
	v_bfrev_b32_e32 v8, 1
	v_mov_b64_e32 v[50:51], v[32:33]
	v_mov_b64_e32 v[48:49], v[36:37]
	v_mov_b32_e32 v38, v3
	v_mov_b32_e32 v39, v3
	;; [unrolled: 1-line block ×8, first 2 shown]
.LBB129_13:                             ; =>This Inner Loop Header: Depth=1
	global_load_dword v2, v[4:5], off
	global_load_dwordx4 v[52:55], v[48:49], off offset:16
	global_load_dwordx4 v[56:59], v[48:49], off
	v_lshl_add_u64 v[6:7], v[6:7], 0, 1
	v_cmp_eq_u64_e32 vcc, 0, v[6:7]
	v_lshl_add_u64 v[50:51], v[50:51], 0, 64
	v_lshl_add_u64 v[4:5], v[4:5], 0, s[20:21]
	s_or_b64 s[14:15], vcc, s[14:15]
	s_waitcnt vmcnt(2)
	v_subrev_u32_e32 v2, s16, v2
	v_lshlrev_b32_e32 v10, 2, v2
	v_ashrrev_i32_e32 v11, 31, v10
	v_lshl_add_u64 v[18:19], v[10:11], 3, s[2:3]
	global_load_dwordx4 v[10:13], v[18:19], off
	global_load_dwordx4 v[14:17], v[18:19], off offset:16
	global_load_dwordx4 v[60:63], v[48:49], off offset:32
	;; [unrolled: 1-line block ×3, first 2 shown]
	s_waitcnt vmcnt(4)
	v_mov_b32_e32 v2, v56
	v_mov_b32_e32 v9, v56
	v_lshl_add_u64 v[48:49], v[48:49], 0, s[18:19]
	s_waitcnt vmcnt(3)
	v_pk_fma_f32 v[18:19], v[10:11], v[2:3], v[44:45] op_sel_hi:[0,1,1]
	v_mov_b32_e32 v2, v57
	v_pk_fma_f32 v[18:19], v[10:11], v[8:9], v[18:19] op_sel:[1,0,0]
	v_mov_b32_e32 v20, v13
	v_mov_b32_e32 v9, v57
	v_pk_fma_f32 v[18:19], v[12:13], v[2:3], v[18:19] op_sel_hi:[0,1,1]
	v_mov_b32_e32 v2, v58
	v_pk_fma_f32 v[18:19], v[20:21], v[8:9], v[18:19] op_sel_hi:[0,1,1]
	v_mov_b32_e32 v9, v58
	s_waitcnt vmcnt(2)
	v_pk_fma_f32 v[18:19], v[14:15], v[2:3], v[18:19] op_sel_hi:[0,1,1]
	v_mov_b32_e32 v2, v59
	v_pk_fma_f32 v[18:19], v[14:15], v[8:9], v[18:19] op_sel:[1,0,0]
	v_mov_b32_e32 v22, v17
	v_mov_b32_e32 v9, v59
	v_pk_fma_f32 v[18:19], v[16:17], v[2:3], v[18:19] op_sel_hi:[0,1,1]
	v_mov_b32_e32 v2, v52
	v_pk_fma_f32 v[44:45], v[22:23], v[8:9], v[18:19] op_sel_hi:[0,1,1]
	v_pk_fma_f32 v[18:19], v[10:11], v[2:3], v[40:41] op_sel_hi:[0,1,1]
	v_mov_b32_e32 v9, v52
	v_mov_b32_e32 v2, v53
	v_pk_fma_f32 v[18:19], v[10:11], v[8:9], v[18:19] op_sel:[1,0,0]
	v_mov_b32_e32 v9, v53
	v_pk_fma_f32 v[18:19], v[12:13], v[2:3], v[18:19] op_sel_hi:[0,1,1]
	v_mov_b32_e32 v2, v54
	v_pk_fma_f32 v[18:19], v[20:21], v[8:9], v[18:19] op_sel_hi:[0,1,1]
	;; [unrolled: 2-line block ×3, first 2 shown]
	v_mov_b32_e32 v2, v55
	v_pk_fma_f32 v[18:19], v[14:15], v[8:9], v[18:19] op_sel:[1,0,0]
	v_mov_b32_e32 v9, v55
	v_pk_fma_f32 v[18:19], v[16:17], v[2:3], v[18:19] op_sel_hi:[0,1,1]
	s_waitcnt vmcnt(1)
	v_mov_b32_e32 v2, v60
	v_pk_fma_f32 v[40:41], v[22:23], v[8:9], v[18:19] op_sel_hi:[0,1,1]
	v_pk_fma_f32 v[18:19], v[10:11], v[2:3], v[42:43] op_sel_hi:[0,1,1]
	v_mov_b32_e32 v9, v60
	v_mov_b32_e32 v2, v61
	v_pk_fma_f32 v[18:19], v[10:11], v[8:9], v[18:19] op_sel:[1,0,0]
	v_mov_b32_e32 v9, v61
	v_pk_fma_f32 v[18:19], v[12:13], v[2:3], v[18:19] op_sel_hi:[0,1,1]
	v_mov_b32_e32 v2, v62
	v_pk_fma_f32 v[18:19], v[20:21], v[8:9], v[18:19] op_sel_hi:[0,1,1]
	;; [unrolled: 2-line block ×3, first 2 shown]
	v_mov_b32_e32 v2, v63
	v_pk_fma_f32 v[18:19], v[14:15], v[8:9], v[18:19] op_sel:[1,0,0]
	v_mov_b32_e32 v9, v63
	v_pk_fma_f32 v[18:19], v[16:17], v[2:3], v[18:19] op_sel_hi:[0,1,1]
	s_waitcnt vmcnt(0)
	v_mov_b32_e32 v2, v64
	v_pk_fma_f32 v[42:43], v[22:23], v[8:9], v[18:19] op_sel_hi:[0,1,1]
	v_pk_fma_f32 v[18:19], v[10:11], v[2:3], v[38:39] op_sel_hi:[0,1,1]
	v_mov_b32_e32 v9, v64
	v_mov_b32_e32 v2, v65
	v_pk_fma_f32 v[10:11], v[10:11], v[8:9], v[18:19] op_sel:[1,0,0]
	v_mov_b32_e32 v9, v65
	v_pk_fma_f32 v[10:11], v[12:13], v[2:3], v[10:11] op_sel_hi:[0,1,1]
	v_mov_b32_e32 v2, v66
	v_pk_fma_f32 v[10:11], v[20:21], v[8:9], v[10:11] op_sel_hi:[0,1,1]
	;; [unrolled: 2-line block ×3, first 2 shown]
	v_mov_b32_e32 v2, v67
	v_pk_fma_f32 v[10:11], v[14:15], v[8:9], v[10:11] op_sel:[1,0,0]
	v_mov_b32_e32 v9, v67
	v_pk_fma_f32 v[10:11], v[16:17], v[2:3], v[10:11] op_sel_hi:[0,1,1]
	v_pk_fma_f32 v[38:39], v[22:23], v[8:9], v[10:11] op_sel_hi:[0,1,1]
	s_andn2_b64 exec, exec, s[14:15]
	s_cbranch_execnz .LBB129_13
; %bb.14:
	s_or_b64 exec, exec, s[14:15]
.LBB129_15:
	s_or_b64 exec, exec, s[10:11]
	s_mov_b64 s[10:11], 0xbf
	v_cmp_lt_u64_e32 vcc, s[10:11], v[0:1]
	s_and_saveexec_b64 s[10:11], vcc
	s_cbranch_execz .LBB129_19
; %bb.16:
	v_lshl_add_u64 v[0:1], v[50:51], 2, s[12:13]
	s_mov_b64 s[14:15], 0x200
	v_lshl_add_u64 v[52:53], v[0:1], 0, s[14:15]
	s_mov_b64 s[14:15], 0
	s_mov_b64 s[18:19], 0x1000
	v_mov_b32_e32 v55, 0
	s_mov_b64 s[20:21], 0x2000
	s_mov_b64 s[22:23], 0x3000
	s_movk_i32 s17, 0x2000
	s_movk_i32 s30, 0x3000
	s_mov_b64 s[24:25], 0x4000
	s_mov_b64 s[26:27], 0x100
	;; [unrolled: 1-line block ×3, first 2 shown]
	v_bfrev_b32_e32 v56, 1
.LBB129_17:                             ; =>This Inner Loop Header: Depth=1
	global_load_dword v0, v[52:53], off offset:-512
	v_add_co_u32_e32 v58, vcc, s17, v48
	v_lshl_add_u64 v[50:51], v[50:51], 0, s[26:27]
	s_nop 0
	v_addc_co_u32_e32 v59, vcc, 0, v49, vcc
	s_waitcnt vmcnt(0)
	v_subrev_u32_e32 v0, s16, v0
	v_lshlrev_b32_e32 v0, 2, v0
	v_ashrrev_i32_e32 v1, 31, v0
	v_lshl_add_u64 v[0:1], v[0:1], 3, s[2:3]
	global_load_dwordx4 v[8:11], v[0:1], off offset:16
	global_load_dwordx4 v[12:15], v[0:1], off
	global_load_dword v2, v[52:53], off offset:-256
	v_lshl_add_u64 v[0:1], v[48:49], 0, s[18:19]
	global_load_dwordx4 v[68:71], v[58:59], off offset:-4096
	global_load_dwordx4 v[60:63], v[0:1], off offset:48
	global_load_dwordx4 v[72:75], v[0:1], off offset:32
	;; [unrolled: 1-line block ×3, first 2 shown]
	s_waitcnt vmcnt(4)
	v_subrev_u32_e32 v2, s16, v2
	v_lshlrev_b32_e32 v2, 2, v2
	v_ashrrev_i32_e32 v3, 31, v2
	v_lshl_add_u64 v[16:17], v[2:3], 3, s[2:3]
	global_load_dwordx4 v[0:3], v[16:17], off offset:16
	global_load_dwordx4 v[4:7], v[16:17], off
	global_load_dwordx4 v[64:67], v[48:49], off offset:48
	global_load_dwordx4 v[80:83], v[48:49], off offset:32
	;; [unrolled: 1-line block ×3, first 2 shown]
	global_load_dwordx4 v[18:21], v[48:49], off
	s_waitcnt vmcnt(0)
	v_mov_b32_e32 v54, v18
	v_pk_fma_f32 v[16:17], v[12:13], v[54:55], v[44:45] op_sel_hi:[0,1,1]
	v_mov_b32_e32 v57, v18
	v_pk_fma_f32 v[16:17], v[12:13], v[56:57], v[16:17] op_sel:[1,0,0]
	v_mov_b32_e32 v54, v19
	v_pk_fma_f32 v[16:17], v[14:15], v[54:55], v[16:17] op_sel_hi:[0,1,1]
	v_mov_b32_e32 v18, v15
	v_mov_b32_e32 v57, v19
	v_pk_fma_f32 v[16:17], v[18:19], v[56:57], v[16:17] op_sel_hi:[0,1,1]
	v_mov_b32_e32 v54, v20
	v_pk_fma_f32 v[16:17], v[8:9], v[54:55], v[16:17] op_sel_hi:[0,1,1]
	v_mov_b32_e32 v57, v20
	v_pk_fma_f32 v[16:17], v[8:9], v[56:57], v[16:17] op_sel:[1,0,0]
	v_mov_b32_e32 v54, v21
	v_pk_fma_f32 v[16:17], v[10:11], v[54:55], v[16:17] op_sel_hi:[0,1,1]
	v_mov_b32_e32 v20, v11
	v_mov_b32_e32 v57, v21
	v_pk_fma_f32 v[16:17], v[20:21], v[56:57], v[16:17] op_sel_hi:[0,1,1]
	v_mov_b32_e32 v54, v68
	v_pk_fma_f32 v[16:17], v[4:5], v[54:55], v[16:17] op_sel_hi:[0,1,1]
	v_mov_b32_e32 v57, v68
	v_mov_b32_e32 v54, v84
	v_pk_fma_f32 v[44:45], v[4:5], v[56:57], v[16:17] op_sel:[1,0,0]
	v_pk_fma_f32 v[16:17], v[12:13], v[54:55], v[40:41] op_sel_hi:[0,1,1]
	v_mov_b32_e32 v57, v84
	v_pk_fma_f32 v[16:17], v[12:13], v[56:57], v[16:17] op_sel:[1,0,0]
	v_mov_b32_e32 v54, v85
	v_pk_fma_f32 v[16:17], v[14:15], v[54:55], v[16:17] op_sel_hi:[0,1,1]
	v_mov_b32_e32 v57, v85
	v_pk_fma_f32 v[16:17], v[18:19], v[56:57], v[16:17] op_sel_hi:[0,1,1]
	v_mov_b32_e32 v54, v86
	v_pk_fma_f32 v[16:17], v[8:9], v[54:55], v[16:17] op_sel_hi:[0,1,1]
	v_mov_b32_e32 v57, v86
	v_pk_fma_f32 v[16:17], v[8:9], v[56:57], v[16:17] op_sel:[1,0,0]
	v_mov_b32_e32 v54, v87
	v_pk_fma_f32 v[16:17], v[10:11], v[54:55], v[16:17] op_sel_hi:[0,1,1]
	v_mov_b32_e32 v57, v87
	v_pk_fma_f32 v[16:17], v[20:21], v[56:57], v[16:17] op_sel_hi:[0,1,1]
	v_mov_b32_e32 v54, v76
	v_pk_fma_f32 v[16:17], v[4:5], v[54:55], v[16:17] op_sel_hi:[0,1,1]
	v_mov_b32_e32 v57, v76
	v_mov_b32_e32 v54, v80
	v_pk_fma_f32 v[40:41], v[4:5], v[56:57], v[16:17] op_sel:[1,0,0]
	v_pk_fma_f32 v[16:17], v[12:13], v[54:55], v[42:43] op_sel_hi:[0,1,1]
	v_mov_b32_e32 v57, v80
	v_pk_fma_f32 v[16:17], v[12:13], v[56:57], v[16:17] op_sel:[1,0,0]
	v_mov_b32_e32 v54, v81
	v_pk_fma_f32 v[16:17], v[14:15], v[54:55], v[16:17] op_sel_hi:[0,1,1]
	v_mov_b32_e32 v57, v81
	v_pk_fma_f32 v[16:17], v[18:19], v[56:57], v[16:17] op_sel_hi:[0,1,1]
	v_mov_b32_e32 v54, v82
	v_pk_fma_f32 v[16:17], v[8:9], v[54:55], v[16:17] op_sel_hi:[0,1,1]
	v_mov_b32_e32 v57, v82
	v_pk_fma_f32 v[16:17], v[8:9], v[56:57], v[16:17] op_sel:[1,0,0]
	v_mov_b32_e32 v54, v83
	v_pk_fma_f32 v[16:17], v[10:11], v[54:55], v[16:17] op_sel_hi:[0,1,1]
	v_mov_b32_e32 v57, v83
	v_pk_fma_f32 v[16:17], v[20:21], v[56:57], v[16:17] op_sel_hi:[0,1,1]
	v_mov_b32_e32 v54, v72
	v_pk_fma_f32 v[16:17], v[4:5], v[54:55], v[16:17] op_sel_hi:[0,1,1]
	v_mov_b32_e32 v57, v72
	v_mov_b32_e32 v54, v64
	v_pk_fma_f32 v[42:43], v[4:5], v[56:57], v[16:17] op_sel:[1,0,0]
	v_pk_fma_f32 v[16:17], v[12:13], v[54:55], v[38:39] op_sel_hi:[0,1,1]
	v_mov_b32_e32 v57, v64
	v_pk_fma_f32 v[12:13], v[12:13], v[56:57], v[16:17] op_sel:[1,0,0]
	v_mov_b32_e32 v54, v65
	v_pk_fma_f32 v[12:13], v[14:15], v[54:55], v[12:13] op_sel_hi:[0,1,1]
	v_mov_b32_e32 v57, v65
	v_pk_fma_f32 v[12:13], v[18:19], v[56:57], v[12:13] op_sel_hi:[0,1,1]
	v_mov_b32_e32 v54, v66
	v_pk_fma_f32 v[12:13], v[8:9], v[54:55], v[12:13] op_sel_hi:[0,1,1]
	v_mov_b32_e32 v57, v66
	v_pk_fma_f32 v[8:9], v[8:9], v[56:57], v[12:13] op_sel:[1,0,0]
	v_mov_b32_e32 v54, v67
	v_pk_fma_f32 v[8:9], v[10:11], v[54:55], v[8:9] op_sel_hi:[0,1,1]
	v_mov_b32_e32 v57, v67
	v_pk_fma_f32 v[8:9], v[20:21], v[56:57], v[8:9] op_sel_hi:[0,1,1]
	v_mov_b32_e32 v54, v60
	v_pk_fma_f32 v[8:9], v[4:5], v[54:55], v[8:9] op_sel_hi:[0,1,1]
	v_mov_b32_e32 v57, v60
	v_pk_fma_f32 v[4:5], v[4:5], v[56:57], v[8:9] op_sel:[1,0,0]
	global_load_dword v8, v[52:53], off
	v_lshl_add_u64 v[38:39], v[48:49], 0, s[20:21]
	v_mov_b32_e32 v54, v69
	v_mov_b32_e32 v57, v69
	;; [unrolled: 1-line block ×3, first 2 shown]
	v_lshl_add_u64 v[64:65], v[48:49], 0, s[22:23]
	s_waitcnt vmcnt(0)
	v_subrev_u32_e32 v8, s16, v8
	v_lshlrev_b32_e32 v8, 2, v8
	v_ashrrev_i32_e32 v9, 31, v8
	v_lshl_add_u64 v[12:13], v[8:9], 3, s[2:3]
	global_load_dwordx4 v[8:11], v[12:13], off offset:16
	global_load_dwordx4 v[16:19], v[12:13], off
	s_waitcnt vmcnt(1)
	v_mov_b32_e32 v68, v11
	global_load_dword v12, v[52:53], off offset:256
	v_lshl_add_u64 v[52:53], v[52:53], 0, s[28:29]
	s_waitcnt vmcnt(0)
	v_subrev_u32_e32 v12, s16, v12
	v_lshlrev_b32_e32 v12, 2, v12
	v_ashrrev_i32_e32 v13, 31, v12
	v_lshl_add_u64 v[66:67], v[12:13], 3, s[2:3]
	global_load_dwordx4 v[12:15], v[66:67], off offset:16
	global_load_dwordx4 v[20:23], v[66:67], off
	global_load_dwordx4 v[80:83], v[58:59], off
	global_load_dwordx4 v[84:87], v[38:39], off offset:48
	global_load_dwordx4 v[88:91], v[38:39], off offset:32
	;; [unrolled: 1-line block ×3, first 2 shown]
	v_pk_fma_f32 v[38:39], v[6:7], v[54:55], v[44:45] op_sel_hi:[0,1,1]
	v_mov_b32_e32 v58, v7
	v_pk_fma_f32 v[38:39], v[58:59], v[56:57], v[38:39] op_sel_hi:[0,1,1]
	v_mov_b32_e32 v54, v70
	;; [unrolled: 2-line block ×3, first 2 shown]
	v_pk_fma_f32 v[38:39], v[0:1], v[56:57], v[38:39] op_sel:[1,0,0]
	v_mov_b32_e32 v54, v71
	v_pk_fma_f32 v[38:39], v[2:3], v[54:55], v[38:39] op_sel_hi:[0,1,1]
	v_mov_b32_e32 v57, v71
	v_pk_fma_f32 v[38:39], v[60:61], v[56:57], v[38:39] op_sel_hi:[0,1,1]
	v_mov_b32_e32 v66, v19
	v_add_co_u32_e32 v44, vcc, s30, v48
	s_waitcnt vmcnt(5)
	v_mov_b32_e32 v70, v15
	v_addc_co_u32_e32 v45, vcc, 0, v49, vcc
	s_waitcnt vmcnt(3)
	v_mov_b32_e32 v54, v80
	v_pk_fma_f32 v[38:39], v[16:17], v[54:55], v[38:39] op_sel_hi:[0,1,1]
	v_mov_b32_e32 v57, v80
	v_pk_fma_f32 v[38:39], v[16:17], v[56:57], v[38:39] op_sel:[1,0,0]
	v_mov_b32_e32 v54, v81
	v_pk_fma_f32 v[38:39], v[18:19], v[54:55], v[38:39] op_sel_hi:[0,1,1]
	v_mov_b32_e32 v57, v81
	v_pk_fma_f32 v[38:39], v[66:67], v[56:57], v[38:39] op_sel_hi:[0,1,1]
	;; [unrolled: 2-line block ×3, first 2 shown]
	v_mov_b32_e32 v57, v82
	v_pk_fma_f32 v[38:39], v[8:9], v[56:57], v[38:39] op_sel:[1,0,0]
	v_mov_b32_e32 v54, v83
	v_mov_b32_e32 v57, v83
	global_load_dwordx4 v[80:83], v[44:45], off
	global_load_dwordx4 v[96:99], v[64:65], off offset:48
	global_load_dwordx4 v[100:103], v[64:65], off offset:32
	;; [unrolled: 1-line block ×3, first 2 shown]
	v_pk_fma_f32 v[38:39], v[10:11], v[54:55], v[38:39] op_sel_hi:[0,1,1]
	v_pk_fma_f32 v[38:39], v[68:69], v[56:57], v[38:39] op_sel_hi:[0,1,1]
	v_mov_b32_e32 v64, v23
	v_cmp_ge_i64_e32 vcc, v[50:51], v[34:35]
	v_lshl_add_u64 v[48:49], v[48:49], 0, s[24:25]
	s_or_b64 s[14:15], vcc, s[14:15]
	s_waitcnt vmcnt(3)
	v_mov_b32_e32 v54, v80
	v_pk_fma_f32 v[38:39], v[20:21], v[54:55], v[38:39] op_sel_hi:[0,1,1]
	v_mov_b32_e32 v57, v80
	v_pk_fma_f32 v[38:39], v[20:21], v[56:57], v[38:39] op_sel:[1,0,0]
	v_mov_b32_e32 v54, v81
	v_pk_fma_f32 v[38:39], v[22:23], v[54:55], v[38:39] op_sel_hi:[0,1,1]
	v_mov_b32_e32 v57, v81
	v_pk_fma_f32 v[38:39], v[64:65], v[56:57], v[38:39] op_sel_hi:[0,1,1]
	;; [unrolled: 2-line block ×3, first 2 shown]
	v_mov_b32_e32 v57, v82
	v_pk_fma_f32 v[38:39], v[12:13], v[56:57], v[38:39] op_sel:[1,0,0]
	v_mov_b32_e32 v54, v83
	v_pk_fma_f32 v[38:39], v[14:15], v[54:55], v[38:39] op_sel_hi:[0,1,1]
	v_mov_b32_e32 v57, v83
	v_mov_b32_e32 v54, v77
	v_pk_fma_f32 v[44:45], v[70:71], v[56:57], v[38:39] op_sel_hi:[0,1,1]
	v_pk_fma_f32 v[38:39], v[6:7], v[54:55], v[40:41] op_sel_hi:[0,1,1]
	v_mov_b32_e32 v57, v77
	v_pk_fma_f32 v[38:39], v[58:59], v[56:57], v[38:39] op_sel_hi:[0,1,1]
	v_mov_b32_e32 v54, v78
	v_pk_fma_f32 v[38:39], v[0:1], v[54:55], v[38:39] op_sel_hi:[0,1,1]
	v_mov_b32_e32 v57, v78
	v_pk_fma_f32 v[38:39], v[0:1], v[56:57], v[38:39] op_sel:[1,0,0]
	v_mov_b32_e32 v54, v79
	v_pk_fma_f32 v[38:39], v[2:3], v[54:55], v[38:39] op_sel_hi:[0,1,1]
	v_mov_b32_e32 v57, v79
	v_pk_fma_f32 v[38:39], v[60:61], v[56:57], v[38:39] op_sel_hi:[0,1,1]
	v_mov_b32_e32 v54, v92
	v_pk_fma_f32 v[38:39], v[16:17], v[54:55], v[38:39] op_sel_hi:[0,1,1]
	v_mov_b32_e32 v57, v92
	v_pk_fma_f32 v[38:39], v[16:17], v[56:57], v[38:39] op_sel:[1,0,0]
	v_mov_b32_e32 v54, v93
	v_pk_fma_f32 v[38:39], v[18:19], v[54:55], v[38:39] op_sel_hi:[0,1,1]
	v_mov_b32_e32 v57, v93
	v_pk_fma_f32 v[38:39], v[66:67], v[56:57], v[38:39] op_sel_hi:[0,1,1]
	v_mov_b32_e32 v54, v94
	v_pk_fma_f32 v[38:39], v[54:55], v[8:9], v[38:39] op_sel_hi:[1,0,1]
	v_mov_b32_e32 v57, v94
	v_pk_fma_f32 v[38:39], v[8:9], v[56:57], v[38:39] op_sel:[1,0,0]
	v_mov_b32_e32 v54, v95
	v_pk_fma_f32 v[38:39], v[10:11], v[54:55], v[38:39] op_sel_hi:[0,1,1]
	v_mov_b32_e32 v57, v95
	v_pk_fma_f32 v[38:39], v[68:69], v[56:57], v[38:39] op_sel_hi:[0,1,1]
	s_waitcnt vmcnt(0)
	v_mov_b32_e32 v54, v104
	v_pk_fma_f32 v[38:39], v[20:21], v[54:55], v[38:39] op_sel_hi:[0,1,1]
	v_mov_b32_e32 v57, v104
	v_pk_fma_f32 v[38:39], v[20:21], v[56:57], v[38:39] op_sel:[1,0,0]
	v_mov_b32_e32 v54, v105
	v_pk_fma_f32 v[38:39], v[22:23], v[54:55], v[38:39] op_sel_hi:[0,1,1]
	v_mov_b32_e32 v57, v105
	v_pk_fma_f32 v[38:39], v[64:65], v[56:57], v[38:39] op_sel_hi:[0,1,1]
	;; [unrolled: 2-line block ×3, first 2 shown]
	v_mov_b32_e32 v57, v106
	v_pk_fma_f32 v[38:39], v[12:13], v[56:57], v[38:39] op_sel:[1,0,0]
	v_mov_b32_e32 v54, v107
	v_pk_fma_f32 v[38:39], v[14:15], v[54:55], v[38:39] op_sel_hi:[0,1,1]
	v_mov_b32_e32 v57, v107
	v_mov_b32_e32 v54, v73
	v_pk_fma_f32 v[40:41], v[70:71], v[56:57], v[38:39] op_sel_hi:[0,1,1]
	v_pk_fma_f32 v[38:39], v[6:7], v[54:55], v[42:43] op_sel_hi:[0,1,1]
	v_mov_b32_e32 v57, v73
	v_pk_fma_f32 v[38:39], v[58:59], v[56:57], v[38:39] op_sel_hi:[0,1,1]
	v_mov_b32_e32 v54, v74
	v_pk_fma_f32 v[38:39], v[0:1], v[54:55], v[38:39] op_sel_hi:[0,1,1]
	v_mov_b32_e32 v57, v74
	v_pk_fma_f32 v[38:39], v[0:1], v[56:57], v[38:39] op_sel:[1,0,0]
	v_mov_b32_e32 v54, v75
	v_pk_fma_f32 v[38:39], v[2:3], v[54:55], v[38:39] op_sel_hi:[0,1,1]
	v_mov_b32_e32 v57, v75
	v_pk_fma_f32 v[38:39], v[60:61], v[56:57], v[38:39] op_sel_hi:[0,1,1]
	v_mov_b32_e32 v54, v88
	v_pk_fma_f32 v[38:39], v[16:17], v[54:55], v[38:39] op_sel_hi:[0,1,1]
	v_mov_b32_e32 v57, v88
	v_pk_fma_f32 v[38:39], v[16:17], v[56:57], v[38:39] op_sel:[1,0,0]
	v_mov_b32_e32 v54, v89
	;; [unrolled: 8-line block ×5, first 2 shown]
	v_pk_fma_f32 v[38:39], v[14:15], v[54:55], v[38:39] op_sel_hi:[0,1,1]
	v_mov_b32_e32 v57, v103
	v_mov_b32_e32 v54, v61
	v_pk_fma_f32 v[42:43], v[70:71], v[56:57], v[38:39] op_sel_hi:[0,1,1]
	v_pk_fma_f32 v[4:5], v[6:7], v[54:55], v[4:5] op_sel_hi:[0,1,1]
	v_mov_b32_e32 v57, v61
	v_pk_fma_f32 v[4:5], v[58:59], v[56:57], v[4:5] op_sel_hi:[0,1,1]
	v_mov_b32_e32 v54, v62
	v_pk_fma_f32 v[4:5], v[0:1], v[54:55], v[4:5] op_sel_hi:[0,1,1]
	v_mov_b32_e32 v57, v62
	v_pk_fma_f32 v[0:1], v[0:1], v[56:57], v[4:5] op_sel:[1,0,0]
	v_mov_b32_e32 v54, v63
	v_pk_fma_f32 v[0:1], v[2:3], v[54:55], v[0:1] op_sel_hi:[0,1,1]
	v_mov_b32_e32 v57, v63
	v_pk_fma_f32 v[0:1], v[60:61], v[56:57], v[0:1] op_sel_hi:[0,1,1]
	v_mov_b32_e32 v54, v84
	v_pk_fma_f32 v[0:1], v[16:17], v[54:55], v[0:1] op_sel_hi:[0,1,1]
	v_mov_b32_e32 v57, v84
	v_pk_fma_f32 v[0:1], v[16:17], v[56:57], v[0:1] op_sel:[1,0,0]
	v_mov_b32_e32 v54, v85
	;; [unrolled: 8-line block ×5, first 2 shown]
	v_pk_fma_f32 v[0:1], v[14:15], v[54:55], v[0:1] op_sel_hi:[0,1,1]
	v_mov_b32_e32 v57, v99
	v_pk_fma_f32 v[38:39], v[70:71], v[56:57], v[0:1] op_sel_hi:[0,1,1]
	s_andn2_b64 exec, exec, s[14:15]
	s_cbranch_execnz .LBB129_17
; %bb.18:
	s_or_b64 exec, exec, s[14:15]
.LBB129_19:
	s_or_b64 exec, exec, s[10:11]
	v_mov_b32_e32 v31, v45
.LBB129_20:
	s_or_b64 exec, exec, s[8:9]
	s_cbranch_execz .LBB129_22
	s_branch .LBB129_33
.LBB129_21:
                                        ; implicit-def: $vgpr44
                                        ; implicit-def: $vgpr41
                                        ; implicit-def: $vgpr43
                                        ; implicit-def: $vgpr39
.LBB129_22:
	v_mov_b32_e32 v31, 0
	v_mov_b32_e32 v44, 0
	;; [unrolled: 1-line block ×8, first 2 shown]
	s_and_saveexec_b64 s[8:9], s[4:5]
	s_cbranch_execz .LBB129_32
; %bb.23:
	v_or_b32_e32 v0, 64, v30
	v_subrev_co_u32_e32 v0, vcc, s16, v0
	v_not_b32_e32 v3, v47
	s_nop 0
	v_subb_co_u32_e64 v1, s[4:5], 0, 0, vcc
	v_lshl_add_u64 v[0:1], v[0:1], 0, v[46:47]
	v_cmp_gt_i64_e32 vcc, v[0:1], v[34:35]
	v_not_b32_e32 v2, v46
	v_mov_b32_e32 v39, 0
	v_cndmask_b32_e32 v1, v35, v1, vcc
	v_cndmask_b32_e32 v0, v34, v0, vcc
	v_sub_co_u32_e32 v4, vcc, s16, v30
	v_mov_b32_e32 v42, v39
	s_nop 0
	v_subb_co_u32_e64 v5, s[4:5], 0, 0, vcc
	v_lshl_add_u64 v[2:3], v[4:5], 0, v[2:3]
	v_lshl_add_u64 v[0:1], v[2:3], 0, v[0:1]
	v_and_b32_e32 v38, 0xc0, v0
	s_mov_b64 s[4:5], 0xc0
	v_cmp_ne_u64_e32 vcc, s[4:5], v[38:39]
	v_mov_b32_e32 v38, v39
	v_mov_b32_e32 v43, v39
	;; [unrolled: 1-line block ×6, first 2 shown]
	s_and_saveexec_b64 s[4:5], vcc
	s_cbranch_execz .LBB129_27
; %bb.24:
	v_lshrrev_b32_e32 v2, 6, v0
	v_add_u32_e32 v2, 1, v2
	v_and_b32_e32 v2, 3, v2
	v_sub_co_u32_e32 v6, vcc, 0, v2
	v_mov_b32_e32 v3, 0
	s_nop 0
	v_subb_co_u32_e64 v7, s[14:15], 0, 0, vcc
	v_lshl_add_u64 v[4:5], v[32:33], 2, s[12:13]
	s_mov_b64 s[10:11], 0
	s_mov_b64 s[14:15], 0x1000
	;; [unrolled: 1-line block ×3, first 2 shown]
	v_bfrev_b32_e32 v8, 1
	v_mov_b32_e32 v38, v3
	v_mov_b32_e32 v39, v3
	;; [unrolled: 1-line block ×8, first 2 shown]
.LBB129_25:                             ; =>This Inner Loop Header: Depth=1
	global_load_dword v2, v[4:5], off
	global_load_dwordx4 v[46:49], v[36:37], off offset:32
	global_load_dwordx4 v[50:53], v[36:37], off offset:16
	global_load_dwordx4 v[54:57], v[36:37], off
	v_lshl_add_u64 v[6:7], v[6:7], 0, 1
	v_cmp_eq_u64_e32 vcc, 0, v[6:7]
	v_lshl_add_u64 v[32:33], v[32:33], 0, 64
	v_lshl_add_u64 v[4:5], v[4:5], 0, s[18:19]
	s_or_b64 s[10:11], vcc, s[10:11]
	s_waitcnt vmcnt(3)
	v_subrev_u32_e32 v2, s16, v2
	v_lshlrev_b32_e32 v10, 2, v2
	v_ashrrev_i32_e32 v11, 31, v10
	v_lshl_add_u64 v[18:19], v[10:11], 3, s[2:3]
	global_load_dwordx4 v[10:13], v[18:19], off
	global_load_dwordx4 v[14:17], v[18:19], off offset:16
	global_load_dwordx4 v[58:61], v[36:37], off offset:48
	s_waitcnt vmcnt(3)
	v_mov_b32_e32 v2, v54
	v_mov_b32_e32 v9, v54
	v_lshl_add_u64 v[36:37], v[36:37], 0, s[14:15]
	s_waitcnt vmcnt(2)
	v_pk_fma_f32 v[18:19], v[10:11], v[2:3], v[44:45] op_sel_hi:[0,1,1]
	v_mov_b32_e32 v2, v50
	v_pk_fma_f32 v[18:19], v[10:11], v[8:9], v[18:19] op_sel:[1,0,0]
	v_mov_b32_e32 v20, v13
	v_mov_b32_e32 v9, v50
	v_pk_fma_f32 v[18:19], v[12:13], v[2:3], v[18:19] op_sel_hi:[0,1,1]
	v_mov_b32_e32 v2, v46
	v_pk_fma_f32 v[18:19], v[20:21], v[8:9], v[18:19] op_sel_hi:[0,1,1]
	v_mov_b32_e32 v9, v46
	s_waitcnt vmcnt(1)
	v_pk_fma_f32 v[18:19], v[14:15], v[2:3], v[18:19] op_sel_hi:[0,1,1]
	s_waitcnt vmcnt(0)
	v_mov_b32_e32 v2, v58
	v_pk_fma_f32 v[18:19], v[14:15], v[8:9], v[18:19] op_sel:[1,0,0]
	v_mov_b32_e32 v22, v17
	v_mov_b32_e32 v9, v58
	v_pk_fma_f32 v[18:19], v[16:17], v[2:3], v[18:19] op_sel_hi:[0,1,1]
	v_mov_b32_e32 v2, v55
	v_pk_fma_f32 v[44:45], v[22:23], v[8:9], v[18:19] op_sel_hi:[0,1,1]
	v_pk_fma_f32 v[18:19], v[10:11], v[2:3], v[40:41] op_sel_hi:[0,1,1]
	v_mov_b32_e32 v9, v55
	v_mov_b32_e32 v2, v51
	v_pk_fma_f32 v[18:19], v[10:11], v[8:9], v[18:19] op_sel:[1,0,0]
	v_mov_b32_e32 v9, v51
	v_pk_fma_f32 v[18:19], v[12:13], v[2:3], v[18:19] op_sel_hi:[0,1,1]
	v_mov_b32_e32 v2, v47
	v_pk_fma_f32 v[18:19], v[20:21], v[8:9], v[18:19] op_sel_hi:[0,1,1]
	v_mov_b32_e32 v9, v47
	v_pk_fma_f32 v[18:19], v[14:15], v[2:3], v[18:19] op_sel_hi:[0,1,1]
	v_mov_b32_e32 v2, v59
	v_pk_fma_f32 v[18:19], v[14:15], v[8:9], v[18:19] op_sel:[1,0,0]
	v_mov_b32_e32 v9, v59
	v_pk_fma_f32 v[18:19], v[16:17], v[2:3], v[18:19] op_sel_hi:[0,1,1]
	v_mov_b32_e32 v2, v56
	v_pk_fma_f32 v[40:41], v[22:23], v[8:9], v[18:19] op_sel_hi:[0,1,1]
	v_pk_fma_f32 v[18:19], v[10:11], v[2:3], v[42:43] op_sel_hi:[0,1,1]
	v_mov_b32_e32 v9, v56
	v_mov_b32_e32 v2, v52
	v_pk_fma_f32 v[18:19], v[10:11], v[8:9], v[18:19] op_sel:[1,0,0]
	v_mov_b32_e32 v9, v52
	v_pk_fma_f32 v[18:19], v[12:13], v[2:3], v[18:19] op_sel_hi:[0,1,1]
	v_mov_b32_e32 v2, v48
	v_pk_fma_f32 v[18:19], v[20:21], v[8:9], v[18:19] op_sel_hi:[0,1,1]
	v_mov_b32_e32 v9, v48
	v_pk_fma_f32 v[18:19], v[14:15], v[2:3], v[18:19] op_sel_hi:[0,1,1]
	v_mov_b32_e32 v2, v60
	v_pk_fma_f32 v[18:19], v[14:15], v[8:9], v[18:19] op_sel:[1,0,0]
	v_mov_b32_e32 v9, v60
	v_pk_fma_f32 v[18:19], v[16:17], v[2:3], v[18:19] op_sel_hi:[0,1,1]
	v_mov_b32_e32 v2, v57
	v_pk_fma_f32 v[42:43], v[22:23], v[8:9], v[18:19] op_sel_hi:[0,1,1]
	v_pk_fma_f32 v[18:19], v[10:11], v[2:3], v[38:39] op_sel_hi:[0,1,1]
	v_mov_b32_e32 v9, v57
	v_mov_b32_e32 v2, v53
	v_pk_fma_f32 v[10:11], v[10:11], v[8:9], v[18:19] op_sel:[1,0,0]
	v_mov_b32_e32 v9, v53
	v_pk_fma_f32 v[10:11], v[12:13], v[2:3], v[10:11] op_sel_hi:[0,1,1]
	v_mov_b32_e32 v2, v49
	v_pk_fma_f32 v[10:11], v[20:21], v[8:9], v[10:11] op_sel_hi:[0,1,1]
	v_mov_b32_e32 v9, v49
	v_pk_fma_f32 v[10:11], v[14:15], v[2:3], v[10:11] op_sel_hi:[0,1,1]
	v_mov_b32_e32 v2, v61
	v_pk_fma_f32 v[10:11], v[14:15], v[8:9], v[10:11] op_sel:[1,0,0]
	v_mov_b32_e32 v9, v61
	v_pk_fma_f32 v[10:11], v[16:17], v[2:3], v[10:11] op_sel_hi:[0,1,1]
	v_pk_fma_f32 v[38:39], v[22:23], v[8:9], v[10:11] op_sel_hi:[0,1,1]
	s_andn2_b64 exec, exec, s[10:11]
	s_cbranch_execnz .LBB129_25
; %bb.26:
	s_or_b64 exec, exec, s[10:11]
.LBB129_27:
	s_or_b64 exec, exec, s[4:5]
	s_mov_b64 s[4:5], 0xbf
	v_cmp_lt_u64_e32 vcc, s[4:5], v[0:1]
	s_and_saveexec_b64 s[4:5], vcc
	s_cbranch_execz .LBB129_31
; %bb.28:
	v_lshl_add_u64 v[0:1], v[32:33], 2, s[12:13]
	s_mov_b64 s[10:11], 0x200
	v_lshl_add_u64 v[46:47], v[0:1], 0, s[10:11]
	s_mov_b64 s[10:11], 0
	s_mov_b64 s[12:13], 0x1000
	v_mov_b32_e32 v49, 0
	s_mov_b64 s[14:15], 0x2000
	s_movk_i32 s17, 0x2000
	s_mov_b64 s[18:19], 0x3000
	s_movk_i32 s26, 0x3000
	s_mov_b64 s[20:21], 0x100
	s_mov_b64 s[22:23], 0x400
	;; [unrolled: 1-line block ×3, first 2 shown]
	v_bfrev_b32_e32 v50, 1
.LBB129_29:                             ; =>This Inner Loop Header: Depth=1
	global_load_dword v0, v[46:47], off offset:-512
	global_load_dword v1, v[46:47], off offset:-256
	global_load_dwordx4 v[60:63], v[36:37], off
	global_load_dword v12, v[46:47], off
	global_load_dword v13, v[46:47], off offset:256
	global_load_dwordx4 v[102:105], v[36:37], off offset:16
	global_load_dwordx4 v[64:67], v[36:37], off offset:48
	;; [unrolled: 1-line block ×3, first 2 shown]
	v_add_co_u32_e32 v4, vcc, s17, v36
	v_lshl_add_u64 v[2:3], v[36:37], 0, s[12:13]
	s_nop 0
	v_addc_co_u32_e32 v5, vcc, 0, v37, vcc
	v_add_co_u32_e32 v10, vcc, s26, v36
	v_lshl_add_u64 v[6:7], v[36:37], 0, s[14:15]
	v_lshl_add_u64 v[8:9], v[36:37], 0, s[18:19]
	v_addc_co_u32_e32 v11, vcc, 0, v37, vcc
	global_load_dwordx4 v[110:113], v[2:3], off offset:48
	global_load_dwordx4 v[114:117], v[2:3], off offset:32
	;; [unrolled: 1-line block ×3, first 2 shown]
	global_load_dwordx4 v[122:125], v[4:5], off offset:-4096
	global_load_dwordx4 v[126:129], v[4:5], off
	global_load_dwordx4 v[84:87], v[6:7], off offset:48
	global_load_dwordx4 v[88:91], v[6:7], off offset:32
	;; [unrolled: 1-line block ×3, first 2 shown]
	global_load_dwordx4 v[76:79], v[10:11], off
	global_load_dwordx4 v[68:71], v[8:9], off offset:48
	global_load_dwordx4 v[72:75], v[8:9], off offset:32
	;; [unrolled: 1-line block ×3, first 2 shown]
	v_lshl_add_u64 v[32:33], v[32:33], 0, s[20:21]
	v_cmp_ge_i64_e32 vcc, v[32:33], v[34:35]
	v_lshl_add_u64 v[46:47], v[46:47], 0, s[22:23]
	v_lshl_add_u64 v[36:37], v[36:37], 0, s[24:25]
	s_or_b64 s[10:11], vcc, s[10:11]
	s_waitcnt vmcnt(19)
	v_subrev_u32_e32 v0, s16, v0
	s_waitcnt vmcnt(18)
	v_subrev_u32_e32 v1, s16, v1
	v_lshlrev_b32_e32 v0, 2, v0
	s_waitcnt vmcnt(16)
	v_subrev_u32_e32 v3, s16, v12
	s_waitcnt vmcnt(15)
	v_subrev_u32_e32 v5, s16, v13
	v_lshlrev_b32_e32 v2, 2, v1
	v_lshlrev_b32_e32 v4, 2, v3
	;; [unrolled: 1-line block ×3, first 2 shown]
	v_ashrrev_i32_e32 v1, 31, v0
	v_ashrrev_i32_e32 v3, 31, v2
	;; [unrolled: 1-line block ×4, first 2 shown]
	v_lshl_add_u64 v[0:1], v[0:1], 3, s[2:3]
	v_lshl_add_u64 v[2:3], v[2:3], 3, s[2:3]
	;; [unrolled: 1-line block ×4, first 2 shown]
	global_load_dwordx4 v[92:95], v[0:1], off
	global_load_dwordx4 v[96:99], v[0:1], off offset:16
	global_load_dwordx4 v[20:23], v[2:3], off
	global_load_dwordx4 v[16:19], v[2:3], off offset:16
	;; [unrolled: 2-line block ×3, first 2 shown]
	global_load_dwordx4 v[4:7], v[54:55], off
                                        ; kill: killed $vgpr2_vgpr3
                                        ; kill: killed $vgpr52_vgpr53
                                        ; kill: killed $vgpr0_vgpr1
	s_nop 0
	global_load_dwordx4 v[0:3], v[54:55], off offset:16
	v_mov_b32_e32 v48, v60
	v_mov_b32_e32 v51, v60
	s_waitcnt vmcnt(7)
	v_pk_fma_f32 v[56:57], v[92:93], v[48:49], v[44:45] op_sel_hi:[0,1,1]
	v_mov_b32_e32 v48, v102
	v_pk_fma_f32 v[56:57], v[92:93], v[50:51], v[56:57] op_sel:[1,0,0]
	v_mov_b32_e32 v100, v95
	v_mov_b32_e32 v51, v102
	v_pk_fma_f32 v[56:57], v[94:95], v[48:49], v[56:57] op_sel_hi:[0,1,1]
	v_mov_b32_e32 v48, v106
	v_pk_fma_f32 v[56:57], v[100:101], v[50:51], v[56:57] op_sel_hi:[0,1,1]
	v_mov_b32_e32 v51, v106
	s_waitcnt vmcnt(6)
	v_pk_fma_f32 v[56:57], v[96:97], v[48:49], v[56:57] op_sel_hi:[0,1,1]
	v_mov_b32_e32 v48, v64
	v_pk_fma_f32 v[56:57], v[96:97], v[50:51], v[56:57] op_sel:[1,0,0]
	v_mov_b32_e32 v54, v99
	v_mov_b32_e32 v51, v64
	v_pk_fma_f32 v[56:57], v[98:99], v[48:49], v[56:57] op_sel_hi:[0,1,1]
	v_mov_b32_e32 v48, v122
	v_pk_fma_f32 v[56:57], v[54:55], v[50:51], v[56:57] op_sel_hi:[0,1,1]
	v_mov_b32_e32 v51, v122
	s_waitcnt vmcnt(5)
	v_pk_fma_f32 v[56:57], v[20:21], v[48:49], v[56:57] op_sel_hi:[0,1,1]
	v_mov_b32_e32 v48, v61
	v_pk_fma_f32 v[58:59], v[20:21], v[50:51], v[56:57] op_sel:[1,0,0]
	v_pk_fma_f32 v[40:41], v[92:93], v[48:49], v[40:41] op_sel_hi:[0,1,1]
	v_mov_b32_e32 v51, v61
	v_mov_b32_e32 v48, v103
	v_pk_fma_f32 v[40:41], v[92:93], v[50:51], v[40:41] op_sel:[1,0,0]
	v_mov_b32_e32 v51, v103
	v_pk_fma_f32 v[40:41], v[94:95], v[48:49], v[40:41] op_sel_hi:[0,1,1]
	v_mov_b32_e32 v48, v107
	v_pk_fma_f32 v[40:41], v[100:101], v[50:51], v[40:41] op_sel_hi:[0,1,1]
	;; [unrolled: 2-line block ×3, first 2 shown]
	v_mov_b32_e32 v48, v65
	v_pk_fma_f32 v[40:41], v[96:97], v[50:51], v[40:41] op_sel:[1,0,0]
	v_mov_b32_e32 v51, v65
	v_pk_fma_f32 v[40:41], v[98:99], v[48:49], v[40:41] op_sel_hi:[0,1,1]
	v_mov_b32_e32 v48, v123
	v_pk_fma_f32 v[40:41], v[54:55], v[50:51], v[40:41] op_sel_hi:[0,1,1]
	;; [unrolled: 2-line block ×3, first 2 shown]
	v_mov_b32_e32 v48, v62
	v_pk_fma_f32 v[56:57], v[20:21], v[50:51], v[40:41] op_sel:[1,0,0]
	v_pk_fma_f32 v[40:41], v[92:93], v[48:49], v[42:43] op_sel_hi:[0,1,1]
	v_mov_b32_e32 v51, v62
	v_mov_b32_e32 v48, v104
	v_pk_fma_f32 v[40:41], v[92:93], v[50:51], v[40:41] op_sel:[1,0,0]
	v_mov_b32_e32 v51, v104
	v_pk_fma_f32 v[40:41], v[94:95], v[48:49], v[40:41] op_sel_hi:[0,1,1]
	v_mov_b32_e32 v48, v108
	v_pk_fma_f32 v[40:41], v[100:101], v[50:51], v[40:41] op_sel_hi:[0,1,1]
	;; [unrolled: 2-line block ×3, first 2 shown]
	v_mov_b32_e32 v48, v66
	v_pk_fma_f32 v[40:41], v[96:97], v[50:51], v[40:41] op_sel:[1,0,0]
	v_mov_b32_e32 v51, v66
	v_pk_fma_f32 v[40:41], v[98:99], v[48:49], v[40:41] op_sel_hi:[0,1,1]
	v_mov_b32_e32 v48, v124
	v_pk_fma_f32 v[40:41], v[54:55], v[50:51], v[40:41] op_sel_hi:[0,1,1]
	;; [unrolled: 2-line block ×3, first 2 shown]
	v_mov_b32_e32 v48, v63
	v_pk_fma_f32 v[40:41], v[20:21], v[50:51], v[40:41] op_sel:[1,0,0]
	v_pk_fma_f32 v[38:39], v[92:93], v[48:49], v[38:39] op_sel_hi:[0,1,1]
	v_mov_b32_e32 v51, v63
	v_mov_b32_e32 v48, v105
	v_pk_fma_f32 v[38:39], v[92:93], v[50:51], v[38:39] op_sel:[1,0,0]
	v_mov_b32_e32 v51, v105
	v_pk_fma_f32 v[38:39], v[94:95], v[48:49], v[38:39] op_sel_hi:[0,1,1]
	v_pk_fma_f32 v[62:63], v[100:101], v[50:51], v[38:39] op_sel_hi:[0,1,1]
	v_mov_b32_e32 v48, v109
	v_mov_b32_e32 v51, v109
	v_pk_fma_f32 v[62:63], v[96:97], v[48:49], v[62:63] op_sel_hi:[0,1,1]
	v_mov_b32_e32 v48, v67
	v_pk_fma_f32 v[62:63], v[96:97], v[50:51], v[62:63] op_sel:[1,0,0]
	v_mov_b32_e32 v51, v67
	v_pk_fma_f32 v[64:65], v[98:99], v[48:49], v[62:63] op_sel_hi:[0,1,1]
	v_mov_b32_e32 v48, v125
	v_pk_fma_f32 v[54:55], v[54:55], v[50:51], v[64:65] op_sel_hi:[0,1,1]
	;; [unrolled: 2-line block ×3, first 2 shown]
	v_mov_b32_e32 v48, v118
	v_mov_b32_e32 v52, v23
	v_pk_fma_f32 v[20:21], v[20:21], v[50:51], v[54:55] op_sel:[1,0,0]
	v_pk_fma_f32 v[54:55], v[22:23], v[48:49], v[58:59] op_sel_hi:[0,1,1]
	v_mov_b32_e32 v51, v118
	v_mov_b32_e32 v48, v114
	v_pk_fma_f32 v[54:55], v[52:53], v[50:51], v[54:55] op_sel_hi:[0,1,1]
	v_mov_b32_e32 v51, v114
	s_waitcnt vmcnt(4)
	v_pk_fma_f32 v[54:55], v[16:17], v[48:49], v[54:55] op_sel_hi:[0,1,1]
	v_mov_b32_e32 v48, v110
	v_pk_fma_f32 v[54:55], v[16:17], v[50:51], v[54:55] op_sel:[1,0,0]
	v_mov_b32_e32 v44, v19
	v_mov_b32_e32 v51, v110
	v_pk_fma_f32 v[54:55], v[18:19], v[48:49], v[54:55] op_sel_hi:[0,1,1]
	v_mov_b32_e32 v48, v126
	v_pk_fma_f32 v[54:55], v[44:45], v[50:51], v[54:55] op_sel_hi:[0,1,1]
	v_mov_b32_e32 v51, v126
	s_waitcnt vmcnt(3)
	v_pk_fma_f32 v[54:55], v[12:13], v[48:49], v[54:55] op_sel_hi:[0,1,1]
	v_mov_b32_e32 v48, v130
	v_pk_fma_f32 v[54:55], v[12:13], v[50:51], v[54:55] op_sel:[1,0,0]
	v_mov_b32_e32 v42, v15
	v_mov_b32_e32 v51, v130
	v_pk_fma_f32 v[54:55], v[14:15], v[48:49], v[54:55] op_sel_hi:[0,1,1]
	v_mov_b32_e32 v48, v88
	v_pk_fma_f32 v[54:55], v[42:43], v[50:51], v[54:55] op_sel_hi:[0,1,1]
	s_waitcnt vmcnt(2)
	v_pk_fma_f32 v[54:55], v[8:9], v[48:49], v[54:55] op_sel_hi:[0,1,1]
	v_mov_b32_e32 v48, v119
	v_mov_b32_e32 v51, v119
	v_pk_fma_f32 v[56:57], v[22:23], v[48:49], v[56:57] op_sel_hi:[0,1,1]
	v_mov_b32_e32 v48, v115
	v_pk_fma_f32 v[56:57], v[52:53], v[50:51], v[56:57] op_sel_hi:[0,1,1]
	v_mov_b32_e32 v51, v115
	v_pk_fma_f32 v[56:57], v[16:17], v[48:49], v[56:57] op_sel_hi:[0,1,1]
	v_mov_b32_e32 v48, v111
	v_pk_fma_f32 v[56:57], v[16:17], v[50:51], v[56:57] op_sel:[1,0,0]
	v_mov_b32_e32 v51, v111
	v_pk_fma_f32 v[56:57], v[18:19], v[48:49], v[56:57] op_sel_hi:[0,1,1]
	v_mov_b32_e32 v48, v127
	v_pk_fma_f32 v[56:57], v[44:45], v[50:51], v[56:57] op_sel_hi:[0,1,1]
	v_mov_b32_e32 v51, v127
	v_pk_fma_f32 v[56:57], v[12:13], v[48:49], v[56:57] op_sel_hi:[0,1,1]
	v_mov_b32_e32 v48, v131
	v_pk_fma_f32 v[56:57], v[12:13], v[50:51], v[56:57] op_sel:[1,0,0]
	v_mov_b32_e32 v51, v131
	v_pk_fma_f32 v[56:57], v[14:15], v[48:49], v[56:57] op_sel_hi:[0,1,1]
	v_mov_b32_e32 v48, v89
	v_pk_fma_f32 v[56:57], v[42:43], v[50:51], v[56:57] op_sel_hi:[0,1,1]
	v_pk_fma_f32 v[56:57], v[8:9], v[48:49], v[56:57] op_sel_hi:[0,1,1]
	v_mov_b32_e32 v48, v120
	v_mov_b32_e32 v51, v120
	v_pk_fma_f32 v[40:41], v[22:23], v[48:49], v[40:41] op_sel_hi:[0,1,1]
	v_mov_b32_e32 v48, v116
	v_pk_fma_f32 v[40:41], v[52:53], v[50:51], v[40:41] op_sel_hi:[0,1,1]
	v_mov_b32_e32 v51, v116
	v_pk_fma_f32 v[40:41], v[16:17], v[48:49], v[40:41] op_sel_hi:[0,1,1]
	v_mov_b32_e32 v48, v112
	v_pk_fma_f32 v[40:41], v[16:17], v[50:51], v[40:41] op_sel:[1,0,0]
	v_mov_b32_e32 v51, v112
	v_pk_fma_f32 v[40:41], v[18:19], v[48:49], v[40:41] op_sel_hi:[0,1,1]
	v_mov_b32_e32 v48, v128
	v_pk_fma_f32 v[40:41], v[44:45], v[50:51], v[40:41] op_sel_hi:[0,1,1]
	v_mov_b32_e32 v51, v128
	v_pk_fma_f32 v[40:41], v[12:13], v[48:49], v[40:41] op_sel_hi:[0,1,1]
	v_mov_b32_e32 v48, v132
	v_pk_fma_f32 v[40:41], v[12:13], v[50:51], v[40:41] op_sel:[1,0,0]
	v_mov_b32_e32 v51, v132
	v_pk_fma_f32 v[40:41], v[14:15], v[48:49], v[40:41] op_sel_hi:[0,1,1]
	v_mov_b32_e32 v48, v90
	v_pk_fma_f32 v[40:41], v[42:43], v[50:51], v[40:41] op_sel_hi:[0,1,1]
	;; [unrolled: 22-line block ×3, first 2 shown]
	v_mov_b32_e32 v51, v88
	v_pk_fma_f32 v[12:13], v[8:9], v[48:49], v[12:13] op_sel_hi:[0,1,1]
	v_pk_fma_f32 v[14:15], v[8:9], v[50:51], v[54:55] op_sel:[1,0,0]
	v_mov_b32_e32 v48, v84
	v_mov_b32_e32 v60, v11
	;; [unrolled: 1-line block ×3, first 2 shown]
	v_pk_fma_f32 v[14:15], v[10:11], v[48:49], v[14:15] op_sel_hi:[0,1,1]
	v_mov_b32_e32 v48, v76
	v_pk_fma_f32 v[14:15], v[60:61], v[50:51], v[14:15] op_sel_hi:[0,1,1]
	v_mov_b32_e32 v51, v76
	s_waitcnt vmcnt(1)
	v_pk_fma_f32 v[14:15], v[4:5], v[48:49], v[14:15] op_sel_hi:[0,1,1]
	v_mov_b32_e32 v48, v80
	v_pk_fma_f32 v[14:15], v[4:5], v[50:51], v[14:15] op_sel:[1,0,0]
	v_mov_b32_e32 v38, v7
	v_mov_b32_e32 v51, v80
	v_pk_fma_f32 v[14:15], v[6:7], v[48:49], v[14:15] op_sel_hi:[0,1,1]
	v_mov_b32_e32 v48, v72
	v_pk_fma_f32 v[14:15], v[38:39], v[50:51], v[14:15] op_sel_hi:[0,1,1]
	v_mov_b32_e32 v51, v72
	s_waitcnt vmcnt(0)
	v_pk_fma_f32 v[14:15], v[0:1], v[48:49], v[14:15] op_sel_hi:[0,1,1]
	v_mov_b32_e32 v48, v68
	v_pk_fma_f32 v[14:15], v[0:1], v[50:51], v[14:15] op_sel:[1,0,0]
	v_mov_b32_e32 v62, v3
	v_mov_b32_e32 v51, v68
	v_pk_fma_f32 v[14:15], v[2:3], v[48:49], v[14:15] op_sel_hi:[0,1,1]
	v_pk_fma_f32 v[44:45], v[62:63], v[50:51], v[14:15] op_sel_hi:[0,1,1]
	v_mov_b32_e32 v51, v89
	v_mov_b32_e32 v48, v85
	v_pk_fma_f32 v[14:15], v[8:9], v[50:51], v[56:57] op_sel:[1,0,0]
	v_mov_b32_e32 v51, v85
	v_pk_fma_f32 v[14:15], v[10:11], v[48:49], v[14:15] op_sel_hi:[0,1,1]
	v_mov_b32_e32 v48, v77
	v_pk_fma_f32 v[14:15], v[60:61], v[50:51], v[14:15] op_sel_hi:[0,1,1]
	v_mov_b32_e32 v51, v77
	v_pk_fma_f32 v[14:15], v[4:5], v[48:49], v[14:15] op_sel_hi:[0,1,1]
	v_mov_b32_e32 v48, v81
	v_pk_fma_f32 v[14:15], v[4:5], v[50:51], v[14:15] op_sel:[1,0,0]
	v_mov_b32_e32 v51, v81
	v_pk_fma_f32 v[14:15], v[6:7], v[48:49], v[14:15] op_sel_hi:[0,1,1]
	v_mov_b32_e32 v48, v73
	v_pk_fma_f32 v[14:15], v[38:39], v[50:51], v[14:15] op_sel_hi:[0,1,1]
	v_mov_b32_e32 v51, v73
	v_pk_fma_f32 v[14:15], v[0:1], v[48:49], v[14:15] op_sel_hi:[0,1,1]
	v_mov_b32_e32 v48, v69
	v_pk_fma_f32 v[14:15], v[0:1], v[50:51], v[14:15] op_sel:[1,0,0]
	v_mov_b32_e32 v51, v69
	v_pk_fma_f32 v[14:15], v[2:3], v[48:49], v[14:15] op_sel_hi:[0,1,1]
	v_pk_fma_f32 v[40:41], v[62:63], v[50:51], v[14:15] op_sel_hi:[0,1,1]
	v_mov_b32_e32 v51, v90
	v_mov_b32_e32 v48, v86
	v_pk_fma_f32 v[14:15], v[8:9], v[50:51], v[58:59] op_sel:[1,0,0]
	v_mov_b32_e32 v51, v86
	v_pk_fma_f32 v[14:15], v[10:11], v[48:49], v[14:15] op_sel_hi:[0,1,1]
	v_mov_b32_e32 v48, v78
	v_pk_fma_f32 v[14:15], v[60:61], v[50:51], v[14:15] op_sel_hi:[0,1,1]
	v_mov_b32_e32 v51, v78
	v_pk_fma_f32 v[14:15], v[4:5], v[48:49], v[14:15] op_sel_hi:[0,1,1]
	v_mov_b32_e32 v48, v82
	v_pk_fma_f32 v[14:15], v[4:5], v[50:51], v[14:15] op_sel:[1,0,0]
	v_mov_b32_e32 v51, v82
	v_pk_fma_f32 v[14:15], v[6:7], v[48:49], v[14:15] op_sel_hi:[0,1,1]
	v_mov_b32_e32 v48, v74
	v_pk_fma_f32 v[14:15], v[38:39], v[50:51], v[14:15] op_sel_hi:[0,1,1]
	v_mov_b32_e32 v51, v74
	v_pk_fma_f32 v[14:15], v[0:1], v[48:49], v[14:15] op_sel_hi:[0,1,1]
	v_mov_b32_e32 v48, v70
	v_pk_fma_f32 v[14:15], v[0:1], v[50:51], v[14:15] op_sel:[1,0,0]
	;; [unrolled: 22-line block ×3, first 2 shown]
	v_mov_b32_e32 v51, v71
	v_pk_fma_f32 v[0:1], v[2:3], v[48:49], v[0:1] op_sel_hi:[0,1,1]
	v_pk_fma_f32 v[38:39], v[62:63], v[50:51], v[0:1] op_sel_hi:[0,1,1]
	s_andn2_b64 exec, exec, s[10:11]
	s_cbranch_execnz .LBB129_29
; %bb.30:
	s_or_b64 exec, exec, s[10:11]
.LBB129_31:
	s_or_b64 exec, exec, s[4:5]
	v_mov_b32_e32 v31, v45
.LBB129_32:
	s_or_b64 exec, exec, s[8:9]
.LBB129_33:
	v_mov_b32_dpp v6, v41 row_shr:1 row_mask:0xf bank_mask:0xf
	v_add_f32_e32 v6, v41, v6
	v_mov_b32_dpp v0, v44 row_shr:1 row_mask:0xf bank_mask:0xf
	v_mov_b32_dpp v2, v31 row_shr:1 row_mask:0xf bank_mask:0xf
	;; [unrolled: 1-line block ×3, first 2 shown]
	v_add_f32_e32 v6, v6, v7
	v_mov_b32_dpp v4, v40 row_shr:1 row_mask:0xf bank_mask:0xf
	v_add_f32_e32 v0, v44, v0
	v_mov_b32_dpp v7, v6 row_shr:4 row_mask:0xf bank_mask:0xe
	v_add_f32_e32 v6, v6, v7
	v_add_f32_e32 v2, v31, v2
	;; [unrolled: 1-line block ×3, first 2 shown]
	v_mov_b32_dpp v7, v6 row_shr:8 row_mask:0xf bank_mask:0xc
	v_add_f32_e32 v6, v6, v7
	v_mov_b32_dpp v1, v0 row_shr:2 row_mask:0xf bank_mask:0xf
	v_mov_b32_dpp v3, v2 row_shr:2 row_mask:0xf bank_mask:0xf
	v_mov_b32_dpp v7, v6 row_bcast:15 row_mask:0xa bank_mask:0xf
	v_add_f32_e32 v7, v6, v7
	v_mov_b32_dpp v6, v42 row_shr:1 row_mask:0xf bank_mask:0xf
	v_add_f32_e32 v6, v42, v6
	v_mov_b32_dpp v5, v4 row_shr:2 row_mask:0xf bank_mask:0xf
	;; [unrolled: 2-line block ×3, first 2 shown]
	v_add_f32_e32 v6, v6, v9
	v_add_f32_e32 v2, v2, v3
	;; [unrolled: 1-line block ×3, first 2 shown]
	v_mov_b32_dpp v9, v6 row_shr:4 row_mask:0xf bank_mask:0xe
	v_add_f32_e32 v6, v6, v9
	v_mov_b32_dpp v1, v0 row_shr:4 row_mask:0xf bank_mask:0xe
	v_mov_b32_dpp v3, v2 row_shr:4 row_mask:0xf bank_mask:0xe
	;; [unrolled: 1-line block ×3, first 2 shown]
	v_add_f32_e32 v6, v6, v9
	v_mov_b32_dpp v5, v4 row_shr:4 row_mask:0xf bank_mask:0xe
	v_add_f32_e32 v0, v0, v1
	v_mov_b32_dpp v9, v6 row_bcast:15 row_mask:0xa bank_mask:0xf
	v_add_f32_e32 v9, v6, v9
	v_mov_b32_dpp v6, v43 row_shr:1 row_mask:0xf bank_mask:0xf
	v_add_f32_e32 v6, v43, v6
	v_add_f32_e32 v2, v2, v3
	;; [unrolled: 1-line block ×3, first 2 shown]
	v_mov_b32_dpp v11, v6 row_shr:2 row_mask:0xf bank_mask:0xf
	v_add_f32_e32 v6, v6, v11
	v_mov_b32_dpp v1, v0 row_shr:8 row_mask:0xf bank_mask:0xc
	v_mov_b32_dpp v3, v2 row_shr:8 row_mask:0xf bank_mask:0xc
	;; [unrolled: 1-line block ×3, first 2 shown]
	v_add_f32_e32 v6, v6, v11
	v_mov_b32_dpp v5, v4 row_shr:8 row_mask:0xf bank_mask:0xc
	v_add_f32_e32 v0, v0, v1
	v_mov_b32_dpp v11, v6 row_shr:8 row_mask:0xf bank_mask:0xc
	v_add_f32_e32 v6, v6, v11
	v_add_f32_e32 v2, v2, v3
	;; [unrolled: 1-line block ×3, first 2 shown]
	v_mov_b32_dpp v11, v6 row_bcast:15 row_mask:0xa bank_mask:0xf
	v_add_f32_e32 v11, v6, v11
	v_mov_b32_dpp v6, v38 row_shr:1 row_mask:0xf bank_mask:0xf
	v_add_f32_e32 v6, v38, v6
	v_mov_b32_dpp v1, v0 row_bcast:15 row_mask:0xa bank_mask:0xf
	v_mov_b32_dpp v3, v2 row_bcast:15 row_mask:0xa bank_mask:0xf
	v_mov_b32_dpp v12, v6 row_shr:2 row_mask:0xf bank_mask:0xf
	v_add_f32_e32 v6, v6, v12
	v_mov_b32_dpp v5, v4 row_bcast:15 row_mask:0xa bank_mask:0xf
	v_add_f32_e32 v0, v0, v1
	v_mov_b32_dpp v12, v6 row_shr:4 row_mask:0xf bank_mask:0xe
	v_add_f32_e32 v6, v6, v12
	v_add_f32_e32 v2, v2, v3
	;; [unrolled: 1-line block ×3, first 2 shown]
	v_mov_b32_dpp v12, v6 row_shr:8 row_mask:0xf bank_mask:0xc
	v_add_f32_e32 v6, v6, v12
	v_mov_b32_dpp v1, v0 row_bcast:31 row_mask:0xc bank_mask:0xf
	v_mov_b32_dpp v3, v2 row_bcast:31 row_mask:0xc bank_mask:0xf
	;; [unrolled: 1-line block ×3, first 2 shown]
	v_add_f32_e32 v15, v6, v12
	v_mov_b32_dpp v6, v39 row_shr:1 row_mask:0xf bank_mask:0xf
	v_add_f32_e32 v6, v39, v6
	v_mov_b32_dpp v5, v4 row_bcast:31 row_mask:0xc bank_mask:0xf
	v_mov_b32_dpp v8, v7 row_bcast:31 row_mask:0xc bank_mask:0xf
	v_mov_b32_dpp v12, v6 row_shr:2 row_mask:0xf bank_mask:0xf
	v_add_f32_e32 v6, v6, v12
	v_mov_b32_dpp v10, v9 row_bcast:31 row_mask:0xc bank_mask:0xf
	v_mov_b32_dpp v13, v11 row_bcast:31 row_mask:0xc bank_mask:0xf
	v_mov_b32_dpp v12, v6 row_shr:4 row_mask:0xf bank_mask:0xe
	v_add_f32_e32 v6, v6, v12
	v_mov_b32_dpp v16, v15 row_bcast:31 row_mask:0xc bank_mask:0xf
	v_cmp_eq_u32_e32 vcc, 63, v30
	v_mov_b32_dpp v12, v6 row_shr:8 row_mask:0xf bank_mask:0xc
	v_add_f32_e32 v6, v6, v12
	s_nop 1
	v_mov_b32_dpp v12, v6 row_bcast:15 row_mask:0xa bank_mask:0xf
	v_add_f32_e32 v17, v6, v12
	s_nop 1
	v_mov_b32_dpp v18, v17 row_bcast:31 row_mask:0xc bank_mask:0xf
	s_and_b64 exec, exec, vcc
	s_cbranch_execz .LBB129_6
; %bb.34:
	s_load_dwordx2 s[0:1], s[0:1], 0x50
	v_cmp_eq_f32_e32 vcc, 0, v26
	s_xor_b64 s[2:3], s[6:7], -1
	v_add_f32_e32 v6, v0, v1
	v_add_f32_e32 v14, v2, v3
	;; [unrolled: 1-line block ×8, first 2 shown]
	s_and_b64 s[2:3], vcc, s[2:3]
	v_lshlrev_b32_e32 v16, 2, v28
	s_and_saveexec_b64 s[4:5], s[2:3]
	s_xor_b64 s[2:3], exec, s[4:5]
	s_cbranch_execz .LBB129_36
; %bb.35:
	v_xor_b32_e32 v18, 0x80000000, v25
	v_mov_b32_e32 v19, v24
	v_pk_mul_f32 v[14:15], v[14:15], v[18:19] op_sel_hi:[0,1]
	v_ashrrev_i32_e32 v17, 31, v16
	v_pk_fma_f32 v[14:15], v[24:25], v[6:7], v[14:15] op_sel_hi:[1,0,1]
	v_pk_mul_f32 v[6:7], v[12:13], v[18:19] op_sel_hi:[0,1]
	s_waitcnt lgkmcnt(0)
	v_lshl_add_u64 v[20:21], v[16:17], 3, s[0:1]
	v_pk_fma_f32 v[16:17], v[24:25], v[4:5], v[6:7] op_sel_hi:[1,0,1]
	v_pk_mul_f32 v[4:5], v[10:11], v[18:19] op_sel_hi:[0,1]
	v_pk_fma_f32 v[2:3], v[24:25], v[2:3], v[4:5] op_sel_hi:[1,0,1]
	v_pk_mul_f32 v[4:5], v[8:9], v[18:19] op_sel_hi:[0,1]
	v_pk_fma_f32 v[4:5], v[24:25], v[0:1], v[4:5] op_sel_hi:[1,0,1]
	global_store_dwordx4 v[20:21], v[14:17], off
	global_store_dwordx4 v[20:21], v[2:5], off offset:16
                                        ; implicit-def: $vgpr6
                                        ; implicit-def: $vgpr14
                                        ; implicit-def: $vgpr4
                                        ; implicit-def: $vgpr12
                                        ; implicit-def: $vgpr2
                                        ; implicit-def: $vgpr10
                                        ; implicit-def: $vgpr0
                                        ; implicit-def: $vgpr8
                                        ; implicit-def: $vgpr24_vgpr25
                                        ; implicit-def: $vgpr26_vgpr27
                                        ; implicit-def: $vgpr16
.LBB129_36:
	s_andn2_saveexec_b64 s[2:3], s[2:3]
	s_cbranch_execz .LBB129_6
; %bb.37:
	v_ashrrev_i32_e32 v17, 31, v16
	s_waitcnt lgkmcnt(0)
	v_lshl_add_u64 v[28:29], v[16:17], 3, s[0:1]
	global_load_dwordx4 v[16:19], v[28:29], off
	global_load_dwordx4 v[20:23], v[28:29], off offset:16
	v_xor_b32_e32 v30, 0x80000000, v25
	v_mov_b32_e32 v31, v24
	v_pk_mul_f32 v[14:15], v[14:15], v[30:31] op_sel_hi:[0,1]
	v_pk_mul_f32 v[12:13], v[12:13], v[30:31] op_sel_hi:[0,1]
	;; [unrolled: 1-line block ×4, first 2 shown]
	v_pk_fma_f32 v[6:7], v[24:25], v[6:7], v[14:15] op_sel_hi:[1,0,1]
	v_pk_fma_f32 v[4:5], v[24:25], v[4:5], v[12:13] op_sel_hi:[1,0,1]
	v_xor_b32_e32 v32, 0x80000000, v27
	v_mov_b32_e32 v33, v26
	v_pk_fma_f32 v[2:3], v[24:25], v[2:3], v[10:11] op_sel_hi:[1,0,1]
	v_pk_fma_f32 v[0:1], v[24:25], v[0:1], v[8:9] op_sel_hi:[1,0,1]
	s_waitcnt vmcnt(1)
	v_pk_fma_f32 v[6:7], v[26:27], v[16:17], v[6:7] op_sel_hi:[1,0,1]
	v_pk_fma_f32 v[4:5], v[26:27], v[18:19], v[4:5] op_sel_hi:[1,0,1]
	v_mov_b32_e32 v8, v19
	s_waitcnt vmcnt(0)
	v_pk_fma_f32 v[10:11], v[26:27], v[20:21], v[2:3] op_sel_hi:[1,0,1]
	v_pk_fma_f32 v[12:13], v[26:27], v[22:23], v[0:1] op_sel_hi:[1,0,1]
	v_mov_b32_e32 v14, v23
	v_pk_fma_f32 v[0:1], v[32:33], v[16:17], v[6:7] op_sel:[0,1,0]
	v_pk_fma_f32 v[2:3], v[32:33], v[8:9], v[4:5] op_sel_hi:[1,0,1]
	v_pk_fma_f32 v[4:5], v[32:33], v[20:21], v[10:11] op_sel:[0,1,0]
	v_pk_fma_f32 v[6:7], v[32:33], v[14:15], v[12:13] op_sel_hi:[1,0,1]
	global_store_dwordx4 v[28:29], v[0:3], off
	global_store_dwordx4 v[28:29], v[4:7], off offset:16
	s_endpgm
	.section	.rodata,"a",@progbits
	.p2align	6, 0x0
	.amdhsa_kernel _ZN9rocsparseL18bsrxmvn_4x4_kernelILj128ELj64E21rocsparse_complex_numIfElifS2_S2_EEvT3_20rocsparse_direction_NS_24const_host_device_scalarIT1_EES3_PKS3_PKT2_SC_S9_PKT4_PKT5_S7_PT6_21rocsparse_index_base_b
		.amdhsa_group_segment_fixed_size 0
		.amdhsa_private_segment_fixed_size 0
		.amdhsa_kernarg_size 96
		.amdhsa_user_sgpr_count 2
		.amdhsa_user_sgpr_dispatch_ptr 0
		.amdhsa_user_sgpr_queue_ptr 0
		.amdhsa_user_sgpr_kernarg_segment_ptr 1
		.amdhsa_user_sgpr_dispatch_id 0
		.amdhsa_user_sgpr_kernarg_preload_length 0
		.amdhsa_user_sgpr_kernarg_preload_offset 0
		.amdhsa_user_sgpr_private_segment_size 0
		.amdhsa_uses_dynamic_stack 0
		.amdhsa_enable_private_segment 0
		.amdhsa_system_sgpr_workgroup_id_x 1
		.amdhsa_system_sgpr_workgroup_id_y 0
		.amdhsa_system_sgpr_workgroup_id_z 0
		.amdhsa_system_sgpr_workgroup_info 0
		.amdhsa_system_vgpr_workitem_id 0
		.amdhsa_next_free_vgpr 134
		.amdhsa_next_free_sgpr 31
		.amdhsa_accum_offset 136
		.amdhsa_reserve_vcc 1
		.amdhsa_float_round_mode_32 0
		.amdhsa_float_round_mode_16_64 0
		.amdhsa_float_denorm_mode_32 3
		.amdhsa_float_denorm_mode_16_64 3
		.amdhsa_dx10_clamp 1
		.amdhsa_ieee_mode 1
		.amdhsa_fp16_overflow 0
		.amdhsa_tg_split 0
		.amdhsa_exception_fp_ieee_invalid_op 0
		.amdhsa_exception_fp_denorm_src 0
		.amdhsa_exception_fp_ieee_div_zero 0
		.amdhsa_exception_fp_ieee_overflow 0
		.amdhsa_exception_fp_ieee_underflow 0
		.amdhsa_exception_fp_ieee_inexact 0
		.amdhsa_exception_int_div_zero 0
	.end_amdhsa_kernel
	.section	.text._ZN9rocsparseL18bsrxmvn_4x4_kernelILj128ELj64E21rocsparse_complex_numIfElifS2_S2_EEvT3_20rocsparse_direction_NS_24const_host_device_scalarIT1_EES3_PKS3_PKT2_SC_S9_PKT4_PKT5_S7_PT6_21rocsparse_index_base_b,"axG",@progbits,_ZN9rocsparseL18bsrxmvn_4x4_kernelILj128ELj64E21rocsparse_complex_numIfElifS2_S2_EEvT3_20rocsparse_direction_NS_24const_host_device_scalarIT1_EES3_PKS3_PKT2_SC_S9_PKT4_PKT5_S7_PT6_21rocsparse_index_base_b,comdat
.Lfunc_end129:
	.size	_ZN9rocsparseL18bsrxmvn_4x4_kernelILj128ELj64E21rocsparse_complex_numIfElifS2_S2_EEvT3_20rocsparse_direction_NS_24const_host_device_scalarIT1_EES3_PKS3_PKT2_SC_S9_PKT4_PKT5_S7_PT6_21rocsparse_index_base_b, .Lfunc_end129-_ZN9rocsparseL18bsrxmvn_4x4_kernelILj128ELj64E21rocsparse_complex_numIfElifS2_S2_EEvT3_20rocsparse_direction_NS_24const_host_device_scalarIT1_EES3_PKS3_PKT2_SC_S9_PKT4_PKT5_S7_PT6_21rocsparse_index_base_b
                                        ; -- End function
	.set _ZN9rocsparseL18bsrxmvn_4x4_kernelILj128ELj64E21rocsparse_complex_numIfElifS2_S2_EEvT3_20rocsparse_direction_NS_24const_host_device_scalarIT1_EES3_PKS3_PKT2_SC_S9_PKT4_PKT5_S7_PT6_21rocsparse_index_base_b.num_vgpr, 134
	.set _ZN9rocsparseL18bsrxmvn_4x4_kernelILj128ELj64E21rocsparse_complex_numIfElifS2_S2_EEvT3_20rocsparse_direction_NS_24const_host_device_scalarIT1_EES3_PKS3_PKT2_SC_S9_PKT4_PKT5_S7_PT6_21rocsparse_index_base_b.num_agpr, 0
	.set _ZN9rocsparseL18bsrxmvn_4x4_kernelILj128ELj64E21rocsparse_complex_numIfElifS2_S2_EEvT3_20rocsparse_direction_NS_24const_host_device_scalarIT1_EES3_PKS3_PKT2_SC_S9_PKT4_PKT5_S7_PT6_21rocsparse_index_base_b.numbered_sgpr, 31
	.set _ZN9rocsparseL18bsrxmvn_4x4_kernelILj128ELj64E21rocsparse_complex_numIfElifS2_S2_EEvT3_20rocsparse_direction_NS_24const_host_device_scalarIT1_EES3_PKS3_PKT2_SC_S9_PKT4_PKT5_S7_PT6_21rocsparse_index_base_b.num_named_barrier, 0
	.set _ZN9rocsparseL18bsrxmvn_4x4_kernelILj128ELj64E21rocsparse_complex_numIfElifS2_S2_EEvT3_20rocsparse_direction_NS_24const_host_device_scalarIT1_EES3_PKS3_PKT2_SC_S9_PKT4_PKT5_S7_PT6_21rocsparse_index_base_b.private_seg_size, 0
	.set _ZN9rocsparseL18bsrxmvn_4x4_kernelILj128ELj64E21rocsparse_complex_numIfElifS2_S2_EEvT3_20rocsparse_direction_NS_24const_host_device_scalarIT1_EES3_PKS3_PKT2_SC_S9_PKT4_PKT5_S7_PT6_21rocsparse_index_base_b.uses_vcc, 1
	.set _ZN9rocsparseL18bsrxmvn_4x4_kernelILj128ELj64E21rocsparse_complex_numIfElifS2_S2_EEvT3_20rocsparse_direction_NS_24const_host_device_scalarIT1_EES3_PKS3_PKT2_SC_S9_PKT4_PKT5_S7_PT6_21rocsparse_index_base_b.uses_flat_scratch, 0
	.set _ZN9rocsparseL18bsrxmvn_4x4_kernelILj128ELj64E21rocsparse_complex_numIfElifS2_S2_EEvT3_20rocsparse_direction_NS_24const_host_device_scalarIT1_EES3_PKS3_PKT2_SC_S9_PKT4_PKT5_S7_PT6_21rocsparse_index_base_b.has_dyn_sized_stack, 0
	.set _ZN9rocsparseL18bsrxmvn_4x4_kernelILj128ELj64E21rocsparse_complex_numIfElifS2_S2_EEvT3_20rocsparse_direction_NS_24const_host_device_scalarIT1_EES3_PKS3_PKT2_SC_S9_PKT4_PKT5_S7_PT6_21rocsparse_index_base_b.has_recursion, 0
	.set _ZN9rocsparseL18bsrxmvn_4x4_kernelILj128ELj64E21rocsparse_complex_numIfElifS2_S2_EEvT3_20rocsparse_direction_NS_24const_host_device_scalarIT1_EES3_PKS3_PKT2_SC_S9_PKT4_PKT5_S7_PT6_21rocsparse_index_base_b.has_indirect_call, 0
	.section	.AMDGPU.csdata,"",@progbits
; Kernel info:
; codeLenInByte = 7368
; TotalNumSgprs: 37
; NumVgprs: 134
; NumAgprs: 0
; TotalNumVgprs: 134
; ScratchSize: 0
; MemoryBound: 0
; FloatMode: 240
; IeeeMode: 1
; LDSByteSize: 0 bytes/workgroup (compile time only)
; SGPRBlocks: 4
; VGPRBlocks: 16
; NumSGPRsForWavesPerEU: 37
; NumVGPRsForWavesPerEU: 134
; AccumOffset: 136
; Occupancy: 3
; WaveLimiterHint : 1
; COMPUTE_PGM_RSRC2:SCRATCH_EN: 0
; COMPUTE_PGM_RSRC2:USER_SGPR: 2
; COMPUTE_PGM_RSRC2:TRAP_HANDLER: 0
; COMPUTE_PGM_RSRC2:TGID_X_EN: 1
; COMPUTE_PGM_RSRC2:TGID_Y_EN: 0
; COMPUTE_PGM_RSRC2:TGID_Z_EN: 0
; COMPUTE_PGM_RSRC2:TIDIG_COMP_CNT: 0
; COMPUTE_PGM_RSRC3_GFX90A:ACCUM_OFFSET: 33
; COMPUTE_PGM_RSRC3_GFX90A:TG_SPLIT: 0
	.section	.text._ZN9rocsparseL18bsrxmvn_4x4_kernelILj128ELj4E21rocsparse_complex_numIfEllfS2_S2_EEvT3_20rocsparse_direction_NS_24const_host_device_scalarIT1_EES3_PKS3_PKT2_SC_S9_PKT4_PKT5_S7_PT6_21rocsparse_index_base_b,"axG",@progbits,_ZN9rocsparseL18bsrxmvn_4x4_kernelILj128ELj4E21rocsparse_complex_numIfEllfS2_S2_EEvT3_20rocsparse_direction_NS_24const_host_device_scalarIT1_EES3_PKS3_PKT2_SC_S9_PKT4_PKT5_S7_PT6_21rocsparse_index_base_b,comdat
	.globl	_ZN9rocsparseL18bsrxmvn_4x4_kernelILj128ELj4E21rocsparse_complex_numIfEllfS2_S2_EEvT3_20rocsparse_direction_NS_24const_host_device_scalarIT1_EES3_PKS3_PKT2_SC_S9_PKT4_PKT5_S7_PT6_21rocsparse_index_base_b ; -- Begin function _ZN9rocsparseL18bsrxmvn_4x4_kernelILj128ELj4E21rocsparse_complex_numIfEllfS2_S2_EEvT3_20rocsparse_direction_NS_24const_host_device_scalarIT1_EES3_PKS3_PKT2_SC_S9_PKT4_PKT5_S7_PT6_21rocsparse_index_base_b
	.p2align	8
	.type	_ZN9rocsparseL18bsrxmvn_4x4_kernelILj128ELj4E21rocsparse_complex_numIfEllfS2_S2_EEvT3_20rocsparse_direction_NS_24const_host_device_scalarIT1_EES3_PKS3_PKT2_SC_S9_PKT4_PKT5_S7_PT6_21rocsparse_index_base_b,@function
_ZN9rocsparseL18bsrxmvn_4x4_kernelILj128ELj4E21rocsparse_complex_numIfEllfS2_S2_EEvT3_20rocsparse_direction_NS_24const_host_device_scalarIT1_EES3_PKS3_PKT2_SC_S9_PKT4_PKT5_S7_PT6_21rocsparse_index_base_b: ; @_ZN9rocsparseL18bsrxmvn_4x4_kernelILj128ELj4E21rocsparse_complex_numIfEllfS2_S2_EEvT3_20rocsparse_direction_NS_24const_host_device_scalarIT1_EES3_PKS3_PKT2_SC_S9_PKT4_PKT5_S7_PT6_21rocsparse_index_base_b
; %bb.0:
	s_load_dwordx4 s[8:11], s[0:1], 0x10
	s_load_dwordx2 s[12:13], s[0:1], 0x60
	s_add_u32 s3, s0, 16
	s_addc_u32 s6, s1, 0
	s_load_dwordx2 s[4:5], s[0:1], 0x50
	s_add_u32 s7, s0, 0x50
	s_addc_u32 s14, s1, 0
	s_waitcnt lgkmcnt(0)
	s_bitcmp1_b32 s13, 0
	s_cselect_b32 s3, s3, s8
	s_cselect_b32 s6, s6, s9
	v_mov_b32_e32 v2, s3
	s_cselect_b32 s3, s14, s5
	s_cselect_b32 s4, s7, s4
	v_mov_b32_e32 v3, s6
	v_mov_b32_e32 v4, s4
	;; [unrolled: 1-line block ×3, first 2 shown]
	flat_load_dwordx2 v[24:25], v[2:3]
	flat_load_dwordx2 v[26:27], v[4:5]
	s_waitcnt vmcnt(0) lgkmcnt(0)
	v_cmp_neq_f32_e32 vcc, 0, v24
	v_cmp_neq_f32_e64 s[4:5], 0, v25
	v_cmp_neq_f32_e64 s[8:9], 1.0, v26
	v_cmp_neq_f32_e64 s[6:7], 0, v27
	s_or_b64 s[4:5], vcc, s[4:5]
	s_or_b64 s[8:9], s[8:9], s[6:7]
	s_or_b64 s[4:5], s[4:5], s[8:9]
	s_and_saveexec_b64 s[8:9], s[4:5]
	s_cbranch_execz .LBB130_6
; %bb.1:
	s_load_dwordx2 s[4:5], s[0:1], 0x20
	v_lshrrev_b32_e32 v1, 2, v0
	v_lshl_or_b32 v2, s2, 5, v1
	v_mov_b32_e32 v3, 0
	s_mov_b64 s[2:3], 0
	s_waitcnt lgkmcnt(0)
	s_cmp_lg_u64 s[4:5], 0
	s_cbranch_scc0 .LBB130_7
; %bb.2:
	v_cmp_gt_i64_e32 vcc, s[10:11], v[2:3]
                                        ; implicit-def: $vgpr28_vgpr29
                                        ; implicit-def: $vgpr30_vgpr31
	s_and_saveexec_b64 s[8:9], vcc
	s_xor_b64 s[8:9], exec, s[8:9]
	s_cbranch_execz .LBB130_4
; %bb.3:
	v_lshl_add_u64 v[4:5], v[2:3], 3, s[4:5]
	global_load_dwordx2 v[4:5], v[4:5], off
	s_mov_b32 s13, 0
	s_mov_b64 s[2:3], exec
	v_mov_b64_e32 v[30:31], s[12:13]
	s_waitcnt vmcnt(0)
	v_subrev_co_u32_e32 v28, vcc, s12, v4
	s_nop 1
	v_subbrev_co_u32_e32 v29, vcc, 0, v5, vcc
.LBB130_4:
	s_or_b64 exec, exec, s[8:9]
.LBB130_5:
	s_and_b64 exec, exec, s[2:3]
	s_cbranch_execnz .LBB130_11
.LBB130_6:
	s_endpgm
.LBB130_7:
                                        ; implicit-def: $vgpr28_vgpr29
                                        ; implicit-def: $vgpr30_vgpr31
	s_cbranch_execz .LBB130_5
; %bb.8:
	s_load_dwordx2 s[4:5], s[0:1], 0x0
	s_waitcnt lgkmcnt(0)
	v_cmp_gt_i64_e32 vcc, s[4:5], v[2:3]
	s_and_saveexec_b64 s[4:5], vcc
; %bb.9:
	s_mov_b32 s13, 0
	s_or_b64 s[2:3], s[2:3], exec
; %bb.10:
	s_or_b64 exec, exec, s[4:5]
	v_mov_b64_e32 v[30:31], s[12:13]
	v_mov_b64_e32 v[28:29], v[2:3]
	s_and_b64 exec, exec, s[2:3]
	s_cbranch_execz .LBB130_6
.LBB130_11:
	s_load_dwordx8 s[8:15], s[0:1], 0x28
	v_lshlrev_b64 v[2:3], 3, v[28:29]
	v_and_b32_e32 v32, 3, v0
	v_mov_b32_e32 v33, 0
	s_waitcnt lgkmcnt(0)
	v_lshl_add_u64 v[4:5], s[8:9], 0, v[2:3]
	s_cmp_eq_u64 s[10:11], 0
	v_lshl_add_u64 v[2:3], s[10:11], 0, v[2:3]
	global_load_dwordx2 v[46:47], v[4:5], off
	v_lshl_add_u64 v[4:5], v[4:5], 0, 8
	s_cselect_b64 vcc, -1, 0
	v_cndmask_b32_e32 v3, v3, v5, vcc
	v_cndmask_b32_e32 v2, v2, v4, vcc
	global_load_dwordx2 v[2:3], v[2:3], off
	s_load_dword s4, s[0:1], 0x8
	s_load_dwordx2 s[2:3], s[0:1], 0x48
	s_waitcnt lgkmcnt(0)
	s_cmp_eq_u32 s4, 1
	s_waitcnt vmcnt(1)
	v_sub_co_u32_e32 v0, vcc, v46, v30
	s_nop 1
	v_subb_co_u32_e32 v1, vcc, v47, v31, vcc
	v_lshl_add_u64 v[34:35], v[0:1], 0, v[32:33]
	s_waitcnt vmcnt(0)
	v_sub_co_u32_e32 v36, vcc, v2, v30
	v_lshlrev_b64 v[0:1], 6, v[34:35]
	s_nop 0
	v_subb_co_u32_e32 v37, vcc, v3, v31, vcc
	v_lshl_add_u64 v[38:39], s[14:15], 0, v[0:1]
	v_cmp_lt_i64_e64 s[4:5], v[34:35], v[36:37]
	s_cbranch_scc1 .LBB130_23
; %bb.12:
	v_mov_b32_e32 v40, v33
	v_mov_b32_e32 v43, v33
	;; [unrolled: 1-line block ×7, first 2 shown]
	s_and_saveexec_b64 s[8:9], s[4:5]
	s_cbranch_execz .LBB130_22
; %bb.13:
	v_or_b32_e32 v0, 4, v32
	v_sub_co_u32_e32 v0, vcc, v0, v30
	v_not_b32_e32 v3, v47
	s_nop 0
	v_subb_co_u32_e32 v1, vcc, 0, v31, vcc
	v_lshl_add_u64 v[0:1], v[0:1], 0, v[46:47]
	v_cmp_gt_i64_e32 vcc, v[0:1], v[36:37]
	v_not_b32_e32 v2, v46
	v_mov_b32_e32 v13, 0
	v_cndmask_b32_e32 v1, v37, v1, vcc
	v_cndmask_b32_e32 v0, v36, v0, vcc
	v_sub_co_u32_e32 v4, vcc, v30, v32
	v_mov_b32_e32 v44, v13
	s_nop 0
	v_subbrev_co_u32_e32 v5, vcc, 0, v31, vcc
	v_lshl_add_u64 v[2:3], v[4:5], 0, v[2:3]
	v_lshl_add_u64 v[0:1], v[2:3], 0, v[0:1]
	v_and_b32_e32 v12, 12, v0
	v_cmp_ne_u64_e32 vcc, 12, v[12:13]
	v_mov_b32_e32 v12, v13
	v_mov_b32_e32 v45, v13
	;; [unrolled: 1-line block ×6, first 2 shown]
	v_mov_b64_e32 v[48:49], v[38:39]
	v_mov_b64_e32 v[50:51], v[34:35]
	s_and_saveexec_b64 s[10:11], vcc
	s_cbranch_execz .LBB130_17
; %bb.14:
	v_lshrrev_b32_e32 v2, 2, v0
	v_add_u32_e32 v2, 1, v2
	v_and_b32_e32 v2, 3, v2
	v_sub_co_u32_e32 v6, vcc, 0, v2
	v_mov_b32_e32 v3, 0
	s_nop 0
	v_subb_co_u32_e64 v7, s[16:17], 0, 0, vcc
	v_lshl_add_u64 v[4:5], v[34:35], 3, s[12:13]
	s_mov_b64 s[14:15], 0
	s_mov_b64 s[16:17], 0x100
	v_bfrev_b32_e32 v8, 1
	v_mov_b64_e32 v[50:51], v[34:35]
	v_mov_b64_e32 v[48:49], v[38:39]
	v_mov_b32_e32 v12, v3
	v_mov_b32_e32 v13, v3
	v_mov_b32_e32 v44, v3
	v_mov_b32_e32 v45, v3
	v_mov_b32_e32 v42, v3
	v_mov_b32_e32 v43, v3
	v_mov_b32_e32 v40, v3
	v_mov_b32_e32 v41, v3
.LBB130_15:                             ; =>This Inner Loop Header: Depth=1
	global_load_dwordx2 v[10:11], v[4:5], off
	global_load_dwordx4 v[54:57], v[48:49], off offset:16
	global_load_dwordx4 v[58:61], v[48:49], off
	v_lshl_add_u64 v[6:7], v[6:7], 0, 1
	v_lshl_add_u64 v[50:51], v[50:51], 0, 4
	;; [unrolled: 1-line block ×3, first 2 shown]
	s_waitcnt vmcnt(2)
	v_sub_co_u32_e32 v10, vcc, v10, v30
	s_nop 1
	v_subb_co_u32_e32 v11, vcc, v11, v31, vcc
	v_lshlrev_b64 v[10:11], 5, v[10:11]
	v_lshl_add_u64 v[10:11], s[2:3], 0, v[10:11]
	global_load_dwordx4 v[14:17], v[10:11], off
	global_load_dwordx4 v[18:21], v[10:11], off offset:16
	global_load_dwordx4 v[62:65], v[48:49], off offset:32
	;; [unrolled: 1-line block ×3, first 2 shown]
	s_waitcnt vmcnt(4)
	v_mov_b32_e32 v2, v58
	v_mov_b32_e32 v9, v58
	v_cmp_eq_u64_e32 vcc, 0, v[6:7]
	v_lshl_add_u64 v[48:49], v[48:49], 0, s[16:17]
	s_or_b64 s[14:15], vcc, s[14:15]
	s_waitcnt vmcnt(3)
	v_pk_fma_f32 v[10:11], v[14:15], v[2:3], v[40:41] op_sel_hi:[0,1,1]
	v_mov_b32_e32 v2, v59
	v_pk_fma_f32 v[10:11], v[14:15], v[8:9], v[10:11] op_sel:[1,0,0]
	v_mov_b32_e32 v22, v17
	v_mov_b32_e32 v9, v59
	v_pk_fma_f32 v[10:11], v[16:17], v[2:3], v[10:11] op_sel_hi:[0,1,1]
	v_mov_b32_e32 v2, v60
	v_pk_fma_f32 v[10:11], v[22:23], v[8:9], v[10:11] op_sel_hi:[0,1,1]
	v_mov_b32_e32 v9, v60
	s_waitcnt vmcnt(2)
	v_pk_fma_f32 v[10:11], v[18:19], v[2:3], v[10:11] op_sel_hi:[0,1,1]
	v_mov_b32_e32 v2, v61
	v_pk_fma_f32 v[10:11], v[18:19], v[8:9], v[10:11] op_sel:[1,0,0]
	v_mov_b32_e32 v52, v21
	v_mov_b32_e32 v9, v61
	v_pk_fma_f32 v[10:11], v[20:21], v[2:3], v[10:11] op_sel_hi:[0,1,1]
	v_mov_b32_e32 v2, v54
	v_pk_fma_f32 v[40:41], v[52:53], v[8:9], v[10:11] op_sel_hi:[0,1,1]
	v_pk_fma_f32 v[10:11], v[14:15], v[2:3], v[42:43] op_sel_hi:[0,1,1]
	v_mov_b32_e32 v9, v54
	v_mov_b32_e32 v2, v55
	v_pk_fma_f32 v[10:11], v[14:15], v[8:9], v[10:11] op_sel:[1,0,0]
	v_mov_b32_e32 v9, v55
	v_pk_fma_f32 v[10:11], v[16:17], v[2:3], v[10:11] op_sel_hi:[0,1,1]
	v_mov_b32_e32 v2, v56
	v_pk_fma_f32 v[10:11], v[22:23], v[8:9], v[10:11] op_sel_hi:[0,1,1]
	;; [unrolled: 2-line block ×3, first 2 shown]
	v_mov_b32_e32 v2, v57
	v_pk_fma_f32 v[10:11], v[18:19], v[8:9], v[10:11] op_sel:[1,0,0]
	v_mov_b32_e32 v9, v57
	v_pk_fma_f32 v[10:11], v[20:21], v[2:3], v[10:11] op_sel_hi:[0,1,1]
	s_waitcnt vmcnt(1)
	v_mov_b32_e32 v2, v62
	v_pk_fma_f32 v[42:43], v[52:53], v[8:9], v[10:11] op_sel_hi:[0,1,1]
	v_pk_fma_f32 v[10:11], v[14:15], v[2:3], v[44:45] op_sel_hi:[0,1,1]
	v_mov_b32_e32 v9, v62
	v_mov_b32_e32 v2, v63
	v_pk_fma_f32 v[10:11], v[14:15], v[8:9], v[10:11] op_sel:[1,0,0]
	v_mov_b32_e32 v9, v63
	v_pk_fma_f32 v[10:11], v[16:17], v[2:3], v[10:11] op_sel_hi:[0,1,1]
	v_mov_b32_e32 v2, v64
	v_pk_fma_f32 v[10:11], v[22:23], v[8:9], v[10:11] op_sel_hi:[0,1,1]
	;; [unrolled: 2-line block ×3, first 2 shown]
	v_mov_b32_e32 v2, v65
	v_pk_fma_f32 v[10:11], v[18:19], v[8:9], v[10:11] op_sel:[1,0,0]
	v_mov_b32_e32 v9, v65
	v_pk_fma_f32 v[10:11], v[20:21], v[2:3], v[10:11] op_sel_hi:[0,1,1]
	s_waitcnt vmcnt(0)
	v_mov_b32_e32 v2, v66
	v_pk_fma_f32 v[44:45], v[52:53], v[8:9], v[10:11] op_sel_hi:[0,1,1]
	v_pk_fma_f32 v[10:11], v[14:15], v[2:3], v[12:13] op_sel_hi:[0,1,1]
	v_mov_b32_e32 v9, v66
	v_mov_b32_e32 v2, v67
	v_pk_fma_f32 v[10:11], v[14:15], v[8:9], v[10:11] op_sel:[1,0,0]
	v_mov_b32_e32 v9, v67
	v_pk_fma_f32 v[10:11], v[16:17], v[2:3], v[10:11] op_sel_hi:[0,1,1]
	v_mov_b32_e32 v2, v68
	v_pk_fma_f32 v[10:11], v[22:23], v[8:9], v[10:11] op_sel_hi:[0,1,1]
	;; [unrolled: 2-line block ×3, first 2 shown]
	v_mov_b32_e32 v2, v69
	v_pk_fma_f32 v[10:11], v[18:19], v[8:9], v[10:11] op_sel:[1,0,0]
	v_mov_b32_e32 v9, v69
	v_pk_fma_f32 v[10:11], v[20:21], v[2:3], v[10:11] op_sel_hi:[0,1,1]
	v_pk_fma_f32 v[12:13], v[52:53], v[8:9], v[10:11] op_sel_hi:[0,1,1]
	s_andn2_b64 exec, exec, s[14:15]
	s_cbranch_execnz .LBB130_15
; %bb.16:
	s_or_b64 exec, exec, s[14:15]
.LBB130_17:
	s_or_b64 exec, exec, s[10:11]
	v_cmp_lt_u64_e32 vcc, 11, v[0:1]
	s_and_saveexec_b64 s[10:11], vcc
	s_cbranch_execz .LBB130_21
; %bb.18:
	v_lshl_add_u64 v[0:1], v[50:51], 3, s[12:13]
	v_lshl_add_u64 v[52:53], v[0:1], 0, 64
	s_mov_b64 s[14:15], 0
	v_mov_b32_e32 v55, 0
	s_mov_b64 s[16:17], 0x400
	s_mov_b64 s[18:19], 0x80
	v_bfrev_b32_e32 v56, 1
.LBB130_19:                             ; =>This Inner Loop Header: Depth=1
	global_load_dwordx2 v[0:1], v[52:53], off offset:-64
	v_lshl_add_u64 v[50:51], v[50:51], 0, 16
	s_waitcnt vmcnt(0)
	v_sub_co_u32_e32 v0, vcc, v0, v30
	s_nop 1
	v_subb_co_u32_e32 v1, vcc, v1, v31, vcc
	v_lshlrev_b64 v[0:1], 5, v[0:1]
	v_lshl_add_u64 v[0:1], s[2:3], 0, v[0:1]
	global_load_dwordx4 v[8:11], v[0:1], off offset:16
	global_load_dwordx4 v[14:17], v[0:1], off
	global_load_dwordx2 v[2:3], v[52:53], off offset:-32
	global_load_dwordx4 v[64:67], v[48:49], off offset:304
	global_load_dwordx4 v[68:71], v[48:49], off offset:288
	;; [unrolled: 1-line block ×4, first 2 shown]
	s_waitcnt vmcnt(4)
	v_sub_co_u32_e32 v0, vcc, v2, v30
	s_nop 1
	v_subb_co_u32_e32 v1, vcc, v3, v31, vcc
	v_lshlrev_b64 v[0:1], 5, v[0:1]
	v_lshl_add_u64 v[18:19], s[2:3], 0, v[0:1]
	global_load_dwordx4 v[0:3], v[18:19], off offset:16
	global_load_dwordx4 v[4:7], v[18:19], off
	global_load_dwordx4 v[76:79], v[48:49], off offset:48
	global_load_dwordx4 v[80:83], v[48:49], off offset:32
	;; [unrolled: 1-line block ×3, first 2 shown]
	global_load_dwordx4 v[20:23], v[48:49], off
	s_waitcnt vmcnt(0)
	v_mov_b32_e32 v54, v20
	v_pk_fma_f32 v[18:19], v[14:15], v[54:55], v[40:41] op_sel_hi:[0,1,1]
	v_mov_b32_e32 v57, v20
	v_pk_fma_f32 v[18:19], v[14:15], v[56:57], v[18:19] op_sel:[1,0,0]
	v_mov_b32_e32 v54, v21
	v_pk_fma_f32 v[18:19], v[16:17], v[54:55], v[18:19] op_sel_hi:[0,1,1]
	v_mov_b32_e32 v20, v17
	v_mov_b32_e32 v57, v21
	v_pk_fma_f32 v[18:19], v[20:21], v[56:57], v[18:19] op_sel_hi:[0,1,1]
	v_mov_b32_e32 v54, v22
	v_pk_fma_f32 v[18:19], v[8:9], v[54:55], v[18:19] op_sel_hi:[0,1,1]
	v_mov_b32_e32 v57, v22
	v_pk_fma_f32 v[18:19], v[8:9], v[56:57], v[18:19] op_sel:[1,0,0]
	v_mov_b32_e32 v54, v23
	v_pk_fma_f32 v[18:19], v[10:11], v[54:55], v[18:19] op_sel_hi:[0,1,1]
	v_mov_b32_e32 v22, v11
	v_mov_b32_e32 v57, v23
	v_pk_fma_f32 v[18:19], v[22:23], v[56:57], v[18:19] op_sel_hi:[0,1,1]
	v_mov_b32_e32 v54, v58
	v_pk_fma_f32 v[18:19], v[4:5], v[54:55], v[18:19] op_sel_hi:[0,1,1]
	v_mov_b32_e32 v57, v58
	v_mov_b32_e32 v54, v84
	v_pk_fma_f32 v[40:41], v[4:5], v[56:57], v[18:19] op_sel:[1,0,0]
	v_pk_fma_f32 v[18:19], v[14:15], v[54:55], v[42:43] op_sel_hi:[0,1,1]
	v_mov_b32_e32 v57, v84
	v_pk_fma_f32 v[18:19], v[14:15], v[56:57], v[18:19] op_sel:[1,0,0]
	v_mov_b32_e32 v54, v85
	v_pk_fma_f32 v[18:19], v[16:17], v[54:55], v[18:19] op_sel_hi:[0,1,1]
	v_mov_b32_e32 v57, v85
	v_pk_fma_f32 v[18:19], v[20:21], v[56:57], v[18:19] op_sel_hi:[0,1,1]
	v_mov_b32_e32 v54, v86
	v_pk_fma_f32 v[18:19], v[8:9], v[54:55], v[18:19] op_sel_hi:[0,1,1]
	v_mov_b32_e32 v57, v86
	v_pk_fma_f32 v[18:19], v[8:9], v[56:57], v[18:19] op_sel:[1,0,0]
	v_mov_b32_e32 v54, v87
	v_pk_fma_f32 v[18:19], v[10:11], v[54:55], v[18:19] op_sel_hi:[0,1,1]
	v_mov_b32_e32 v57, v87
	v_pk_fma_f32 v[18:19], v[22:23], v[56:57], v[18:19] op_sel_hi:[0,1,1]
	v_mov_b32_e32 v54, v72
	v_pk_fma_f32 v[18:19], v[4:5], v[54:55], v[18:19] op_sel_hi:[0,1,1]
	v_mov_b32_e32 v57, v72
	v_mov_b32_e32 v54, v80
	v_pk_fma_f32 v[42:43], v[4:5], v[56:57], v[18:19] op_sel:[1,0,0]
	v_pk_fma_f32 v[18:19], v[14:15], v[54:55], v[44:45] op_sel_hi:[0,1,1]
	v_mov_b32_e32 v57, v80
	v_pk_fma_f32 v[18:19], v[14:15], v[56:57], v[18:19] op_sel:[1,0,0]
	v_mov_b32_e32 v54, v81
	v_pk_fma_f32 v[18:19], v[16:17], v[54:55], v[18:19] op_sel_hi:[0,1,1]
	v_mov_b32_e32 v57, v81
	v_pk_fma_f32 v[18:19], v[20:21], v[56:57], v[18:19] op_sel_hi:[0,1,1]
	v_mov_b32_e32 v54, v82
	v_pk_fma_f32 v[18:19], v[8:9], v[54:55], v[18:19] op_sel_hi:[0,1,1]
	v_mov_b32_e32 v57, v82
	v_pk_fma_f32 v[18:19], v[8:9], v[56:57], v[18:19] op_sel:[1,0,0]
	v_mov_b32_e32 v54, v83
	v_pk_fma_f32 v[18:19], v[10:11], v[54:55], v[18:19] op_sel_hi:[0,1,1]
	;; [unrolled: 20-line block ×3, first 2 shown]
	v_mov_b32_e32 v57, v79
	v_pk_fma_f32 v[8:9], v[22:23], v[56:57], v[8:9] op_sel_hi:[0,1,1]
	v_mov_b32_e32 v54, v64
	v_pk_fma_f32 v[8:9], v[4:5], v[54:55], v[8:9] op_sel_hi:[0,1,1]
	v_mov_b32_e32 v57, v64
	v_pk_fma_f32 v[4:5], v[4:5], v[56:57], v[8:9] op_sel:[1,0,0]
	global_load_dwordx2 v[8:9], v[52:53], off
	v_mov_b32_e32 v54, v59
	v_pk_fma_f32 v[40:41], v[6:7], v[54:55], v[40:41] op_sel_hi:[0,1,1]
	v_mov_b32_e32 v58, v7
	v_mov_b32_e32 v57, v59
	v_pk_fma_f32 v[40:41], v[58:59], v[56:57], v[40:41] op_sel_hi:[0,1,1]
	v_mov_b32_e32 v54, v60
	v_pk_fma_f32 v[40:41], v[0:1], v[54:55], v[40:41] op_sel_hi:[0,1,1]
	v_mov_b32_e32 v57, v60
	v_pk_fma_f32 v[40:41], v[0:1], v[56:57], v[40:41] op_sel:[1,0,0]
	v_mov_b32_e32 v54, v61
	v_pk_fma_f32 v[40:41], v[2:3], v[54:55], v[40:41] op_sel_hi:[0,1,1]
	v_mov_b32_e32 v60, v3
	v_mov_b32_e32 v57, v61
	v_pk_fma_f32 v[40:41], v[60:61], v[56:57], v[40:41] op_sel_hi:[0,1,1]
	s_waitcnt vmcnt(0)
	v_sub_co_u32_e32 v8, vcc, v8, v30
	s_nop 1
	v_subb_co_u32_e32 v9, vcc, v9, v31, vcc
	v_lshlrev_b64 v[8:9], 5, v[8:9]
	v_lshl_add_u64 v[16:17], s[2:3], 0, v[8:9]
	global_load_dwordx4 v[8:11], v[16:17], off offset:16
	global_load_dwordx4 v[12:15], v[16:17], off
	global_load_dwordx2 v[18:19], v[52:53], off offset:32
	v_lshl_add_u64 v[52:53], v[52:53], 0, s[18:19]
	s_waitcnt vmcnt(2)
	v_mov_b32_e32 v64, v11
	s_waitcnt vmcnt(0)
	v_sub_co_u32_e32 v16, vcc, v18, v30
	s_nop 1
	v_subb_co_u32_e32 v17, vcc, v19, v31, vcc
	v_lshlrev_b64 v[16:17], 5, v[16:17]
	v_lshl_add_u64 v[62:63], s[2:3], 0, v[16:17]
	global_load_dwordx4 v[16:19], v[62:63], off offset:16
	global_load_dwordx4 v[20:23], v[62:63], off
	global_load_dwordx4 v[76:79], v[48:49], off offset:560
	global_load_dwordx4 v[80:83], v[48:49], off offset:544
	;; [unrolled: 1-line block ×4, first 2 shown]
	v_mov_b32_e32 v62, v15
	v_cmp_ge_i64_e32 vcc, v[50:51], v[36:37]
	s_or_b64 s[14:15], vcc, s[14:15]
	s_waitcnt vmcnt(5)
	v_mov_b32_e32 v72, v19
	s_waitcnt vmcnt(4)
	v_mov_b32_e32 v68, v23
	;; [unrolled: 2-line block ×3, first 2 shown]
	v_pk_fma_f32 v[40:41], v[12:13], v[54:55], v[40:41] op_sel_hi:[0,1,1]
	v_mov_b32_e32 v57, v88
	v_pk_fma_f32 v[40:41], v[12:13], v[56:57], v[40:41] op_sel:[1,0,0]
	v_mov_b32_e32 v54, v89
	v_pk_fma_f32 v[40:41], v[14:15], v[54:55], v[40:41] op_sel_hi:[0,1,1]
	v_mov_b32_e32 v57, v89
	v_pk_fma_f32 v[40:41], v[62:63], v[56:57], v[40:41] op_sel_hi:[0,1,1]
	v_mov_b32_e32 v54, v90
	v_pk_fma_f32 v[40:41], v[54:55], v[8:9], v[40:41] op_sel_hi:[1,0,1]
	v_mov_b32_e32 v57, v90
	v_pk_fma_f32 v[40:41], v[8:9], v[56:57], v[40:41] op_sel:[1,0,0]
	v_mov_b32_e32 v54, v91
	v_mov_b32_e32 v57, v91
	global_load_dwordx4 v[88:91], v[48:49], off offset:816
	global_load_dwordx4 v[92:95], v[48:49], off offset:800
	;; [unrolled: 1-line block ×4, first 2 shown]
	v_pk_fma_f32 v[40:41], v[10:11], v[54:55], v[40:41] op_sel_hi:[0,1,1]
	v_pk_fma_f32 v[40:41], v[64:65], v[56:57], v[40:41] op_sel_hi:[0,1,1]
	v_lshl_add_u64 v[48:49], v[48:49], 0, s[16:17]
	s_waitcnt vmcnt(0)
	v_mov_b32_e32 v54, v100
	v_pk_fma_f32 v[40:41], v[20:21], v[54:55], v[40:41] op_sel_hi:[0,1,1]
	v_mov_b32_e32 v57, v100
	v_pk_fma_f32 v[40:41], v[20:21], v[56:57], v[40:41] op_sel:[1,0,0]
	v_mov_b32_e32 v54, v101
	v_pk_fma_f32 v[40:41], v[22:23], v[54:55], v[40:41] op_sel_hi:[0,1,1]
	v_mov_b32_e32 v57, v101
	v_pk_fma_f32 v[40:41], v[68:69], v[56:57], v[40:41] op_sel_hi:[0,1,1]
	v_mov_b32_e32 v54, v102
	v_pk_fma_f32 v[40:41], v[16:17], v[54:55], v[40:41] op_sel_hi:[0,1,1]
	v_mov_b32_e32 v57, v102
	v_pk_fma_f32 v[40:41], v[16:17], v[56:57], v[40:41] op_sel:[1,0,0]
	v_mov_b32_e32 v54, v103
	v_pk_fma_f32 v[40:41], v[18:19], v[54:55], v[40:41] op_sel_hi:[0,1,1]
	v_mov_b32_e32 v57, v103
	v_mov_b32_e32 v54, v73
	v_pk_fma_f32 v[40:41], v[72:73], v[56:57], v[40:41] op_sel_hi:[0,1,1]
	v_pk_fma_f32 v[42:43], v[6:7], v[54:55], v[42:43] op_sel_hi:[0,1,1]
	v_mov_b32_e32 v57, v73
	v_pk_fma_f32 v[42:43], v[58:59], v[56:57], v[42:43] op_sel_hi:[0,1,1]
	v_mov_b32_e32 v54, v74
	v_pk_fma_f32 v[42:43], v[0:1], v[54:55], v[42:43] op_sel_hi:[0,1,1]
	v_mov_b32_e32 v57, v74
	v_pk_fma_f32 v[42:43], v[0:1], v[56:57], v[42:43] op_sel:[1,0,0]
	v_mov_b32_e32 v54, v75
	v_pk_fma_f32 v[42:43], v[2:3], v[54:55], v[42:43] op_sel_hi:[0,1,1]
	v_mov_b32_e32 v57, v75
	v_pk_fma_f32 v[42:43], v[60:61], v[56:57], v[42:43] op_sel_hi:[0,1,1]
	v_mov_b32_e32 v54, v84
	v_pk_fma_f32 v[42:43], v[12:13], v[54:55], v[42:43] op_sel_hi:[0,1,1]
	v_mov_b32_e32 v57, v84
	v_pk_fma_f32 v[42:43], v[12:13], v[56:57], v[42:43] op_sel:[1,0,0]
	v_mov_b32_e32 v54, v85
	v_pk_fma_f32 v[42:43], v[14:15], v[54:55], v[42:43] op_sel_hi:[0,1,1]
	v_mov_b32_e32 v57, v85
	v_pk_fma_f32 v[42:43], v[62:63], v[56:57], v[42:43] op_sel_hi:[0,1,1]
	v_mov_b32_e32 v54, v86
	v_pk_fma_f32 v[42:43], v[54:55], v[8:9], v[42:43] op_sel_hi:[1,0,1]
	v_mov_b32_e32 v57, v86
	v_pk_fma_f32 v[42:43], v[8:9], v[56:57], v[42:43] op_sel:[1,0,0]
	v_mov_b32_e32 v54, v87
	v_pk_fma_f32 v[42:43], v[10:11], v[54:55], v[42:43] op_sel_hi:[0,1,1]
	v_mov_b32_e32 v57, v87
	v_pk_fma_f32 v[42:43], v[64:65], v[56:57], v[42:43] op_sel_hi:[0,1,1]
	v_mov_b32_e32 v54, v96
	v_pk_fma_f32 v[42:43], v[20:21], v[54:55], v[42:43] op_sel_hi:[0,1,1]
	v_mov_b32_e32 v57, v96
	v_pk_fma_f32 v[42:43], v[20:21], v[56:57], v[42:43] op_sel:[1,0,0]
	v_mov_b32_e32 v54, v97
	v_pk_fma_f32 v[42:43], v[22:23], v[54:55], v[42:43] op_sel_hi:[0,1,1]
	v_mov_b32_e32 v57, v97
	v_pk_fma_f32 v[42:43], v[68:69], v[56:57], v[42:43] op_sel_hi:[0,1,1]
	v_mov_b32_e32 v54, v98
	v_pk_fma_f32 v[42:43], v[16:17], v[54:55], v[42:43] op_sel_hi:[0,1,1]
	v_mov_b32_e32 v57, v98
	v_pk_fma_f32 v[42:43], v[16:17], v[56:57], v[42:43] op_sel:[1,0,0]
	v_mov_b32_e32 v54, v99
	v_pk_fma_f32 v[42:43], v[18:19], v[54:55], v[42:43] op_sel_hi:[0,1,1]
	v_mov_b32_e32 v57, v99
	v_mov_b32_e32 v54, v69
	v_pk_fma_f32 v[42:43], v[72:73], v[56:57], v[42:43] op_sel_hi:[0,1,1]
	v_pk_fma_f32 v[44:45], v[6:7], v[54:55], v[44:45] op_sel_hi:[0,1,1]
	v_mov_b32_e32 v57, v69
	v_pk_fma_f32 v[44:45], v[58:59], v[56:57], v[44:45] op_sel_hi:[0,1,1]
	v_mov_b32_e32 v54, v70
	v_pk_fma_f32 v[44:45], v[0:1], v[54:55], v[44:45] op_sel_hi:[0,1,1]
	v_mov_b32_e32 v57, v70
	v_pk_fma_f32 v[44:45], v[0:1], v[56:57], v[44:45] op_sel:[1,0,0]
	v_mov_b32_e32 v54, v71
	v_pk_fma_f32 v[44:45], v[2:3], v[54:55], v[44:45] op_sel_hi:[0,1,1]
	v_mov_b32_e32 v57, v71
	v_pk_fma_f32 v[44:45], v[60:61], v[56:57], v[44:45] op_sel_hi:[0,1,1]
	v_mov_b32_e32 v54, v80
	v_pk_fma_f32 v[44:45], v[12:13], v[54:55], v[44:45] op_sel_hi:[0,1,1]
	v_mov_b32_e32 v57, v80
	v_pk_fma_f32 v[44:45], v[12:13], v[56:57], v[44:45] op_sel:[1,0,0]
	v_mov_b32_e32 v54, v81
	v_pk_fma_f32 v[44:45], v[14:15], v[54:55], v[44:45] op_sel_hi:[0,1,1]
	v_mov_b32_e32 v57, v81
	v_pk_fma_f32 v[44:45], v[62:63], v[56:57], v[44:45] op_sel_hi:[0,1,1]
	v_mov_b32_e32 v54, v82
	v_pk_fma_f32 v[44:45], v[54:55], v[8:9], v[44:45] op_sel_hi:[1,0,1]
	v_mov_b32_e32 v57, v82
	v_pk_fma_f32 v[44:45], v[8:9], v[56:57], v[44:45] op_sel:[1,0,0]
	v_mov_b32_e32 v54, v83
	v_pk_fma_f32 v[44:45], v[10:11], v[54:55], v[44:45] op_sel_hi:[0,1,1]
	v_mov_b32_e32 v57, v83
	v_pk_fma_f32 v[44:45], v[64:65], v[56:57], v[44:45] op_sel_hi:[0,1,1]
	;; [unrolled: 44-line block ×3, first 2 shown]
	v_mov_b32_e32 v54, v88
	v_pk_fma_f32 v[0:1], v[20:21], v[54:55], v[0:1] op_sel_hi:[0,1,1]
	v_mov_b32_e32 v57, v88
	v_pk_fma_f32 v[0:1], v[20:21], v[56:57], v[0:1] op_sel:[1,0,0]
	v_mov_b32_e32 v54, v89
	v_pk_fma_f32 v[0:1], v[22:23], v[54:55], v[0:1] op_sel_hi:[0,1,1]
	v_mov_b32_e32 v57, v89
	v_pk_fma_f32 v[0:1], v[68:69], v[56:57], v[0:1] op_sel_hi:[0,1,1]
	;; [unrolled: 2-line block ×3, first 2 shown]
	v_mov_b32_e32 v57, v90
	v_pk_fma_f32 v[0:1], v[16:17], v[56:57], v[0:1] op_sel:[1,0,0]
	v_mov_b32_e32 v54, v91
	v_pk_fma_f32 v[0:1], v[18:19], v[54:55], v[0:1] op_sel_hi:[0,1,1]
	v_mov_b32_e32 v57, v91
	v_pk_fma_f32 v[12:13], v[72:73], v[56:57], v[0:1] op_sel_hi:[0,1,1]
	s_andn2_b64 exec, exec, s[14:15]
	s_cbranch_execnz .LBB130_19
; %bb.20:
	s_or_b64 exec, exec, s[14:15]
.LBB130_21:
	s_or_b64 exec, exec, s[10:11]
	v_mov_b32_e32 v33, v41
.LBB130_22:
	s_or_b64 exec, exec, s[8:9]
	s_cbranch_execz .LBB130_24
	s_branch .LBB130_35
.LBB130_23:
                                        ; implicit-def: $vgpr40
                                        ; implicit-def: $vgpr43
                                        ; implicit-def: $vgpr45
                                        ; implicit-def: $vgpr13
.LBB130_24:
	v_mov_b32_e32 v33, 0
	v_mov_b32_e32 v40, 0
	v_mov_b32_e32 v43, 0
	v_mov_b32_e32 v42, 0
	v_mov_b32_e32 v45, 0
	v_mov_b32_e32 v44, 0
	v_mov_b32_e32 v13, 0
	v_mov_b32_e32 v12, 0
	s_and_saveexec_b64 s[8:9], s[4:5]
	s_cbranch_execz .LBB130_34
; %bb.25:
	v_or_b32_e32 v0, 4, v32
	v_sub_co_u32_e32 v0, vcc, v0, v30
	v_not_b32_e32 v3, v47
	s_nop 0
	v_subb_co_u32_e32 v1, vcc, 0, v31, vcc
	v_lshl_add_u64 v[0:1], v[0:1], 0, v[46:47]
	v_cmp_gt_i64_e32 vcc, v[0:1], v[36:37]
	v_not_b32_e32 v2, v46
	v_mov_b32_e32 v13, 0
	v_cndmask_b32_e32 v1, v37, v1, vcc
	v_cndmask_b32_e32 v0, v36, v0, vcc
	v_sub_co_u32_e32 v4, vcc, v30, v32
	v_mov_b32_e32 v44, v13
	s_nop 0
	v_subbrev_co_u32_e32 v5, vcc, 0, v31, vcc
	v_lshl_add_u64 v[2:3], v[4:5], 0, v[2:3]
	v_lshl_add_u64 v[0:1], v[2:3], 0, v[0:1]
	v_and_b32_e32 v12, 12, v0
	v_cmp_ne_u64_e32 vcc, 12, v[12:13]
	v_mov_b32_e32 v12, v13
	v_mov_b32_e32 v45, v13
	;; [unrolled: 1-line block ×6, first 2 shown]
	s_and_saveexec_b64 s[4:5], vcc
	s_cbranch_execz .LBB130_29
; %bb.26:
	v_lshrrev_b32_e32 v2, 2, v0
	v_add_u32_e32 v2, 1, v2
	v_and_b32_e32 v2, 3, v2
	v_sub_co_u32_e32 v6, vcc, 0, v2
	v_mov_b32_e32 v3, 0
	s_nop 0
	v_subb_co_u32_e64 v7, s[14:15], 0, 0, vcc
	v_lshl_add_u64 v[4:5], v[34:35], 3, s[12:13]
	s_mov_b64 s[10:11], 0
	s_mov_b64 s[14:15], 0x100
	v_bfrev_b32_e32 v8, 1
	v_mov_b32_e32 v12, v3
	v_mov_b32_e32 v13, v3
	;; [unrolled: 1-line block ×8, first 2 shown]
.LBB130_27:                             ; =>This Inner Loop Header: Depth=1
	global_load_dwordx2 v[10:11], v[4:5], off
	global_load_dwordx4 v[48:51], v[38:39], off offset:32
	global_load_dwordx4 v[52:55], v[38:39], off offset:16
	global_load_dwordx4 v[56:59], v[38:39], off
	v_lshl_add_u64 v[6:7], v[6:7], 0, 1
	v_lshl_add_u64 v[34:35], v[34:35], 0, 4
	;; [unrolled: 1-line block ×3, first 2 shown]
	s_waitcnt vmcnt(3)
	v_sub_co_u32_e32 v10, vcc, v10, v30
	s_nop 1
	v_subb_co_u32_e32 v11, vcc, v11, v31, vcc
	v_lshlrev_b64 v[10:11], 5, v[10:11]
	v_lshl_add_u64 v[10:11], s[2:3], 0, v[10:11]
	global_load_dwordx4 v[14:17], v[10:11], off
	global_load_dwordx4 v[18:21], v[10:11], off offset:16
	global_load_dwordx4 v[60:63], v[38:39], off offset:48
	s_waitcnt vmcnt(3)
	v_mov_b32_e32 v2, v56
	v_mov_b32_e32 v9, v56
	v_cmp_eq_u64_e32 vcc, 0, v[6:7]
	v_lshl_add_u64 v[38:39], v[38:39], 0, s[14:15]
	s_or_b64 s[10:11], vcc, s[10:11]
	s_waitcnt vmcnt(2)
	v_pk_fma_f32 v[10:11], v[14:15], v[2:3], v[40:41] op_sel_hi:[0,1,1]
	v_mov_b32_e32 v2, v52
	v_pk_fma_f32 v[10:11], v[14:15], v[8:9], v[10:11] op_sel:[1,0,0]
	v_mov_b32_e32 v22, v17
	v_mov_b32_e32 v9, v52
	v_pk_fma_f32 v[10:11], v[16:17], v[2:3], v[10:11] op_sel_hi:[0,1,1]
	v_mov_b32_e32 v2, v48
	v_pk_fma_f32 v[10:11], v[22:23], v[8:9], v[10:11] op_sel_hi:[0,1,1]
	v_mov_b32_e32 v9, v48
	s_waitcnt vmcnt(1)
	v_pk_fma_f32 v[10:11], v[18:19], v[2:3], v[10:11] op_sel_hi:[0,1,1]
	s_waitcnt vmcnt(0)
	v_mov_b32_e32 v2, v60
	v_pk_fma_f32 v[10:11], v[18:19], v[8:9], v[10:11] op_sel:[1,0,0]
	v_mov_b32_e32 v46, v21
	v_mov_b32_e32 v9, v60
	v_pk_fma_f32 v[10:11], v[20:21], v[2:3], v[10:11] op_sel_hi:[0,1,1]
	v_mov_b32_e32 v2, v57
	v_pk_fma_f32 v[40:41], v[46:47], v[8:9], v[10:11] op_sel_hi:[0,1,1]
	v_pk_fma_f32 v[10:11], v[14:15], v[2:3], v[42:43] op_sel_hi:[0,1,1]
	v_mov_b32_e32 v9, v57
	v_mov_b32_e32 v2, v53
	v_pk_fma_f32 v[10:11], v[14:15], v[8:9], v[10:11] op_sel:[1,0,0]
	v_mov_b32_e32 v9, v53
	v_pk_fma_f32 v[10:11], v[16:17], v[2:3], v[10:11] op_sel_hi:[0,1,1]
	v_mov_b32_e32 v2, v49
	v_pk_fma_f32 v[10:11], v[22:23], v[8:9], v[10:11] op_sel_hi:[0,1,1]
	v_mov_b32_e32 v9, v49
	v_pk_fma_f32 v[10:11], v[18:19], v[2:3], v[10:11] op_sel_hi:[0,1,1]
	v_mov_b32_e32 v2, v61
	v_pk_fma_f32 v[10:11], v[18:19], v[8:9], v[10:11] op_sel:[1,0,0]
	v_mov_b32_e32 v9, v61
	v_pk_fma_f32 v[10:11], v[20:21], v[2:3], v[10:11] op_sel_hi:[0,1,1]
	v_mov_b32_e32 v2, v58
	v_pk_fma_f32 v[42:43], v[46:47], v[8:9], v[10:11] op_sel_hi:[0,1,1]
	v_pk_fma_f32 v[10:11], v[14:15], v[2:3], v[44:45] op_sel_hi:[0,1,1]
	v_mov_b32_e32 v9, v58
	v_mov_b32_e32 v2, v54
	v_pk_fma_f32 v[10:11], v[14:15], v[8:9], v[10:11] op_sel:[1,0,0]
	v_mov_b32_e32 v9, v54
	v_pk_fma_f32 v[10:11], v[16:17], v[2:3], v[10:11] op_sel_hi:[0,1,1]
	v_mov_b32_e32 v2, v50
	v_pk_fma_f32 v[10:11], v[22:23], v[8:9], v[10:11] op_sel_hi:[0,1,1]
	v_mov_b32_e32 v9, v50
	v_pk_fma_f32 v[10:11], v[18:19], v[2:3], v[10:11] op_sel_hi:[0,1,1]
	v_mov_b32_e32 v2, v62
	v_pk_fma_f32 v[10:11], v[18:19], v[8:9], v[10:11] op_sel:[1,0,0]
	v_mov_b32_e32 v9, v62
	v_pk_fma_f32 v[10:11], v[20:21], v[2:3], v[10:11] op_sel_hi:[0,1,1]
	v_mov_b32_e32 v2, v59
	v_pk_fma_f32 v[44:45], v[46:47], v[8:9], v[10:11] op_sel_hi:[0,1,1]
	v_pk_fma_f32 v[10:11], v[14:15], v[2:3], v[12:13] op_sel_hi:[0,1,1]
	v_mov_b32_e32 v9, v59
	v_mov_b32_e32 v2, v55
	v_pk_fma_f32 v[10:11], v[14:15], v[8:9], v[10:11] op_sel:[1,0,0]
	v_mov_b32_e32 v9, v55
	v_pk_fma_f32 v[10:11], v[16:17], v[2:3], v[10:11] op_sel_hi:[0,1,1]
	v_mov_b32_e32 v2, v51
	v_pk_fma_f32 v[10:11], v[22:23], v[8:9], v[10:11] op_sel_hi:[0,1,1]
	v_mov_b32_e32 v9, v51
	v_pk_fma_f32 v[10:11], v[18:19], v[2:3], v[10:11] op_sel_hi:[0,1,1]
	v_mov_b32_e32 v2, v63
	v_pk_fma_f32 v[10:11], v[18:19], v[8:9], v[10:11] op_sel:[1,0,0]
	v_mov_b32_e32 v9, v63
	v_pk_fma_f32 v[10:11], v[20:21], v[2:3], v[10:11] op_sel_hi:[0,1,1]
	v_pk_fma_f32 v[12:13], v[46:47], v[8:9], v[10:11] op_sel_hi:[0,1,1]
	s_andn2_b64 exec, exec, s[10:11]
	s_cbranch_execnz .LBB130_27
; %bb.28:
	s_or_b64 exec, exec, s[10:11]
.LBB130_29:
	s_or_b64 exec, exec, s[4:5]
	v_cmp_lt_u64_e32 vcc, 11, v[0:1]
	s_and_saveexec_b64 s[4:5], vcc
	s_cbranch_execz .LBB130_33
; %bb.30:
	v_lshl_add_u64 v[0:1], v[34:35], 3, s[12:13]
	v_lshl_add_u64 v[14:15], v[0:1], 0, 64
	s_mov_b64 s[10:11], 0
	v_mov_b32_e32 v17, 0
	s_mov_b64 s[12:13], 0x80
	s_mov_b64 s[14:15], 0x400
	v_bfrev_b32_e32 v18, 1
.LBB130_31:                             ; =>This Inner Loop Header: Depth=1
	global_load_dwordx2 v[0:1], v[14:15], off offset:-64
	global_load_dwordx4 v[52:55], v[38:39], off offset:48
	global_load_dwordx4 v[56:59], v[38:39], off offset:32
	;; [unrolled: 1-line block ×3, first 2 shown]
	global_load_dwordx4 v[64:67], v[38:39], off
	v_lshl_add_u64 v[34:35], v[34:35], 0, 16
	s_waitcnt vmcnt(4)
	v_sub_co_u32_e32 v0, vcc, v0, v30
	s_nop 1
	v_subb_co_u32_e32 v1, vcc, v1, v31, vcc
	v_lshlrev_b64 v[0:1], 5, v[0:1]
	v_lshl_add_u64 v[4:5], s[2:3], 0, v[0:1]
	global_load_dwordx4 v[0:3], v[4:5], off offset:16
	global_load_dwordx4 v[46:49], v[4:5], off
	global_load_dwordx2 v[6:7], v[14:15], off offset:-32
	global_load_dwordx4 v[68:71], v[38:39], off offset:304
	global_load_dwordx4 v[72:75], v[38:39], off offset:288
	;; [unrolled: 1-line block ×4, first 2 shown]
	s_waitcnt vmcnt(7)
	v_mov_b32_e32 v16, v64
	v_mov_b32_e32 v19, v64
	s_waitcnt vmcnt(6)
	v_mov_b32_e32 v50, v3
	s_waitcnt vmcnt(5)
	;; [unrolled: 2-line block ×3, first 2 shown]
	v_sub_co_u32_e32 v4, vcc, v6, v30
	s_nop 1
	v_subb_co_u32_e32 v5, vcc, v7, v31, vcc
	v_lshlrev_b64 v[4:5], 5, v[4:5]
	v_lshl_add_u64 v[20:21], s[2:3], 0, v[4:5]
	global_load_dwordx4 v[4:7], v[20:21], off offset:16
	global_load_dwordx4 v[8:11], v[20:21], off
	v_pk_fma_f32 v[20:21], v[46:47], v[16:17], v[40:41] op_sel_hi:[0,1,1]
	v_pk_fma_f32 v[20:21], v[46:47], v[18:19], v[20:21] op_sel:[1,0,0]
	v_mov_b32_e32 v16, v60
	v_pk_fma_f32 v[20:21], v[48:49], v[16:17], v[20:21] op_sel_hi:[0,1,1]
	v_mov_b32_e32 v19, v60
	v_pk_fma_f32 v[20:21], v[22:23], v[18:19], v[20:21] op_sel_hi:[0,1,1]
	;; [unrolled: 2-line block ×3, first 2 shown]
	v_mov_b32_e32 v19, v56
	v_pk_fma_f32 v[20:21], v[0:1], v[18:19], v[20:21] op_sel:[1,0,0]
	v_mov_b32_e32 v16, v52
	v_pk_fma_f32 v[20:21], v[2:3], v[16:17], v[20:21] op_sel_hi:[0,1,1]
	v_mov_b32_e32 v19, v52
	v_pk_fma_f32 v[20:21], v[50:51], v[18:19], v[20:21] op_sel_hi:[0,1,1]
	s_waitcnt vmcnt(2)
	v_mov_b32_e32 v16, v80
	v_mov_b32_e32 v19, v80
	s_waitcnt vmcnt(0)
	v_pk_fma_f32 v[20:21], v[8:9], v[16:17], v[20:21] op_sel_hi:[0,1,1]
	v_mov_b32_e32 v16, v65
	v_pk_fma_f32 v[20:21], v[8:9], v[18:19], v[20:21] op_sel:[1,0,0]
	v_pk_fma_f32 v[40:41], v[46:47], v[16:17], v[42:43] op_sel_hi:[0,1,1]
	v_mov_b32_e32 v19, v65
	v_pk_fma_f32 v[40:41], v[46:47], v[18:19], v[40:41] op_sel:[1,0,0]
	v_mov_b32_e32 v16, v61
	v_pk_fma_f32 v[40:41], v[48:49], v[16:17], v[40:41] op_sel_hi:[0,1,1]
	v_mov_b32_e32 v19, v61
	v_pk_fma_f32 v[40:41], v[22:23], v[18:19], v[40:41] op_sel_hi:[0,1,1]
	v_mov_b32_e32 v16, v57
	v_pk_fma_f32 v[40:41], v[0:1], v[16:17], v[40:41] op_sel_hi:[0,1,1]
	v_mov_b32_e32 v19, v57
	v_pk_fma_f32 v[40:41], v[0:1], v[18:19], v[40:41] op_sel:[1,0,0]
	v_mov_b32_e32 v16, v53
	v_pk_fma_f32 v[40:41], v[2:3], v[16:17], v[40:41] op_sel_hi:[0,1,1]
	v_mov_b32_e32 v19, v53
	v_pk_fma_f32 v[40:41], v[50:51], v[18:19], v[40:41] op_sel_hi:[0,1,1]
	v_mov_b32_e32 v16, v81
	v_pk_fma_f32 v[40:41], v[8:9], v[16:17], v[40:41] op_sel_hi:[0,1,1]
	v_mov_b32_e32 v19, v81
	v_mov_b32_e32 v16, v66
	v_pk_fma_f32 v[42:43], v[8:9], v[18:19], v[40:41] op_sel:[1,0,0]
	v_pk_fma_f32 v[40:41], v[46:47], v[16:17], v[44:45] op_sel_hi:[0,1,1]
	v_mov_b32_e32 v19, v66
	v_pk_fma_f32 v[40:41], v[46:47], v[18:19], v[40:41] op_sel:[1,0,0]
	v_mov_b32_e32 v16, v62
	v_pk_fma_f32 v[40:41], v[48:49], v[16:17], v[40:41] op_sel_hi:[0,1,1]
	v_mov_b32_e32 v19, v62
	v_pk_fma_f32 v[40:41], v[22:23], v[18:19], v[40:41] op_sel_hi:[0,1,1]
	v_mov_b32_e32 v16, v58
	v_pk_fma_f32 v[40:41], v[0:1], v[16:17], v[40:41] op_sel_hi:[0,1,1]
	v_mov_b32_e32 v19, v58
	v_pk_fma_f32 v[40:41], v[0:1], v[18:19], v[40:41] op_sel:[1,0,0]
	v_mov_b32_e32 v16, v54
	v_pk_fma_f32 v[40:41], v[2:3], v[16:17], v[40:41] op_sel_hi:[0,1,1]
	v_mov_b32_e32 v19, v54
	v_pk_fma_f32 v[40:41], v[50:51], v[18:19], v[40:41] op_sel_hi:[0,1,1]
	v_mov_b32_e32 v16, v82
	v_pk_fma_f32 v[40:41], v[8:9], v[16:17], v[40:41] op_sel_hi:[0,1,1]
	v_mov_b32_e32 v19, v82
	;; [unrolled: 20-line block ×3, first 2 shown]
	v_pk_fma_f32 v[22:23], v[8:9], v[18:19], v[0:1] op_sel:[1,0,0]
	global_load_dwordx2 v[0:1], v[14:15], off
	global_load_dwordx4 v[54:57], v[38:39], off offset:560
	global_load_dwordx4 v[58:61], v[38:39], off offset:544
	;; [unrolled: 1-line block ×4, first 2 shown]
	v_mov_b32_e32 v16, v76
	v_mov_b32_e32 v48, v11
	;; [unrolled: 1-line block ×4, first 2 shown]
	s_waitcnt vmcnt(4)
	v_sub_co_u32_e32 v0, vcc, v0, v30
	s_nop 1
	v_subb_co_u32_e32 v1, vcc, v1, v31, vcc
	v_lshlrev_b64 v[0:1], 5, v[0:1]
	v_lshl_add_u64 v[8:9], s[2:3], 0, v[0:1]
	global_load_dwordx4 v[0:3], v[8:9], off offset:16
	global_load_dwordx4 v[44:47], v[8:9], off
	v_pk_fma_f32 v[8:9], v[10:11], v[16:17], v[20:21] op_sel_hi:[0,1,1]
	v_pk_fma_f32 v[8:9], v[48:49], v[18:19], v[8:9] op_sel_hi:[0,1,1]
	v_mov_b32_e32 v16, v72
	v_pk_fma_f32 v[8:9], v[4:5], v[16:17], v[8:9] op_sel_hi:[0,1,1]
	v_mov_b32_e32 v19, v72
	v_pk_fma_f32 v[8:9], v[4:5], v[18:19], v[8:9] op_sel:[1,0,0]
	v_mov_b32_e32 v16, v68
	v_pk_fma_f32 v[8:9], v[6:7], v[16:17], v[8:9] op_sel_hi:[0,1,1]
	v_mov_b32_e32 v19, v68
	v_pk_fma_f32 v[8:9], v[50:51], v[18:19], v[8:9] op_sel_hi:[0,1,1]
	s_waitcnt vmcnt(2)
	v_mov_b32_e32 v16, v80
	v_mov_b32_e32 v19, v80
	s_waitcnt vmcnt(0)
	v_pk_fma_f32 v[8:9], v[44:45], v[16:17], v[8:9] op_sel_hi:[0,1,1]
	v_pk_fma_f32 v[8:9], v[44:45], v[18:19], v[8:9] op_sel:[1,0,0]
	v_mov_b32_e32 v16, v62
	v_pk_fma_f32 v[8:9], v[46:47], v[16:17], v[8:9] op_sel_hi:[0,1,1]
	v_mov_b32_e32 v52, v47
	v_mov_b32_e32 v19, v62
	v_pk_fma_f32 v[8:9], v[52:53], v[18:19], v[8:9] op_sel_hi:[0,1,1]
	v_mov_b32_e32 v16, v58
	v_pk_fma_f32 v[20:21], v[0:1], v[16:17], v[8:9] op_sel_hi:[0,1,1]
	;; [unrolled: 2-line block ×5, first 2 shown]
	v_mov_b32_e32 v19, v73
	v_pk_fma_f32 v[8:9], v[4:5], v[18:19], v[8:9] op_sel:[1,0,0]
	v_mov_b32_e32 v16, v69
	v_pk_fma_f32 v[8:9], v[6:7], v[16:17], v[8:9] op_sel_hi:[0,1,1]
	v_mov_b32_e32 v19, v69
	v_pk_fma_f32 v[8:9], v[50:51], v[18:19], v[8:9] op_sel_hi:[0,1,1]
	;; [unrolled: 2-line block ×3, first 2 shown]
	v_mov_b32_e32 v19, v81
	v_pk_fma_f32 v[8:9], v[44:45], v[18:19], v[8:9] op_sel:[1,0,0]
	v_mov_b32_e32 v16, v63
	v_pk_fma_f32 v[8:9], v[46:47], v[16:17], v[8:9] op_sel_hi:[0,1,1]
	v_mov_b32_e32 v19, v63
	v_pk_fma_f32 v[8:9], v[52:53], v[18:19], v[8:9] op_sel_hi:[0,1,1]
	;; [unrolled: 2-line block ×6, first 2 shown]
	v_mov_b32_e32 v19, v74
	v_pk_fma_f32 v[12:13], v[4:5], v[18:19], v[12:13] op_sel:[1,0,0]
	v_mov_b32_e32 v16, v70
	v_pk_fma_f32 v[12:13], v[6:7], v[16:17], v[12:13] op_sel_hi:[0,1,1]
	v_mov_b32_e32 v19, v70
	v_pk_fma_f32 v[12:13], v[50:51], v[18:19], v[12:13] op_sel_hi:[0,1,1]
	;; [unrolled: 2-line block ×3, first 2 shown]
	v_mov_b32_e32 v19, v82
	v_pk_fma_f32 v[12:13], v[44:45], v[18:19], v[12:13] op_sel:[1,0,0]
	v_mov_b32_e32 v16, v64
	v_pk_fma_f32 v[12:13], v[46:47], v[16:17], v[12:13] op_sel_hi:[0,1,1]
	v_mov_b32_e32 v19, v64
	v_pk_fma_f32 v[12:13], v[52:53], v[18:19], v[12:13] op_sel_hi:[0,1,1]
	v_mov_b32_e32 v16, v60
	v_pk_fma_f32 v[12:13], v[0:1], v[16:17], v[12:13] op_sel_hi:[0,1,1]
	v_mov_b32_e32 v16, v79
	v_pk_fma_f32 v[10:11], v[10:11], v[16:17], v[22:23] op_sel_hi:[0,1,1]
	v_mov_b32_e32 v19, v79
	v_pk_fma_f32 v[10:11], v[48:49], v[18:19], v[10:11] op_sel_hi:[0,1,1]
	v_mov_b32_e32 v16, v75
	v_pk_fma_f32 v[10:11], v[4:5], v[16:17], v[10:11] op_sel_hi:[0,1,1]
	v_mov_b32_e32 v19, v75
	v_pk_fma_f32 v[4:5], v[4:5], v[18:19], v[10:11] op_sel:[1,0,0]
	v_mov_b32_e32 v16, v71
	v_pk_fma_f32 v[4:5], v[6:7], v[16:17], v[4:5] op_sel_hi:[0,1,1]
	global_load_dwordx2 v[6:7], v[14:15], off offset:32
	v_mov_b32_e32 v19, v71
	v_pk_fma_f32 v[4:5], v[50:51], v[18:19], v[4:5] op_sel_hi:[0,1,1]
	v_mov_b32_e32 v16, v83
	v_pk_fma_f32 v[4:5], v[44:45], v[16:17], v[4:5] op_sel_hi:[0,1,1]
	v_mov_b32_e32 v19, v83
	v_pk_fma_f32 v[4:5], v[44:45], v[18:19], v[4:5] op_sel:[1,0,0]
	v_mov_b32_e32 v16, v65
	v_pk_fma_f32 v[4:5], v[46:47], v[16:17], v[4:5] op_sel_hi:[0,1,1]
	v_mov_b32_e32 v19, v65
	global_load_dwordx4 v[62:65], v[38:39], off offset:816
	global_load_dwordx4 v[66:69], v[38:39], off offset:800
	;; [unrolled: 1-line block ×4, first 2 shown]
	v_pk_fma_f32 v[4:5], v[52:53], v[18:19], v[4:5] op_sel_hi:[0,1,1]
	v_mov_b32_e32 v16, v61
	v_mov_b32_e32 v19, v58
	v_pk_fma_f32 v[4:5], v[0:1], v[16:17], v[4:5] op_sel_hi:[0,1,1]
	v_mov_b32_e32 v16, v54
	v_mov_b32_e32 v10, v3
	v_lshl_add_u64 v[14:15], v[14:15], 0, s[12:13]
	v_lshl_add_u64 v[38:39], v[38:39], 0, s[14:15]
	s_waitcnt vmcnt(4)
	v_sub_co_u32_e32 v6, vcc, v6, v30
	s_nop 1
	v_subb_co_u32_e32 v7, vcc, v7, v31, vcc
	v_lshlrev_b64 v[6:7], 5, v[6:7]
	v_lshl_add_u64 v[6:7], s[2:3], 0, v[6:7]
	global_load_dwordx4 v[46:49], v[6:7], off offset:16
	global_load_dwordx4 v[50:53], v[6:7], off
	v_pk_fma_f32 v[6:7], v[0:1], v[18:19], v[20:21] op_sel:[1,0,0]
	v_mov_b32_e32 v19, v54
	v_pk_fma_f32 v[6:7], v[2:3], v[16:17], v[6:7] op_sel_hi:[0,1,1]
	v_pk_fma_f32 v[6:7], v[10:11], v[18:19], v[6:7] op_sel_hi:[0,1,1]
	s_waitcnt vmcnt(2)
	v_mov_b32_e32 v16, v74
	v_mov_b32_e32 v19, v74
	v_cmp_ge_i64_e32 vcc, v[34:35], v[36:37]
	s_or_b64 s[10:11], vcc, s[10:11]
	s_waitcnt vmcnt(1)
	v_mov_b32_e32 v22, v49
	s_waitcnt vmcnt(0)
	v_pk_fma_f32 v[6:7], v[50:51], v[16:17], v[6:7] op_sel_hi:[0,1,1]
	v_pk_fma_f32 v[6:7], v[50:51], v[18:19], v[6:7] op_sel:[1,0,0]
	v_mov_b32_e32 v16, v70
	v_pk_fma_f32 v[6:7], v[52:53], v[16:17], v[6:7] op_sel_hi:[0,1,1]
	v_mov_b32_e32 v20, v53
	v_mov_b32_e32 v19, v70
	v_pk_fma_f32 v[6:7], v[20:21], v[18:19], v[6:7] op_sel_hi:[0,1,1]
	v_mov_b32_e32 v16, v66
	v_pk_fma_f32 v[6:7], v[46:47], v[16:17], v[6:7] op_sel_hi:[0,1,1]
	v_mov_b32_e32 v19, v66
	v_pk_fma_f32 v[6:7], v[46:47], v[18:19], v[6:7] op_sel:[1,0,0]
	v_mov_b32_e32 v16, v62
	v_pk_fma_f32 v[6:7], v[48:49], v[16:17], v[6:7] op_sel_hi:[0,1,1]
	v_mov_b32_e32 v19, v62
	v_pk_fma_f32 v[40:41], v[22:23], v[18:19], v[6:7] op_sel_hi:[0,1,1]
	v_mov_b32_e32 v19, v59
	v_pk_fma_f32 v[6:7], v[0:1], v[18:19], v[8:9] op_sel:[1,0,0]
	v_mov_b32_e32 v16, v55
	v_pk_fma_f32 v[6:7], v[2:3], v[16:17], v[6:7] op_sel_hi:[0,1,1]
	v_mov_b32_e32 v19, v55
	v_pk_fma_f32 v[6:7], v[10:11], v[18:19], v[6:7] op_sel_hi:[0,1,1]
	v_mov_b32_e32 v16, v75
	v_pk_fma_f32 v[6:7], v[50:51], v[16:17], v[6:7] op_sel_hi:[0,1,1]
	v_mov_b32_e32 v19, v75
	v_pk_fma_f32 v[6:7], v[50:51], v[18:19], v[6:7] op_sel:[1,0,0]
	v_mov_b32_e32 v16, v71
	v_pk_fma_f32 v[6:7], v[52:53], v[16:17], v[6:7] op_sel_hi:[0,1,1]
	v_mov_b32_e32 v19, v71
	v_pk_fma_f32 v[6:7], v[20:21], v[18:19], v[6:7] op_sel_hi:[0,1,1]
	v_mov_b32_e32 v16, v67
	v_pk_fma_f32 v[6:7], v[46:47], v[16:17], v[6:7] op_sel_hi:[0,1,1]
	v_mov_b32_e32 v19, v67
	v_pk_fma_f32 v[6:7], v[46:47], v[18:19], v[6:7] op_sel:[1,0,0]
	v_mov_b32_e32 v16, v63
	v_pk_fma_f32 v[6:7], v[48:49], v[16:17], v[6:7] op_sel_hi:[0,1,1]
	v_mov_b32_e32 v19, v63
	v_pk_fma_f32 v[42:43], v[22:23], v[18:19], v[6:7] op_sel_hi:[0,1,1]
	v_mov_b32_e32 v19, v60
	v_pk_fma_f32 v[6:7], v[0:1], v[18:19], v[12:13] op_sel:[1,0,0]
	v_mov_b32_e32 v16, v56
	v_pk_fma_f32 v[6:7], v[2:3], v[16:17], v[6:7] op_sel_hi:[0,1,1]
	v_mov_b32_e32 v19, v56
	v_pk_fma_f32 v[6:7], v[10:11], v[18:19], v[6:7] op_sel_hi:[0,1,1]
	v_mov_b32_e32 v16, v76
	v_pk_fma_f32 v[6:7], v[50:51], v[16:17], v[6:7] op_sel_hi:[0,1,1]
	v_mov_b32_e32 v19, v76
	v_pk_fma_f32 v[6:7], v[50:51], v[18:19], v[6:7] op_sel:[1,0,0]
	v_mov_b32_e32 v16, v72
	v_pk_fma_f32 v[6:7], v[52:53], v[16:17], v[6:7] op_sel_hi:[0,1,1]
	;; [unrolled: 22-line block ×3, first 2 shown]
	v_mov_b32_e32 v19, v73
	v_pk_fma_f32 v[0:1], v[20:21], v[18:19], v[0:1] op_sel_hi:[0,1,1]
	v_mov_b32_e32 v16, v69
	v_pk_fma_f32 v[0:1], v[46:47], v[16:17], v[0:1] op_sel_hi:[0,1,1]
	v_mov_b32_e32 v19, v69
	v_pk_fma_f32 v[0:1], v[46:47], v[18:19], v[0:1] op_sel:[1,0,0]
	v_mov_b32_e32 v16, v65
	v_pk_fma_f32 v[0:1], v[48:49], v[16:17], v[0:1] op_sel_hi:[0,1,1]
	v_mov_b32_e32 v19, v65
	v_pk_fma_f32 v[12:13], v[22:23], v[18:19], v[0:1] op_sel_hi:[0,1,1]
	s_andn2_b64 exec, exec, s[10:11]
	s_cbranch_execnz .LBB130_31
; %bb.32:
	s_or_b64 exec, exec, s[10:11]
.LBB130_33:
	s_or_b64 exec, exec, s[4:5]
	v_mov_b32_e32 v33, v41
.LBB130_34:
	s_or_b64 exec, exec, s[8:9]
.LBB130_35:
	v_mov_b32_dpp v6, v43 row_shr:1 row_mask:0xf bank_mask:0xf
	v_add_f32_e32 v7, v43, v6
	v_mov_b32_dpp v0, v40 row_shr:1 row_mask:0xf bank_mask:0xf
	v_mov_b32_dpp v6, v44 row_shr:1 row_mask:0xf bank_mask:0xf
	v_add_f32_e32 v9, v44, v6
	v_mov_b32_dpp v2, v33 row_shr:1 row_mask:0xf bank_mask:0xf
	;; [unrolled: 3-line block ×3, first 2 shown]
	v_mov_b32_dpp v6, v12 row_shr:1 row_mask:0xf bank_mask:0xf
	v_add_f32_e32 v16, v12, v6
	v_add_f32_e32 v0, v40, v0
	v_mov_b32_dpp v6, v13 row_shr:1 row_mask:0xf bank_mask:0xf
	v_add_f32_e32 v2, v33, v2
	v_add_f32_e32 v4, v42, v4
	;; [unrolled: 1-line block ×3, first 2 shown]
	v_mov_b32_dpp v1, v0 row_shr:2 row_mask:0xf bank_mask:0xf
	v_mov_b32_dpp v3, v2 row_shr:2 row_mask:0xf bank_mask:0xf
	;; [unrolled: 1-line block ×8, first 2 shown]
	v_cmp_eq_u32_e32 vcc, 3, v32
	s_and_b64 exec, exec, vcc
	s_cbranch_execz .LBB130_6
; %bb.36:
	s_load_dwordx2 s[0:1], s[0:1], 0x58
	v_cmp_eq_f32_e32 vcc, 0, v26
	s_xor_b64 s[2:3], s[6:7], -1
	v_add_f32_e32 v6, v0, v1
	v_add_f32_e32 v14, v2, v3
	;; [unrolled: 1-line block ×8, first 2 shown]
	s_and_b64 s[2:3], vcc, s[2:3]
	v_lshlrev_b64 v[16:17], 5, v[28:29]
	s_and_saveexec_b64 s[4:5], s[2:3]
	s_xor_b64 s[2:3], exec, s[4:5]
	s_cbranch_execz .LBB130_38
; %bb.37:
	v_xor_b32_e32 v18, 0x80000000, v25
	v_mov_b32_e32 v19, v24
	v_pk_mul_f32 v[14:15], v[14:15], v[18:19] op_sel_hi:[0,1]
	v_pk_fma_f32 v[14:15], v[24:25], v[6:7], v[14:15] op_sel_hi:[1,0,1]
	v_pk_mul_f32 v[6:7], v[12:13], v[18:19] op_sel_hi:[0,1]
	s_waitcnt lgkmcnt(0)
	v_lshl_add_u64 v[20:21], s[0:1], 0, v[16:17]
	v_pk_fma_f32 v[16:17], v[24:25], v[4:5], v[6:7] op_sel_hi:[1,0,1]
	v_pk_mul_f32 v[4:5], v[10:11], v[18:19] op_sel_hi:[0,1]
	v_pk_fma_f32 v[2:3], v[24:25], v[2:3], v[4:5] op_sel_hi:[1,0,1]
	v_pk_mul_f32 v[4:5], v[8:9], v[18:19] op_sel_hi:[0,1]
	v_pk_fma_f32 v[4:5], v[24:25], v[0:1], v[4:5] op_sel_hi:[1,0,1]
	global_store_dwordx4 v[20:21], v[14:17], off
	global_store_dwordx4 v[20:21], v[2:5], off offset:16
                                        ; implicit-def: $vgpr6
                                        ; implicit-def: $vgpr14
                                        ; implicit-def: $vgpr4
                                        ; implicit-def: $vgpr12
                                        ; implicit-def: $vgpr2
                                        ; implicit-def: $vgpr10
                                        ; implicit-def: $vgpr0
                                        ; implicit-def: $vgpr8
                                        ; implicit-def: $vgpr24_vgpr25
                                        ; implicit-def: $vgpr26_vgpr27
                                        ; implicit-def: $vgpr16_vgpr17
.LBB130_38:
	s_andn2_saveexec_b64 s[2:3], s[2:3]
	s_cbranch_execz .LBB130_6
; %bb.39:
	s_waitcnt lgkmcnt(0)
	v_lshl_add_u64 v[28:29], s[0:1], 0, v[16:17]
	global_load_dwordx4 v[16:19], v[28:29], off
	global_load_dwordx4 v[20:23], v[28:29], off offset:16
	v_xor_b32_e32 v30, 0x80000000, v25
	v_mov_b32_e32 v31, v24
	v_pk_mul_f32 v[14:15], v[14:15], v[30:31] op_sel_hi:[0,1]
	v_pk_mul_f32 v[12:13], v[12:13], v[30:31] op_sel_hi:[0,1]
	;; [unrolled: 1-line block ×4, first 2 shown]
	v_pk_fma_f32 v[6:7], v[24:25], v[6:7], v[14:15] op_sel_hi:[1,0,1]
	v_pk_fma_f32 v[4:5], v[24:25], v[4:5], v[12:13] op_sel_hi:[1,0,1]
	v_xor_b32_e32 v32, 0x80000000, v27
	v_mov_b32_e32 v33, v26
	v_pk_fma_f32 v[2:3], v[24:25], v[2:3], v[10:11] op_sel_hi:[1,0,1]
	v_pk_fma_f32 v[0:1], v[24:25], v[0:1], v[8:9] op_sel_hi:[1,0,1]
	s_waitcnt vmcnt(1)
	v_pk_fma_f32 v[6:7], v[26:27], v[16:17], v[6:7] op_sel_hi:[1,0,1]
	v_pk_fma_f32 v[4:5], v[26:27], v[18:19], v[4:5] op_sel_hi:[1,0,1]
	v_mov_b32_e32 v8, v19
	s_waitcnt vmcnt(0)
	v_pk_fma_f32 v[10:11], v[26:27], v[20:21], v[2:3] op_sel_hi:[1,0,1]
	v_pk_fma_f32 v[12:13], v[26:27], v[22:23], v[0:1] op_sel_hi:[1,0,1]
	v_mov_b32_e32 v14, v23
	v_pk_fma_f32 v[0:1], v[32:33], v[16:17], v[6:7] op_sel:[0,1,0]
	v_pk_fma_f32 v[2:3], v[32:33], v[8:9], v[4:5] op_sel_hi:[1,0,1]
	v_pk_fma_f32 v[4:5], v[32:33], v[20:21], v[10:11] op_sel:[0,1,0]
	v_pk_fma_f32 v[6:7], v[32:33], v[14:15], v[12:13] op_sel_hi:[1,0,1]
	global_store_dwordx4 v[28:29], v[0:3], off
	global_store_dwordx4 v[28:29], v[4:7], off offset:16
	s_endpgm
	.section	.rodata,"a",@progbits
	.p2align	6, 0x0
	.amdhsa_kernel _ZN9rocsparseL18bsrxmvn_4x4_kernelILj128ELj4E21rocsparse_complex_numIfEllfS2_S2_EEvT3_20rocsparse_direction_NS_24const_host_device_scalarIT1_EES3_PKS3_PKT2_SC_S9_PKT4_PKT5_S7_PT6_21rocsparse_index_base_b
		.amdhsa_group_segment_fixed_size 0
		.amdhsa_private_segment_fixed_size 0
		.amdhsa_kernarg_size 104
		.amdhsa_user_sgpr_count 2
		.amdhsa_user_sgpr_dispatch_ptr 0
		.amdhsa_user_sgpr_queue_ptr 0
		.amdhsa_user_sgpr_kernarg_segment_ptr 1
		.amdhsa_user_sgpr_dispatch_id 0
		.amdhsa_user_sgpr_kernarg_preload_length 0
		.amdhsa_user_sgpr_kernarg_preload_offset 0
		.amdhsa_user_sgpr_private_segment_size 0
		.amdhsa_uses_dynamic_stack 0
		.amdhsa_enable_private_segment 0
		.amdhsa_system_sgpr_workgroup_id_x 1
		.amdhsa_system_sgpr_workgroup_id_y 0
		.amdhsa_system_sgpr_workgroup_id_z 0
		.amdhsa_system_sgpr_workgroup_info 0
		.amdhsa_system_vgpr_workitem_id 0
		.amdhsa_next_free_vgpr 104
		.amdhsa_next_free_sgpr 20
		.amdhsa_accum_offset 104
		.amdhsa_reserve_vcc 1
		.amdhsa_float_round_mode_32 0
		.amdhsa_float_round_mode_16_64 0
		.amdhsa_float_denorm_mode_32 3
		.amdhsa_float_denorm_mode_16_64 3
		.amdhsa_dx10_clamp 1
		.amdhsa_ieee_mode 1
		.amdhsa_fp16_overflow 0
		.amdhsa_tg_split 0
		.amdhsa_exception_fp_ieee_invalid_op 0
		.amdhsa_exception_fp_denorm_src 0
		.amdhsa_exception_fp_ieee_div_zero 0
		.amdhsa_exception_fp_ieee_overflow 0
		.amdhsa_exception_fp_ieee_underflow 0
		.amdhsa_exception_fp_ieee_inexact 0
		.amdhsa_exception_int_div_zero 0
	.end_amdhsa_kernel
	.section	.text._ZN9rocsparseL18bsrxmvn_4x4_kernelILj128ELj4E21rocsparse_complex_numIfEllfS2_S2_EEvT3_20rocsparse_direction_NS_24const_host_device_scalarIT1_EES3_PKS3_PKT2_SC_S9_PKT4_PKT5_S7_PT6_21rocsparse_index_base_b,"axG",@progbits,_ZN9rocsparseL18bsrxmvn_4x4_kernelILj128ELj4E21rocsparse_complex_numIfEllfS2_S2_EEvT3_20rocsparse_direction_NS_24const_host_device_scalarIT1_EES3_PKS3_PKT2_SC_S9_PKT4_PKT5_S7_PT6_21rocsparse_index_base_b,comdat
.Lfunc_end130:
	.size	_ZN9rocsparseL18bsrxmvn_4x4_kernelILj128ELj4E21rocsparse_complex_numIfEllfS2_S2_EEvT3_20rocsparse_direction_NS_24const_host_device_scalarIT1_EES3_PKS3_PKT2_SC_S9_PKT4_PKT5_S7_PT6_21rocsparse_index_base_b, .Lfunc_end130-_ZN9rocsparseL18bsrxmvn_4x4_kernelILj128ELj4E21rocsparse_complex_numIfEllfS2_S2_EEvT3_20rocsparse_direction_NS_24const_host_device_scalarIT1_EES3_PKS3_PKT2_SC_S9_PKT4_PKT5_S7_PT6_21rocsparse_index_base_b
                                        ; -- End function
	.set _ZN9rocsparseL18bsrxmvn_4x4_kernelILj128ELj4E21rocsparse_complex_numIfEllfS2_S2_EEvT3_20rocsparse_direction_NS_24const_host_device_scalarIT1_EES3_PKS3_PKT2_SC_S9_PKT4_PKT5_S7_PT6_21rocsparse_index_base_b.num_vgpr, 104
	.set _ZN9rocsparseL18bsrxmvn_4x4_kernelILj128ELj4E21rocsparse_complex_numIfEllfS2_S2_EEvT3_20rocsparse_direction_NS_24const_host_device_scalarIT1_EES3_PKS3_PKT2_SC_S9_PKT4_PKT5_S7_PT6_21rocsparse_index_base_b.num_agpr, 0
	.set _ZN9rocsparseL18bsrxmvn_4x4_kernelILj128ELj4E21rocsparse_complex_numIfEllfS2_S2_EEvT3_20rocsparse_direction_NS_24const_host_device_scalarIT1_EES3_PKS3_PKT2_SC_S9_PKT4_PKT5_S7_PT6_21rocsparse_index_base_b.numbered_sgpr, 20
	.set _ZN9rocsparseL18bsrxmvn_4x4_kernelILj128ELj4E21rocsparse_complex_numIfEllfS2_S2_EEvT3_20rocsparse_direction_NS_24const_host_device_scalarIT1_EES3_PKS3_PKT2_SC_S9_PKT4_PKT5_S7_PT6_21rocsparse_index_base_b.num_named_barrier, 0
	.set _ZN9rocsparseL18bsrxmvn_4x4_kernelILj128ELj4E21rocsparse_complex_numIfEllfS2_S2_EEvT3_20rocsparse_direction_NS_24const_host_device_scalarIT1_EES3_PKS3_PKT2_SC_S9_PKT4_PKT5_S7_PT6_21rocsparse_index_base_b.private_seg_size, 0
	.set _ZN9rocsparseL18bsrxmvn_4x4_kernelILj128ELj4E21rocsparse_complex_numIfEllfS2_S2_EEvT3_20rocsparse_direction_NS_24const_host_device_scalarIT1_EES3_PKS3_PKT2_SC_S9_PKT4_PKT5_S7_PT6_21rocsparse_index_base_b.uses_vcc, 1
	.set _ZN9rocsparseL18bsrxmvn_4x4_kernelILj128ELj4E21rocsparse_complex_numIfEllfS2_S2_EEvT3_20rocsparse_direction_NS_24const_host_device_scalarIT1_EES3_PKS3_PKT2_SC_S9_PKT4_PKT5_S7_PT6_21rocsparse_index_base_b.uses_flat_scratch, 0
	.set _ZN9rocsparseL18bsrxmvn_4x4_kernelILj128ELj4E21rocsparse_complex_numIfEllfS2_S2_EEvT3_20rocsparse_direction_NS_24const_host_device_scalarIT1_EES3_PKS3_PKT2_SC_S9_PKT4_PKT5_S7_PT6_21rocsparse_index_base_b.has_dyn_sized_stack, 0
	.set _ZN9rocsparseL18bsrxmvn_4x4_kernelILj128ELj4E21rocsparse_complex_numIfEllfS2_S2_EEvT3_20rocsparse_direction_NS_24const_host_device_scalarIT1_EES3_PKS3_PKT2_SC_S9_PKT4_PKT5_S7_PT6_21rocsparse_index_base_b.has_recursion, 0
	.set _ZN9rocsparseL18bsrxmvn_4x4_kernelILj128ELj4E21rocsparse_complex_numIfEllfS2_S2_EEvT3_20rocsparse_direction_NS_24const_host_device_scalarIT1_EES3_PKS3_PKT2_SC_S9_PKT4_PKT5_S7_PT6_21rocsparse_index_base_b.has_indirect_call, 0
	.section	.AMDGPU.csdata,"",@progbits
; Kernel info:
; codeLenInByte = 6820
; TotalNumSgprs: 26
; NumVgprs: 104
; NumAgprs: 0
; TotalNumVgprs: 104
; ScratchSize: 0
; MemoryBound: 0
; FloatMode: 240
; IeeeMode: 1
; LDSByteSize: 0 bytes/workgroup (compile time only)
; SGPRBlocks: 3
; VGPRBlocks: 12
; NumSGPRsForWavesPerEU: 26
; NumVGPRsForWavesPerEU: 104
; AccumOffset: 104
; Occupancy: 4
; WaveLimiterHint : 1
; COMPUTE_PGM_RSRC2:SCRATCH_EN: 0
; COMPUTE_PGM_RSRC2:USER_SGPR: 2
; COMPUTE_PGM_RSRC2:TRAP_HANDLER: 0
; COMPUTE_PGM_RSRC2:TGID_X_EN: 1
; COMPUTE_PGM_RSRC2:TGID_Y_EN: 0
; COMPUTE_PGM_RSRC2:TGID_Z_EN: 0
; COMPUTE_PGM_RSRC2:TIDIG_COMP_CNT: 0
; COMPUTE_PGM_RSRC3_GFX90A:ACCUM_OFFSET: 25
; COMPUTE_PGM_RSRC3_GFX90A:TG_SPLIT: 0
	.section	.text._ZN9rocsparseL18bsrxmvn_4x4_kernelILj128ELj8E21rocsparse_complex_numIfEllfS2_S2_EEvT3_20rocsparse_direction_NS_24const_host_device_scalarIT1_EES3_PKS3_PKT2_SC_S9_PKT4_PKT5_S7_PT6_21rocsparse_index_base_b,"axG",@progbits,_ZN9rocsparseL18bsrxmvn_4x4_kernelILj128ELj8E21rocsparse_complex_numIfEllfS2_S2_EEvT3_20rocsparse_direction_NS_24const_host_device_scalarIT1_EES3_PKS3_PKT2_SC_S9_PKT4_PKT5_S7_PT6_21rocsparse_index_base_b,comdat
	.globl	_ZN9rocsparseL18bsrxmvn_4x4_kernelILj128ELj8E21rocsparse_complex_numIfEllfS2_S2_EEvT3_20rocsparse_direction_NS_24const_host_device_scalarIT1_EES3_PKS3_PKT2_SC_S9_PKT4_PKT5_S7_PT6_21rocsparse_index_base_b ; -- Begin function _ZN9rocsparseL18bsrxmvn_4x4_kernelILj128ELj8E21rocsparse_complex_numIfEllfS2_S2_EEvT3_20rocsparse_direction_NS_24const_host_device_scalarIT1_EES3_PKS3_PKT2_SC_S9_PKT4_PKT5_S7_PT6_21rocsparse_index_base_b
	.p2align	8
	.type	_ZN9rocsparseL18bsrxmvn_4x4_kernelILj128ELj8E21rocsparse_complex_numIfEllfS2_S2_EEvT3_20rocsparse_direction_NS_24const_host_device_scalarIT1_EES3_PKS3_PKT2_SC_S9_PKT4_PKT5_S7_PT6_21rocsparse_index_base_b,@function
_ZN9rocsparseL18bsrxmvn_4x4_kernelILj128ELj8E21rocsparse_complex_numIfEllfS2_S2_EEvT3_20rocsparse_direction_NS_24const_host_device_scalarIT1_EES3_PKS3_PKT2_SC_S9_PKT4_PKT5_S7_PT6_21rocsparse_index_base_b: ; @_ZN9rocsparseL18bsrxmvn_4x4_kernelILj128ELj8E21rocsparse_complex_numIfEllfS2_S2_EEvT3_20rocsparse_direction_NS_24const_host_device_scalarIT1_EES3_PKS3_PKT2_SC_S9_PKT4_PKT5_S7_PT6_21rocsparse_index_base_b
; %bb.0:
	s_load_dwordx4 s[8:11], s[0:1], 0x10
	s_load_dwordx2 s[12:13], s[0:1], 0x60
	s_add_u32 s3, s0, 16
	s_addc_u32 s6, s1, 0
	s_load_dwordx2 s[4:5], s[0:1], 0x50
	s_add_u32 s7, s0, 0x50
	s_addc_u32 s14, s1, 0
	s_waitcnt lgkmcnt(0)
	s_bitcmp1_b32 s13, 0
	s_cselect_b32 s3, s3, s8
	s_cselect_b32 s6, s6, s9
	v_mov_b32_e32 v2, s3
	s_cselect_b32 s3, s14, s5
	s_cselect_b32 s4, s7, s4
	v_mov_b32_e32 v3, s6
	v_mov_b32_e32 v4, s4
	v_mov_b32_e32 v5, s3
	flat_load_dwordx2 v[24:25], v[2:3]
	flat_load_dwordx2 v[26:27], v[4:5]
	s_waitcnt vmcnt(0) lgkmcnt(0)
	v_cmp_neq_f32_e32 vcc, 0, v24
	v_cmp_neq_f32_e64 s[4:5], 0, v25
	v_cmp_neq_f32_e64 s[8:9], 1.0, v26
	v_cmp_neq_f32_e64 s[6:7], 0, v27
	s_or_b64 s[4:5], vcc, s[4:5]
	s_or_b64 s[8:9], s[8:9], s[6:7]
	s_or_b64 s[4:5], s[4:5], s[8:9]
	s_and_saveexec_b64 s[8:9], s[4:5]
	s_cbranch_execz .LBB131_6
; %bb.1:
	s_load_dwordx2 s[4:5], s[0:1], 0x20
	v_lshrrev_b32_e32 v1, 3, v0
	v_lshl_or_b32 v2, s2, 4, v1
	v_mov_b32_e32 v3, 0
	s_mov_b64 s[2:3], 0
	s_waitcnt lgkmcnt(0)
	s_cmp_lg_u64 s[4:5], 0
	s_cbranch_scc0 .LBB131_7
; %bb.2:
	v_cmp_gt_i64_e32 vcc, s[10:11], v[2:3]
                                        ; implicit-def: $vgpr28_vgpr29
                                        ; implicit-def: $vgpr32_vgpr33
	s_and_saveexec_b64 s[8:9], vcc
	s_xor_b64 s[8:9], exec, s[8:9]
	s_cbranch_execz .LBB131_4
; %bb.3:
	v_lshl_add_u64 v[4:5], v[2:3], 3, s[4:5]
	global_load_dwordx2 v[4:5], v[4:5], off
	s_mov_b32 s13, 0
	s_mov_b64 s[2:3], exec
	v_mov_b64_e32 v[32:33], s[12:13]
	s_waitcnt vmcnt(0)
	v_subrev_co_u32_e32 v28, vcc, s12, v4
	s_nop 1
	v_subbrev_co_u32_e32 v29, vcc, 0, v5, vcc
.LBB131_4:
	s_or_b64 exec, exec, s[8:9]
.LBB131_5:
	s_and_b64 exec, exec, s[2:3]
	s_cbranch_execnz .LBB131_11
.LBB131_6:
	s_endpgm
.LBB131_7:
                                        ; implicit-def: $vgpr28_vgpr29
                                        ; implicit-def: $vgpr32_vgpr33
	s_cbranch_execz .LBB131_5
; %bb.8:
	s_load_dwordx2 s[4:5], s[0:1], 0x0
	s_waitcnt lgkmcnt(0)
	v_cmp_gt_i64_e32 vcc, s[4:5], v[2:3]
	s_and_saveexec_b64 s[4:5], vcc
; %bb.9:
	s_mov_b32 s13, 0
	s_or_b64 s[2:3], s[2:3], exec
; %bb.10:
	s_or_b64 exec, exec, s[4:5]
	v_mov_b64_e32 v[32:33], s[12:13]
	v_mov_b64_e32 v[28:29], v[2:3]
	s_and_b64 exec, exec, s[2:3]
	s_cbranch_execz .LBB131_6
.LBB131_11:
	s_load_dwordx8 s[8:15], s[0:1], 0x28
	v_lshlrev_b64 v[2:3], 3, v[28:29]
	v_and_b32_e32 v30, 7, v0
	v_mov_b32_e32 v31, 0
	s_waitcnt lgkmcnt(0)
	v_lshl_add_u64 v[4:5], s[8:9], 0, v[2:3]
	s_cmp_eq_u64 s[10:11], 0
	v_lshl_add_u64 v[2:3], s[10:11], 0, v[2:3]
	global_load_dwordx2 v[46:47], v[4:5], off
	v_lshl_add_u64 v[4:5], v[4:5], 0, 8
	s_cselect_b64 vcc, -1, 0
	v_cndmask_b32_e32 v3, v3, v5, vcc
	v_cndmask_b32_e32 v2, v2, v4, vcc
	global_load_dwordx2 v[2:3], v[2:3], off
	s_load_dword s4, s[0:1], 0x8
	s_load_dwordx2 s[2:3], s[0:1], 0x48
	s_waitcnt lgkmcnt(0)
	s_cmp_eq_u32 s4, 1
	s_waitcnt vmcnt(1)
	v_sub_co_u32_e32 v0, vcc, v46, v32
	s_nop 1
	v_subb_co_u32_e32 v1, vcc, v47, v33, vcc
	v_lshl_add_u64 v[34:35], v[0:1], 0, v[30:31]
	s_waitcnt vmcnt(0)
	v_sub_co_u32_e32 v36, vcc, v2, v32
	v_lshlrev_b64 v[0:1], 6, v[34:35]
	s_nop 0
	v_subb_co_u32_e32 v37, vcc, v3, v33, vcc
	v_lshl_add_u64 v[38:39], s[14:15], 0, v[0:1]
	v_cmp_lt_i64_e64 s[4:5], v[34:35], v[36:37]
	s_cbranch_scc1 .LBB131_23
; %bb.12:
	v_mov_b32_e32 v42, v31
	v_mov_b32_e32 v41, v31
	v_mov_b32_e32 v40, v31
	v_mov_b32_e32 v45, v31
	v_mov_b32_e32 v44, v31
	v_mov_b32_e32 v13, v31
	v_mov_b32_e32 v12, v31
	s_and_saveexec_b64 s[8:9], s[4:5]
	s_cbranch_execz .LBB131_22
; %bb.13:
	v_or_b32_e32 v0, 8, v30
	v_sub_co_u32_e32 v0, vcc, v0, v32
	v_not_b32_e32 v3, v47
	s_nop 0
	v_subb_co_u32_e32 v1, vcc, 0, v33, vcc
	v_lshl_add_u64 v[0:1], v[0:1], 0, v[46:47]
	v_cmp_gt_i64_e32 vcc, v[0:1], v[36:37]
	v_not_b32_e32 v2, v46
	v_mov_b32_e32 v13, 0
	v_cndmask_b32_e32 v1, v37, v1, vcc
	v_cndmask_b32_e32 v0, v36, v0, vcc
	v_sub_co_u32_e32 v4, vcc, v32, v30
	v_mov_b32_e32 v44, v13
	s_nop 0
	v_subbrev_co_u32_e32 v5, vcc, 0, v33, vcc
	v_lshl_add_u64 v[2:3], v[4:5], 0, v[2:3]
	v_lshl_add_u64 v[0:1], v[2:3], 0, v[0:1]
	v_and_b32_e32 v12, 24, v0
	v_cmp_ne_u64_e32 vcc, 24, v[12:13]
	v_mov_b32_e32 v12, v13
	v_mov_b32_e32 v45, v13
	;; [unrolled: 1-line block ×6, first 2 shown]
	v_mov_b64_e32 v[48:49], v[38:39]
	v_mov_b64_e32 v[50:51], v[34:35]
	s_and_saveexec_b64 s[10:11], vcc
	s_cbranch_execz .LBB131_17
; %bb.14:
	v_lshrrev_b32_e32 v2, 3, v0
	v_add_u32_e32 v2, 1, v2
	v_and_b32_e32 v2, 3, v2
	v_sub_co_u32_e32 v6, vcc, 0, v2
	v_mov_b32_e32 v3, 0
	s_nop 0
	v_subb_co_u32_e64 v7, s[16:17], 0, 0, vcc
	v_lshl_add_u64 v[4:5], v[34:35], 3, s[12:13]
	s_mov_b64 s[14:15], 0
	s_mov_b64 s[16:17], 0x200
	v_bfrev_b32_e32 v8, 1
	v_mov_b64_e32 v[50:51], v[34:35]
	v_mov_b64_e32 v[48:49], v[38:39]
	v_mov_b32_e32 v12, v3
	v_mov_b32_e32 v13, v3
	;; [unrolled: 1-line block ×8, first 2 shown]
.LBB131_15:                             ; =>This Inner Loop Header: Depth=1
	global_load_dwordx2 v[10:11], v[4:5], off
	global_load_dwordx4 v[54:57], v[48:49], off offset:16
	global_load_dwordx4 v[58:61], v[48:49], off
	v_lshl_add_u64 v[6:7], v[6:7], 0, 1
	v_lshl_add_u64 v[50:51], v[50:51], 0, 8
	;; [unrolled: 1-line block ×3, first 2 shown]
	s_waitcnt vmcnt(2)
	v_sub_co_u32_e32 v10, vcc, v10, v32
	s_nop 1
	v_subb_co_u32_e32 v11, vcc, v11, v33, vcc
	v_lshlrev_b64 v[10:11], 5, v[10:11]
	v_lshl_add_u64 v[10:11], s[2:3], 0, v[10:11]
	global_load_dwordx4 v[14:17], v[10:11], off
	global_load_dwordx4 v[18:21], v[10:11], off offset:16
	global_load_dwordx4 v[62:65], v[48:49], off offset:32
	;; [unrolled: 1-line block ×3, first 2 shown]
	s_waitcnt vmcnt(4)
	v_mov_b32_e32 v2, v58
	v_mov_b32_e32 v9, v58
	v_cmp_eq_u64_e32 vcc, 0, v[6:7]
	v_lshl_add_u64 v[48:49], v[48:49], 0, s[16:17]
	s_or_b64 s[14:15], vcc, s[14:15]
	s_waitcnt vmcnt(3)
	v_pk_fma_f32 v[10:11], v[14:15], v[2:3], v[42:43] op_sel_hi:[0,1,1]
	v_mov_b32_e32 v2, v59
	v_pk_fma_f32 v[10:11], v[14:15], v[8:9], v[10:11] op_sel:[1,0,0]
	v_mov_b32_e32 v22, v17
	v_mov_b32_e32 v9, v59
	v_pk_fma_f32 v[10:11], v[16:17], v[2:3], v[10:11] op_sel_hi:[0,1,1]
	v_mov_b32_e32 v2, v60
	v_pk_fma_f32 v[10:11], v[22:23], v[8:9], v[10:11] op_sel_hi:[0,1,1]
	v_mov_b32_e32 v9, v60
	s_waitcnt vmcnt(2)
	v_pk_fma_f32 v[10:11], v[18:19], v[2:3], v[10:11] op_sel_hi:[0,1,1]
	v_mov_b32_e32 v2, v61
	v_pk_fma_f32 v[10:11], v[18:19], v[8:9], v[10:11] op_sel:[1,0,0]
	v_mov_b32_e32 v52, v21
	v_mov_b32_e32 v9, v61
	v_pk_fma_f32 v[10:11], v[20:21], v[2:3], v[10:11] op_sel_hi:[0,1,1]
	v_mov_b32_e32 v2, v54
	v_pk_fma_f32 v[42:43], v[52:53], v[8:9], v[10:11] op_sel_hi:[0,1,1]
	v_pk_fma_f32 v[10:11], v[14:15], v[2:3], v[40:41] op_sel_hi:[0,1,1]
	v_mov_b32_e32 v9, v54
	v_mov_b32_e32 v2, v55
	v_pk_fma_f32 v[10:11], v[14:15], v[8:9], v[10:11] op_sel:[1,0,0]
	v_mov_b32_e32 v9, v55
	v_pk_fma_f32 v[10:11], v[16:17], v[2:3], v[10:11] op_sel_hi:[0,1,1]
	v_mov_b32_e32 v2, v56
	v_pk_fma_f32 v[10:11], v[22:23], v[8:9], v[10:11] op_sel_hi:[0,1,1]
	;; [unrolled: 2-line block ×3, first 2 shown]
	v_mov_b32_e32 v2, v57
	v_pk_fma_f32 v[10:11], v[18:19], v[8:9], v[10:11] op_sel:[1,0,0]
	v_mov_b32_e32 v9, v57
	v_pk_fma_f32 v[10:11], v[20:21], v[2:3], v[10:11] op_sel_hi:[0,1,1]
	s_waitcnt vmcnt(1)
	v_mov_b32_e32 v2, v62
	v_pk_fma_f32 v[40:41], v[52:53], v[8:9], v[10:11] op_sel_hi:[0,1,1]
	v_pk_fma_f32 v[10:11], v[14:15], v[2:3], v[44:45] op_sel_hi:[0,1,1]
	v_mov_b32_e32 v9, v62
	v_mov_b32_e32 v2, v63
	v_pk_fma_f32 v[10:11], v[14:15], v[8:9], v[10:11] op_sel:[1,0,0]
	v_mov_b32_e32 v9, v63
	v_pk_fma_f32 v[10:11], v[16:17], v[2:3], v[10:11] op_sel_hi:[0,1,1]
	v_mov_b32_e32 v2, v64
	v_pk_fma_f32 v[10:11], v[22:23], v[8:9], v[10:11] op_sel_hi:[0,1,1]
	;; [unrolled: 2-line block ×3, first 2 shown]
	v_mov_b32_e32 v2, v65
	v_pk_fma_f32 v[10:11], v[18:19], v[8:9], v[10:11] op_sel:[1,0,0]
	v_mov_b32_e32 v9, v65
	v_pk_fma_f32 v[10:11], v[20:21], v[2:3], v[10:11] op_sel_hi:[0,1,1]
	s_waitcnt vmcnt(0)
	v_mov_b32_e32 v2, v66
	v_pk_fma_f32 v[44:45], v[52:53], v[8:9], v[10:11] op_sel_hi:[0,1,1]
	v_pk_fma_f32 v[10:11], v[14:15], v[2:3], v[12:13] op_sel_hi:[0,1,1]
	v_mov_b32_e32 v9, v66
	v_mov_b32_e32 v2, v67
	v_pk_fma_f32 v[10:11], v[14:15], v[8:9], v[10:11] op_sel:[1,0,0]
	v_mov_b32_e32 v9, v67
	v_pk_fma_f32 v[10:11], v[16:17], v[2:3], v[10:11] op_sel_hi:[0,1,1]
	v_mov_b32_e32 v2, v68
	v_pk_fma_f32 v[10:11], v[22:23], v[8:9], v[10:11] op_sel_hi:[0,1,1]
	;; [unrolled: 2-line block ×3, first 2 shown]
	v_mov_b32_e32 v2, v69
	v_pk_fma_f32 v[10:11], v[18:19], v[8:9], v[10:11] op_sel:[1,0,0]
	v_mov_b32_e32 v9, v69
	v_pk_fma_f32 v[10:11], v[20:21], v[2:3], v[10:11] op_sel_hi:[0,1,1]
	v_pk_fma_f32 v[12:13], v[52:53], v[8:9], v[10:11] op_sel_hi:[0,1,1]
	s_andn2_b64 exec, exec, s[14:15]
	s_cbranch_execnz .LBB131_15
; %bb.16:
	s_or_b64 exec, exec, s[14:15]
.LBB131_17:
	s_or_b64 exec, exec, s[10:11]
	v_cmp_lt_u64_e32 vcc, 23, v[0:1]
	s_and_saveexec_b64 s[10:11], vcc
	s_cbranch_execz .LBB131_21
; %bb.18:
	v_lshl_add_u64 v[0:1], v[50:51], 3, s[12:13]
	s_mov_b64 s[14:15], 0x80
	v_lshl_add_u64 v[52:53], v[0:1], 0, s[14:15]
	s_mov_b64 s[14:15], 0
	v_mov_b32_e32 v55, 0
	s_mov_b64 s[16:17], 0x800
	s_mov_b64 s[18:19], 0x100
	v_bfrev_b32_e32 v56, 1
.LBB131_19:                             ; =>This Inner Loop Header: Depth=1
	global_load_dwordx2 v[0:1], v[52:53], off offset:-128
	v_lshl_add_u64 v[50:51], v[50:51], 0, 32
	s_waitcnt vmcnt(0)
	v_sub_co_u32_e32 v0, vcc, v0, v32
	s_nop 1
	v_subb_co_u32_e32 v1, vcc, v1, v33, vcc
	v_lshlrev_b64 v[0:1], 5, v[0:1]
	v_lshl_add_u64 v[0:1], s[2:3], 0, v[0:1]
	global_load_dwordx4 v[8:11], v[0:1], off offset:16
	global_load_dwordx4 v[14:17], v[0:1], off
	global_load_dwordx2 v[2:3], v[52:53], off offset:-64
	global_load_dwordx4 v[64:67], v[48:49], off offset:560
	global_load_dwordx4 v[68:71], v[48:49], off offset:544
	;; [unrolled: 1-line block ×4, first 2 shown]
	s_waitcnt vmcnt(4)
	v_sub_co_u32_e32 v0, vcc, v2, v32
	s_nop 1
	v_subb_co_u32_e32 v1, vcc, v3, v33, vcc
	v_lshlrev_b64 v[0:1], 5, v[0:1]
	v_lshl_add_u64 v[18:19], s[2:3], 0, v[0:1]
	global_load_dwordx4 v[0:3], v[18:19], off offset:16
	global_load_dwordx4 v[4:7], v[18:19], off
	global_load_dwordx4 v[76:79], v[48:49], off offset:48
	global_load_dwordx4 v[80:83], v[48:49], off offset:32
	;; [unrolled: 1-line block ×3, first 2 shown]
	global_load_dwordx4 v[20:23], v[48:49], off
	s_waitcnt vmcnt(0)
	v_mov_b32_e32 v54, v20
	v_pk_fma_f32 v[18:19], v[14:15], v[54:55], v[42:43] op_sel_hi:[0,1,1]
	v_mov_b32_e32 v57, v20
	v_pk_fma_f32 v[18:19], v[14:15], v[56:57], v[18:19] op_sel:[1,0,0]
	v_mov_b32_e32 v54, v21
	v_pk_fma_f32 v[18:19], v[16:17], v[54:55], v[18:19] op_sel_hi:[0,1,1]
	v_mov_b32_e32 v20, v17
	v_mov_b32_e32 v57, v21
	v_pk_fma_f32 v[18:19], v[20:21], v[56:57], v[18:19] op_sel_hi:[0,1,1]
	v_mov_b32_e32 v54, v22
	v_pk_fma_f32 v[18:19], v[8:9], v[54:55], v[18:19] op_sel_hi:[0,1,1]
	v_mov_b32_e32 v57, v22
	v_pk_fma_f32 v[18:19], v[8:9], v[56:57], v[18:19] op_sel:[1,0,0]
	v_mov_b32_e32 v54, v23
	v_pk_fma_f32 v[18:19], v[10:11], v[54:55], v[18:19] op_sel_hi:[0,1,1]
	v_mov_b32_e32 v22, v11
	v_mov_b32_e32 v57, v23
	v_pk_fma_f32 v[18:19], v[22:23], v[56:57], v[18:19] op_sel_hi:[0,1,1]
	v_mov_b32_e32 v54, v58
	v_pk_fma_f32 v[18:19], v[4:5], v[54:55], v[18:19] op_sel_hi:[0,1,1]
	v_mov_b32_e32 v57, v58
	v_mov_b32_e32 v54, v84
	v_pk_fma_f32 v[42:43], v[4:5], v[56:57], v[18:19] op_sel:[1,0,0]
	v_pk_fma_f32 v[18:19], v[14:15], v[54:55], v[40:41] op_sel_hi:[0,1,1]
	v_mov_b32_e32 v57, v84
	v_pk_fma_f32 v[18:19], v[14:15], v[56:57], v[18:19] op_sel:[1,0,0]
	v_mov_b32_e32 v54, v85
	v_pk_fma_f32 v[18:19], v[16:17], v[54:55], v[18:19] op_sel_hi:[0,1,1]
	v_mov_b32_e32 v57, v85
	v_pk_fma_f32 v[18:19], v[20:21], v[56:57], v[18:19] op_sel_hi:[0,1,1]
	v_mov_b32_e32 v54, v86
	v_pk_fma_f32 v[18:19], v[8:9], v[54:55], v[18:19] op_sel_hi:[0,1,1]
	v_mov_b32_e32 v57, v86
	v_pk_fma_f32 v[18:19], v[8:9], v[56:57], v[18:19] op_sel:[1,0,0]
	v_mov_b32_e32 v54, v87
	v_pk_fma_f32 v[18:19], v[10:11], v[54:55], v[18:19] op_sel_hi:[0,1,1]
	v_mov_b32_e32 v57, v87
	v_pk_fma_f32 v[18:19], v[22:23], v[56:57], v[18:19] op_sel_hi:[0,1,1]
	v_mov_b32_e32 v54, v72
	v_pk_fma_f32 v[18:19], v[4:5], v[54:55], v[18:19] op_sel_hi:[0,1,1]
	v_mov_b32_e32 v57, v72
	v_mov_b32_e32 v54, v80
	v_pk_fma_f32 v[40:41], v[4:5], v[56:57], v[18:19] op_sel:[1,0,0]
	v_pk_fma_f32 v[18:19], v[14:15], v[54:55], v[44:45] op_sel_hi:[0,1,1]
	v_mov_b32_e32 v57, v80
	v_pk_fma_f32 v[18:19], v[14:15], v[56:57], v[18:19] op_sel:[1,0,0]
	v_mov_b32_e32 v54, v81
	v_pk_fma_f32 v[18:19], v[16:17], v[54:55], v[18:19] op_sel_hi:[0,1,1]
	v_mov_b32_e32 v57, v81
	v_pk_fma_f32 v[18:19], v[20:21], v[56:57], v[18:19] op_sel_hi:[0,1,1]
	v_mov_b32_e32 v54, v82
	v_pk_fma_f32 v[18:19], v[8:9], v[54:55], v[18:19] op_sel_hi:[0,1,1]
	v_mov_b32_e32 v57, v82
	v_pk_fma_f32 v[18:19], v[8:9], v[56:57], v[18:19] op_sel:[1,0,0]
	v_mov_b32_e32 v54, v83
	v_pk_fma_f32 v[18:19], v[10:11], v[54:55], v[18:19] op_sel_hi:[0,1,1]
	;; [unrolled: 20-line block ×3, first 2 shown]
	v_mov_b32_e32 v57, v79
	v_pk_fma_f32 v[8:9], v[22:23], v[56:57], v[8:9] op_sel_hi:[0,1,1]
	v_mov_b32_e32 v54, v64
	v_pk_fma_f32 v[8:9], v[4:5], v[54:55], v[8:9] op_sel_hi:[0,1,1]
	v_mov_b32_e32 v57, v64
	v_pk_fma_f32 v[4:5], v[4:5], v[56:57], v[8:9] op_sel:[1,0,0]
	global_load_dwordx2 v[8:9], v[52:53], off
	v_mov_b32_e32 v54, v59
	v_pk_fma_f32 v[42:43], v[6:7], v[54:55], v[42:43] op_sel_hi:[0,1,1]
	v_mov_b32_e32 v58, v7
	v_mov_b32_e32 v57, v59
	v_pk_fma_f32 v[42:43], v[58:59], v[56:57], v[42:43] op_sel_hi:[0,1,1]
	v_mov_b32_e32 v54, v60
	v_pk_fma_f32 v[42:43], v[0:1], v[54:55], v[42:43] op_sel_hi:[0,1,1]
	v_mov_b32_e32 v57, v60
	v_pk_fma_f32 v[42:43], v[0:1], v[56:57], v[42:43] op_sel:[1,0,0]
	v_mov_b32_e32 v54, v61
	v_pk_fma_f32 v[42:43], v[2:3], v[54:55], v[42:43] op_sel_hi:[0,1,1]
	v_mov_b32_e32 v60, v3
	v_mov_b32_e32 v57, v61
	v_pk_fma_f32 v[42:43], v[60:61], v[56:57], v[42:43] op_sel_hi:[0,1,1]
	s_waitcnt vmcnt(0)
	v_sub_co_u32_e32 v8, vcc, v8, v32
	s_nop 1
	v_subb_co_u32_e32 v9, vcc, v9, v33, vcc
	v_lshlrev_b64 v[8:9], 5, v[8:9]
	v_lshl_add_u64 v[16:17], s[2:3], 0, v[8:9]
	global_load_dwordx4 v[8:11], v[16:17], off offset:16
	global_load_dwordx4 v[12:15], v[16:17], off
	global_load_dwordx2 v[18:19], v[52:53], off offset:64
	v_lshl_add_u64 v[52:53], v[52:53], 0, s[18:19]
	s_waitcnt vmcnt(2)
	v_mov_b32_e32 v64, v11
	s_waitcnt vmcnt(0)
	v_sub_co_u32_e32 v16, vcc, v18, v32
	s_nop 1
	v_subb_co_u32_e32 v17, vcc, v19, v33, vcc
	v_lshlrev_b64 v[16:17], 5, v[16:17]
	v_lshl_add_u64 v[62:63], s[2:3], 0, v[16:17]
	global_load_dwordx4 v[16:19], v[62:63], off offset:16
	global_load_dwordx4 v[20:23], v[62:63], off
	global_load_dwordx4 v[76:79], v[48:49], off offset:1072
	global_load_dwordx4 v[80:83], v[48:49], off offset:1056
	global_load_dwordx4 v[84:87], v[48:49], off offset:1040
	global_load_dwordx4 v[88:91], v[48:49], off offset:1024
	v_mov_b32_e32 v62, v15
	v_cmp_ge_i64_e32 vcc, v[50:51], v[36:37]
	s_or_b64 s[14:15], vcc, s[14:15]
	s_waitcnt vmcnt(5)
	v_mov_b32_e32 v72, v19
	s_waitcnt vmcnt(4)
	v_mov_b32_e32 v68, v23
	;; [unrolled: 2-line block ×3, first 2 shown]
	v_pk_fma_f32 v[42:43], v[12:13], v[54:55], v[42:43] op_sel_hi:[0,1,1]
	v_mov_b32_e32 v57, v88
	v_pk_fma_f32 v[42:43], v[12:13], v[56:57], v[42:43] op_sel:[1,0,0]
	v_mov_b32_e32 v54, v89
	v_pk_fma_f32 v[42:43], v[14:15], v[54:55], v[42:43] op_sel_hi:[0,1,1]
	v_mov_b32_e32 v57, v89
	v_pk_fma_f32 v[42:43], v[62:63], v[56:57], v[42:43] op_sel_hi:[0,1,1]
	;; [unrolled: 2-line block ×3, first 2 shown]
	v_mov_b32_e32 v57, v90
	v_pk_fma_f32 v[42:43], v[8:9], v[56:57], v[42:43] op_sel:[1,0,0]
	v_mov_b32_e32 v54, v91
	v_mov_b32_e32 v57, v91
	global_load_dwordx4 v[88:91], v[48:49], off offset:1584
	global_load_dwordx4 v[92:95], v[48:49], off offset:1568
	;; [unrolled: 1-line block ×4, first 2 shown]
	v_pk_fma_f32 v[42:43], v[10:11], v[54:55], v[42:43] op_sel_hi:[0,1,1]
	v_pk_fma_f32 v[42:43], v[64:65], v[56:57], v[42:43] op_sel_hi:[0,1,1]
	v_lshl_add_u64 v[48:49], v[48:49], 0, s[16:17]
	s_waitcnt vmcnt(0)
	v_mov_b32_e32 v54, v100
	v_pk_fma_f32 v[42:43], v[20:21], v[54:55], v[42:43] op_sel_hi:[0,1,1]
	v_mov_b32_e32 v57, v100
	v_pk_fma_f32 v[42:43], v[20:21], v[56:57], v[42:43] op_sel:[1,0,0]
	v_mov_b32_e32 v54, v101
	v_pk_fma_f32 v[42:43], v[22:23], v[54:55], v[42:43] op_sel_hi:[0,1,1]
	v_mov_b32_e32 v57, v101
	v_pk_fma_f32 v[42:43], v[68:69], v[56:57], v[42:43] op_sel_hi:[0,1,1]
	v_mov_b32_e32 v54, v102
	v_pk_fma_f32 v[42:43], v[16:17], v[54:55], v[42:43] op_sel_hi:[0,1,1]
	v_mov_b32_e32 v57, v102
	v_pk_fma_f32 v[42:43], v[16:17], v[56:57], v[42:43] op_sel:[1,0,0]
	v_mov_b32_e32 v54, v103
	v_pk_fma_f32 v[42:43], v[18:19], v[54:55], v[42:43] op_sel_hi:[0,1,1]
	v_mov_b32_e32 v57, v103
	v_mov_b32_e32 v54, v73
	v_pk_fma_f32 v[42:43], v[72:73], v[56:57], v[42:43] op_sel_hi:[0,1,1]
	v_pk_fma_f32 v[40:41], v[6:7], v[54:55], v[40:41] op_sel_hi:[0,1,1]
	v_mov_b32_e32 v57, v73
	v_pk_fma_f32 v[40:41], v[58:59], v[56:57], v[40:41] op_sel_hi:[0,1,1]
	v_mov_b32_e32 v54, v74
	v_pk_fma_f32 v[40:41], v[0:1], v[54:55], v[40:41] op_sel_hi:[0,1,1]
	v_mov_b32_e32 v57, v74
	v_pk_fma_f32 v[40:41], v[0:1], v[56:57], v[40:41] op_sel:[1,0,0]
	v_mov_b32_e32 v54, v75
	v_pk_fma_f32 v[40:41], v[2:3], v[54:55], v[40:41] op_sel_hi:[0,1,1]
	v_mov_b32_e32 v57, v75
	v_pk_fma_f32 v[40:41], v[60:61], v[56:57], v[40:41] op_sel_hi:[0,1,1]
	v_mov_b32_e32 v54, v84
	v_pk_fma_f32 v[40:41], v[12:13], v[54:55], v[40:41] op_sel_hi:[0,1,1]
	v_mov_b32_e32 v57, v84
	v_pk_fma_f32 v[40:41], v[12:13], v[56:57], v[40:41] op_sel:[1,0,0]
	v_mov_b32_e32 v54, v85
	v_pk_fma_f32 v[40:41], v[14:15], v[54:55], v[40:41] op_sel_hi:[0,1,1]
	v_mov_b32_e32 v57, v85
	v_pk_fma_f32 v[40:41], v[62:63], v[56:57], v[40:41] op_sel_hi:[0,1,1]
	v_mov_b32_e32 v54, v86
	v_pk_fma_f32 v[40:41], v[54:55], v[8:9], v[40:41] op_sel_hi:[1,0,1]
	v_mov_b32_e32 v57, v86
	v_pk_fma_f32 v[40:41], v[8:9], v[56:57], v[40:41] op_sel:[1,0,0]
	v_mov_b32_e32 v54, v87
	v_pk_fma_f32 v[40:41], v[10:11], v[54:55], v[40:41] op_sel_hi:[0,1,1]
	v_mov_b32_e32 v57, v87
	v_pk_fma_f32 v[40:41], v[64:65], v[56:57], v[40:41] op_sel_hi:[0,1,1]
	v_mov_b32_e32 v54, v96
	v_pk_fma_f32 v[40:41], v[20:21], v[54:55], v[40:41] op_sel_hi:[0,1,1]
	v_mov_b32_e32 v57, v96
	v_pk_fma_f32 v[40:41], v[20:21], v[56:57], v[40:41] op_sel:[1,0,0]
	v_mov_b32_e32 v54, v97
	v_pk_fma_f32 v[40:41], v[22:23], v[54:55], v[40:41] op_sel_hi:[0,1,1]
	v_mov_b32_e32 v57, v97
	v_pk_fma_f32 v[40:41], v[68:69], v[56:57], v[40:41] op_sel_hi:[0,1,1]
	v_mov_b32_e32 v54, v98
	v_pk_fma_f32 v[40:41], v[16:17], v[54:55], v[40:41] op_sel_hi:[0,1,1]
	v_mov_b32_e32 v57, v98
	v_pk_fma_f32 v[40:41], v[16:17], v[56:57], v[40:41] op_sel:[1,0,0]
	v_mov_b32_e32 v54, v99
	v_pk_fma_f32 v[40:41], v[18:19], v[54:55], v[40:41] op_sel_hi:[0,1,1]
	v_mov_b32_e32 v57, v99
	v_mov_b32_e32 v54, v69
	v_pk_fma_f32 v[40:41], v[72:73], v[56:57], v[40:41] op_sel_hi:[0,1,1]
	v_pk_fma_f32 v[44:45], v[6:7], v[54:55], v[44:45] op_sel_hi:[0,1,1]
	v_mov_b32_e32 v57, v69
	v_pk_fma_f32 v[44:45], v[58:59], v[56:57], v[44:45] op_sel_hi:[0,1,1]
	v_mov_b32_e32 v54, v70
	v_pk_fma_f32 v[44:45], v[0:1], v[54:55], v[44:45] op_sel_hi:[0,1,1]
	v_mov_b32_e32 v57, v70
	v_pk_fma_f32 v[44:45], v[0:1], v[56:57], v[44:45] op_sel:[1,0,0]
	v_mov_b32_e32 v54, v71
	v_pk_fma_f32 v[44:45], v[2:3], v[54:55], v[44:45] op_sel_hi:[0,1,1]
	v_mov_b32_e32 v57, v71
	v_pk_fma_f32 v[44:45], v[60:61], v[56:57], v[44:45] op_sel_hi:[0,1,1]
	v_mov_b32_e32 v54, v80
	v_pk_fma_f32 v[44:45], v[12:13], v[54:55], v[44:45] op_sel_hi:[0,1,1]
	v_mov_b32_e32 v57, v80
	v_pk_fma_f32 v[44:45], v[12:13], v[56:57], v[44:45] op_sel:[1,0,0]
	v_mov_b32_e32 v54, v81
	v_pk_fma_f32 v[44:45], v[14:15], v[54:55], v[44:45] op_sel_hi:[0,1,1]
	v_mov_b32_e32 v57, v81
	v_pk_fma_f32 v[44:45], v[62:63], v[56:57], v[44:45] op_sel_hi:[0,1,1]
	v_mov_b32_e32 v54, v82
	v_pk_fma_f32 v[44:45], v[54:55], v[8:9], v[44:45] op_sel_hi:[1,0,1]
	v_mov_b32_e32 v57, v82
	v_pk_fma_f32 v[44:45], v[8:9], v[56:57], v[44:45] op_sel:[1,0,0]
	v_mov_b32_e32 v54, v83
	v_pk_fma_f32 v[44:45], v[10:11], v[54:55], v[44:45] op_sel_hi:[0,1,1]
	v_mov_b32_e32 v57, v83
	v_pk_fma_f32 v[44:45], v[64:65], v[56:57], v[44:45] op_sel_hi:[0,1,1]
	v_mov_b32_e32 v54, v92
	v_pk_fma_f32 v[44:45], v[20:21], v[54:55], v[44:45] op_sel_hi:[0,1,1]
	v_mov_b32_e32 v57, v92
	v_pk_fma_f32 v[44:45], v[20:21], v[56:57], v[44:45] op_sel:[1,0,0]
	v_mov_b32_e32 v54, v93
	v_pk_fma_f32 v[44:45], v[22:23], v[54:55], v[44:45] op_sel_hi:[0,1,1]
	v_mov_b32_e32 v57, v93
	v_pk_fma_f32 v[44:45], v[68:69], v[56:57], v[44:45] op_sel_hi:[0,1,1]
	v_mov_b32_e32 v54, v94
	v_pk_fma_f32 v[44:45], v[16:17], v[54:55], v[44:45] op_sel_hi:[0,1,1]
	v_mov_b32_e32 v57, v94
	v_pk_fma_f32 v[44:45], v[16:17], v[56:57], v[44:45] op_sel:[1,0,0]
	v_mov_b32_e32 v54, v95
	v_pk_fma_f32 v[44:45], v[18:19], v[54:55], v[44:45] op_sel_hi:[0,1,1]
	v_mov_b32_e32 v57, v95
	v_mov_b32_e32 v54, v65
	v_pk_fma_f32 v[44:45], v[72:73], v[56:57], v[44:45] op_sel_hi:[0,1,1]
	v_pk_fma_f32 v[4:5], v[6:7], v[54:55], v[4:5] op_sel_hi:[0,1,1]
	v_mov_b32_e32 v57, v65
	v_pk_fma_f32 v[4:5], v[58:59], v[56:57], v[4:5] op_sel_hi:[0,1,1]
	v_mov_b32_e32 v54, v66
	v_pk_fma_f32 v[4:5], v[0:1], v[54:55], v[4:5] op_sel_hi:[0,1,1]
	v_mov_b32_e32 v57, v66
	v_pk_fma_f32 v[0:1], v[0:1], v[56:57], v[4:5] op_sel:[1,0,0]
	v_mov_b32_e32 v54, v67
	v_pk_fma_f32 v[0:1], v[2:3], v[54:55], v[0:1] op_sel_hi:[0,1,1]
	v_mov_b32_e32 v57, v67
	v_pk_fma_f32 v[0:1], v[60:61], v[56:57], v[0:1] op_sel_hi:[0,1,1]
	v_mov_b32_e32 v54, v76
	v_pk_fma_f32 v[0:1], v[12:13], v[54:55], v[0:1] op_sel_hi:[0,1,1]
	v_mov_b32_e32 v57, v76
	v_pk_fma_f32 v[0:1], v[12:13], v[56:57], v[0:1] op_sel:[1,0,0]
	v_mov_b32_e32 v54, v77
	v_pk_fma_f32 v[0:1], v[14:15], v[54:55], v[0:1] op_sel_hi:[0,1,1]
	v_mov_b32_e32 v57, v77
	v_pk_fma_f32 v[0:1], v[62:63], v[56:57], v[0:1] op_sel_hi:[0,1,1]
	v_mov_b32_e32 v54, v78
	v_pk_fma_f32 v[0:1], v[54:55], v[8:9], v[0:1] op_sel_hi:[1,0,1]
	v_mov_b32_e32 v57, v78
	v_pk_fma_f32 v[0:1], v[8:9], v[56:57], v[0:1] op_sel:[1,0,0]
	v_mov_b32_e32 v54, v79
	v_pk_fma_f32 v[0:1], v[10:11], v[54:55], v[0:1] op_sel_hi:[0,1,1]
	v_mov_b32_e32 v57, v79
	v_pk_fma_f32 v[0:1], v[64:65], v[56:57], v[0:1] op_sel_hi:[0,1,1]
	v_mov_b32_e32 v54, v88
	v_pk_fma_f32 v[0:1], v[20:21], v[54:55], v[0:1] op_sel_hi:[0,1,1]
	v_mov_b32_e32 v57, v88
	v_pk_fma_f32 v[0:1], v[20:21], v[56:57], v[0:1] op_sel:[1,0,0]
	v_mov_b32_e32 v54, v89
	v_pk_fma_f32 v[0:1], v[22:23], v[54:55], v[0:1] op_sel_hi:[0,1,1]
	v_mov_b32_e32 v57, v89
	v_pk_fma_f32 v[0:1], v[68:69], v[56:57], v[0:1] op_sel_hi:[0,1,1]
	;; [unrolled: 2-line block ×3, first 2 shown]
	v_mov_b32_e32 v57, v90
	v_pk_fma_f32 v[0:1], v[16:17], v[56:57], v[0:1] op_sel:[1,0,0]
	v_mov_b32_e32 v54, v91
	v_pk_fma_f32 v[0:1], v[18:19], v[54:55], v[0:1] op_sel_hi:[0,1,1]
	v_mov_b32_e32 v57, v91
	v_pk_fma_f32 v[12:13], v[72:73], v[56:57], v[0:1] op_sel_hi:[0,1,1]
	s_andn2_b64 exec, exec, s[14:15]
	s_cbranch_execnz .LBB131_19
; %bb.20:
	s_or_b64 exec, exec, s[14:15]
.LBB131_21:
	s_or_b64 exec, exec, s[10:11]
	v_mov_b32_e32 v31, v43
.LBB131_22:
	s_or_b64 exec, exec, s[8:9]
	s_cbranch_execz .LBB131_24
	s_branch .LBB131_35
.LBB131_23:
                                        ; implicit-def: $vgpr42
                                        ; implicit-def: $vgpr41
                                        ; implicit-def: $vgpr45
                                        ; implicit-def: $vgpr13
.LBB131_24:
	v_mov_b32_e32 v31, 0
	v_mov_b32_e32 v42, 0
	v_mov_b32_e32 v41, 0
	v_mov_b32_e32 v40, 0
	v_mov_b32_e32 v45, 0
	v_mov_b32_e32 v44, 0
	v_mov_b32_e32 v13, 0
	v_mov_b32_e32 v12, 0
	s_and_saveexec_b64 s[8:9], s[4:5]
	s_cbranch_execz .LBB131_34
; %bb.25:
	v_or_b32_e32 v0, 8, v30
	v_sub_co_u32_e32 v0, vcc, v0, v32
	v_not_b32_e32 v3, v47
	s_nop 0
	v_subb_co_u32_e32 v1, vcc, 0, v33, vcc
	v_lshl_add_u64 v[0:1], v[0:1], 0, v[46:47]
	v_cmp_gt_i64_e32 vcc, v[0:1], v[36:37]
	v_not_b32_e32 v2, v46
	v_mov_b32_e32 v13, 0
	v_cndmask_b32_e32 v1, v37, v1, vcc
	v_cndmask_b32_e32 v0, v36, v0, vcc
	v_sub_co_u32_e32 v4, vcc, v32, v30
	v_mov_b32_e32 v44, v13
	s_nop 0
	v_subbrev_co_u32_e32 v5, vcc, 0, v33, vcc
	v_lshl_add_u64 v[2:3], v[4:5], 0, v[2:3]
	v_lshl_add_u64 v[0:1], v[2:3], 0, v[0:1]
	v_and_b32_e32 v12, 24, v0
	v_cmp_ne_u64_e32 vcc, 24, v[12:13]
	v_mov_b32_e32 v12, v13
	v_mov_b32_e32 v45, v13
	;; [unrolled: 1-line block ×6, first 2 shown]
	s_and_saveexec_b64 s[4:5], vcc
	s_cbranch_execz .LBB131_29
; %bb.26:
	v_lshrrev_b32_e32 v2, 3, v0
	v_add_u32_e32 v2, 1, v2
	v_and_b32_e32 v2, 3, v2
	v_sub_co_u32_e32 v6, vcc, 0, v2
	v_mov_b32_e32 v3, 0
	s_nop 0
	v_subb_co_u32_e64 v7, s[14:15], 0, 0, vcc
	v_lshl_add_u64 v[4:5], v[34:35], 3, s[12:13]
	s_mov_b64 s[10:11], 0
	s_mov_b64 s[14:15], 0x200
	v_bfrev_b32_e32 v8, 1
	v_mov_b32_e32 v12, v3
	v_mov_b32_e32 v13, v3
	;; [unrolled: 1-line block ×8, first 2 shown]
.LBB131_27:                             ; =>This Inner Loop Header: Depth=1
	global_load_dwordx2 v[10:11], v[4:5], off
	global_load_dwordx4 v[48:51], v[38:39], off offset:32
	global_load_dwordx4 v[52:55], v[38:39], off offset:16
	global_load_dwordx4 v[56:59], v[38:39], off
	v_lshl_add_u64 v[6:7], v[6:7], 0, 1
	v_lshl_add_u64 v[34:35], v[34:35], 0, 8
	;; [unrolled: 1-line block ×3, first 2 shown]
	s_waitcnt vmcnt(3)
	v_sub_co_u32_e32 v10, vcc, v10, v32
	s_nop 1
	v_subb_co_u32_e32 v11, vcc, v11, v33, vcc
	v_lshlrev_b64 v[10:11], 5, v[10:11]
	v_lshl_add_u64 v[10:11], s[2:3], 0, v[10:11]
	global_load_dwordx4 v[14:17], v[10:11], off
	global_load_dwordx4 v[18:21], v[10:11], off offset:16
	global_load_dwordx4 v[60:63], v[38:39], off offset:48
	s_waitcnt vmcnt(3)
	v_mov_b32_e32 v2, v56
	v_mov_b32_e32 v9, v56
	v_cmp_eq_u64_e32 vcc, 0, v[6:7]
	v_lshl_add_u64 v[38:39], v[38:39], 0, s[14:15]
	s_or_b64 s[10:11], vcc, s[10:11]
	s_waitcnt vmcnt(2)
	v_pk_fma_f32 v[10:11], v[14:15], v[2:3], v[42:43] op_sel_hi:[0,1,1]
	v_mov_b32_e32 v2, v52
	v_pk_fma_f32 v[10:11], v[14:15], v[8:9], v[10:11] op_sel:[1,0,0]
	v_mov_b32_e32 v22, v17
	v_mov_b32_e32 v9, v52
	v_pk_fma_f32 v[10:11], v[16:17], v[2:3], v[10:11] op_sel_hi:[0,1,1]
	v_mov_b32_e32 v2, v48
	v_pk_fma_f32 v[10:11], v[22:23], v[8:9], v[10:11] op_sel_hi:[0,1,1]
	v_mov_b32_e32 v9, v48
	s_waitcnt vmcnt(1)
	v_pk_fma_f32 v[10:11], v[18:19], v[2:3], v[10:11] op_sel_hi:[0,1,1]
	s_waitcnt vmcnt(0)
	v_mov_b32_e32 v2, v60
	v_pk_fma_f32 v[10:11], v[18:19], v[8:9], v[10:11] op_sel:[1,0,0]
	v_mov_b32_e32 v46, v21
	v_mov_b32_e32 v9, v60
	v_pk_fma_f32 v[10:11], v[20:21], v[2:3], v[10:11] op_sel_hi:[0,1,1]
	v_mov_b32_e32 v2, v57
	v_pk_fma_f32 v[42:43], v[46:47], v[8:9], v[10:11] op_sel_hi:[0,1,1]
	v_pk_fma_f32 v[10:11], v[14:15], v[2:3], v[40:41] op_sel_hi:[0,1,1]
	v_mov_b32_e32 v9, v57
	v_mov_b32_e32 v2, v53
	v_pk_fma_f32 v[10:11], v[14:15], v[8:9], v[10:11] op_sel:[1,0,0]
	v_mov_b32_e32 v9, v53
	v_pk_fma_f32 v[10:11], v[16:17], v[2:3], v[10:11] op_sel_hi:[0,1,1]
	v_mov_b32_e32 v2, v49
	v_pk_fma_f32 v[10:11], v[22:23], v[8:9], v[10:11] op_sel_hi:[0,1,1]
	v_mov_b32_e32 v9, v49
	v_pk_fma_f32 v[10:11], v[18:19], v[2:3], v[10:11] op_sel_hi:[0,1,1]
	v_mov_b32_e32 v2, v61
	v_pk_fma_f32 v[10:11], v[18:19], v[8:9], v[10:11] op_sel:[1,0,0]
	v_mov_b32_e32 v9, v61
	v_pk_fma_f32 v[10:11], v[20:21], v[2:3], v[10:11] op_sel_hi:[0,1,1]
	v_mov_b32_e32 v2, v58
	v_pk_fma_f32 v[40:41], v[46:47], v[8:9], v[10:11] op_sel_hi:[0,1,1]
	v_pk_fma_f32 v[10:11], v[14:15], v[2:3], v[44:45] op_sel_hi:[0,1,1]
	v_mov_b32_e32 v9, v58
	v_mov_b32_e32 v2, v54
	v_pk_fma_f32 v[10:11], v[14:15], v[8:9], v[10:11] op_sel:[1,0,0]
	v_mov_b32_e32 v9, v54
	v_pk_fma_f32 v[10:11], v[16:17], v[2:3], v[10:11] op_sel_hi:[0,1,1]
	v_mov_b32_e32 v2, v50
	v_pk_fma_f32 v[10:11], v[22:23], v[8:9], v[10:11] op_sel_hi:[0,1,1]
	v_mov_b32_e32 v9, v50
	v_pk_fma_f32 v[10:11], v[18:19], v[2:3], v[10:11] op_sel_hi:[0,1,1]
	v_mov_b32_e32 v2, v62
	v_pk_fma_f32 v[10:11], v[18:19], v[8:9], v[10:11] op_sel:[1,0,0]
	;; [unrolled: 16-line block ×3, first 2 shown]
	v_mov_b32_e32 v9, v63
	v_pk_fma_f32 v[10:11], v[20:21], v[2:3], v[10:11] op_sel_hi:[0,1,1]
	v_pk_fma_f32 v[12:13], v[46:47], v[8:9], v[10:11] op_sel_hi:[0,1,1]
	s_andn2_b64 exec, exec, s[10:11]
	s_cbranch_execnz .LBB131_27
; %bb.28:
	s_or_b64 exec, exec, s[10:11]
.LBB131_29:
	s_or_b64 exec, exec, s[4:5]
	v_cmp_lt_u64_e32 vcc, 23, v[0:1]
	s_and_saveexec_b64 s[4:5], vcc
	s_cbranch_execz .LBB131_33
; %bb.30:
	v_lshl_add_u64 v[0:1], v[34:35], 3, s[12:13]
	s_mov_b64 s[10:11], 0x80
	v_lshl_add_u64 v[14:15], v[0:1], 0, s[10:11]
	s_mov_b64 s[10:11], 0
	v_mov_b32_e32 v17, 0
	s_mov_b64 s[12:13], 0x100
	s_mov_b64 s[14:15], 0x800
	v_bfrev_b32_e32 v18, 1
.LBB131_31:                             ; =>This Inner Loop Header: Depth=1
	global_load_dwordx2 v[0:1], v[14:15], off offset:-128
	global_load_dwordx4 v[52:55], v[38:39], off offset:48
	global_load_dwordx4 v[56:59], v[38:39], off offset:32
	;; [unrolled: 1-line block ×3, first 2 shown]
	global_load_dwordx4 v[64:67], v[38:39], off
	v_lshl_add_u64 v[34:35], v[34:35], 0, 32
	s_waitcnt vmcnt(4)
	v_sub_co_u32_e32 v0, vcc, v0, v32
	s_nop 1
	v_subb_co_u32_e32 v1, vcc, v1, v33, vcc
	v_lshlrev_b64 v[0:1], 5, v[0:1]
	v_lshl_add_u64 v[4:5], s[2:3], 0, v[0:1]
	global_load_dwordx4 v[0:3], v[4:5], off offset:16
	global_load_dwordx4 v[46:49], v[4:5], off
	global_load_dwordx2 v[6:7], v[14:15], off offset:-64
	global_load_dwordx4 v[68:71], v[38:39], off offset:560
	global_load_dwordx4 v[72:75], v[38:39], off offset:544
	;; [unrolled: 1-line block ×4, first 2 shown]
	s_waitcnt vmcnt(7)
	v_mov_b32_e32 v16, v64
	v_mov_b32_e32 v19, v64
	s_waitcnt vmcnt(6)
	v_mov_b32_e32 v50, v3
	s_waitcnt vmcnt(5)
	;; [unrolled: 2-line block ×3, first 2 shown]
	v_sub_co_u32_e32 v4, vcc, v6, v32
	s_nop 1
	v_subb_co_u32_e32 v5, vcc, v7, v33, vcc
	v_lshlrev_b64 v[4:5], 5, v[4:5]
	v_lshl_add_u64 v[20:21], s[2:3], 0, v[4:5]
	global_load_dwordx4 v[4:7], v[20:21], off offset:16
	global_load_dwordx4 v[8:11], v[20:21], off
	v_pk_fma_f32 v[20:21], v[46:47], v[16:17], v[42:43] op_sel_hi:[0,1,1]
	v_pk_fma_f32 v[20:21], v[46:47], v[18:19], v[20:21] op_sel:[1,0,0]
	v_mov_b32_e32 v16, v60
	v_pk_fma_f32 v[20:21], v[48:49], v[16:17], v[20:21] op_sel_hi:[0,1,1]
	v_mov_b32_e32 v19, v60
	v_pk_fma_f32 v[20:21], v[22:23], v[18:19], v[20:21] op_sel_hi:[0,1,1]
	;; [unrolled: 2-line block ×3, first 2 shown]
	v_mov_b32_e32 v19, v56
	v_pk_fma_f32 v[20:21], v[0:1], v[18:19], v[20:21] op_sel:[1,0,0]
	v_mov_b32_e32 v16, v52
	v_pk_fma_f32 v[20:21], v[2:3], v[16:17], v[20:21] op_sel_hi:[0,1,1]
	v_mov_b32_e32 v19, v52
	v_pk_fma_f32 v[20:21], v[50:51], v[18:19], v[20:21] op_sel_hi:[0,1,1]
	s_waitcnt vmcnt(2)
	v_mov_b32_e32 v16, v80
	v_mov_b32_e32 v19, v80
	s_waitcnt vmcnt(0)
	v_pk_fma_f32 v[20:21], v[8:9], v[16:17], v[20:21] op_sel_hi:[0,1,1]
	v_mov_b32_e32 v16, v65
	v_pk_fma_f32 v[20:21], v[8:9], v[18:19], v[20:21] op_sel:[1,0,0]
	v_pk_fma_f32 v[40:41], v[46:47], v[16:17], v[40:41] op_sel_hi:[0,1,1]
	v_mov_b32_e32 v19, v65
	v_pk_fma_f32 v[40:41], v[46:47], v[18:19], v[40:41] op_sel:[1,0,0]
	v_mov_b32_e32 v16, v61
	v_pk_fma_f32 v[40:41], v[48:49], v[16:17], v[40:41] op_sel_hi:[0,1,1]
	v_mov_b32_e32 v19, v61
	v_pk_fma_f32 v[40:41], v[22:23], v[18:19], v[40:41] op_sel_hi:[0,1,1]
	v_mov_b32_e32 v16, v57
	v_pk_fma_f32 v[40:41], v[0:1], v[16:17], v[40:41] op_sel_hi:[0,1,1]
	v_mov_b32_e32 v19, v57
	v_pk_fma_f32 v[40:41], v[0:1], v[18:19], v[40:41] op_sel:[1,0,0]
	v_mov_b32_e32 v16, v53
	v_pk_fma_f32 v[40:41], v[2:3], v[16:17], v[40:41] op_sel_hi:[0,1,1]
	v_mov_b32_e32 v19, v53
	v_pk_fma_f32 v[40:41], v[50:51], v[18:19], v[40:41] op_sel_hi:[0,1,1]
	v_mov_b32_e32 v16, v81
	v_pk_fma_f32 v[40:41], v[8:9], v[16:17], v[40:41] op_sel_hi:[0,1,1]
	v_mov_b32_e32 v19, v81
	v_mov_b32_e32 v16, v66
	v_pk_fma_f32 v[42:43], v[8:9], v[18:19], v[40:41] op_sel:[1,0,0]
	v_pk_fma_f32 v[40:41], v[46:47], v[16:17], v[44:45] op_sel_hi:[0,1,1]
	v_mov_b32_e32 v19, v66
	v_pk_fma_f32 v[40:41], v[46:47], v[18:19], v[40:41] op_sel:[1,0,0]
	v_mov_b32_e32 v16, v62
	v_pk_fma_f32 v[40:41], v[48:49], v[16:17], v[40:41] op_sel_hi:[0,1,1]
	v_mov_b32_e32 v19, v62
	v_pk_fma_f32 v[40:41], v[22:23], v[18:19], v[40:41] op_sel_hi:[0,1,1]
	v_mov_b32_e32 v16, v58
	v_pk_fma_f32 v[40:41], v[0:1], v[16:17], v[40:41] op_sel_hi:[0,1,1]
	v_mov_b32_e32 v19, v58
	v_pk_fma_f32 v[40:41], v[0:1], v[18:19], v[40:41] op_sel:[1,0,0]
	v_mov_b32_e32 v16, v54
	v_pk_fma_f32 v[40:41], v[2:3], v[16:17], v[40:41] op_sel_hi:[0,1,1]
	v_mov_b32_e32 v19, v54
	v_pk_fma_f32 v[40:41], v[50:51], v[18:19], v[40:41] op_sel_hi:[0,1,1]
	v_mov_b32_e32 v16, v82
	v_pk_fma_f32 v[40:41], v[8:9], v[16:17], v[40:41] op_sel_hi:[0,1,1]
	v_mov_b32_e32 v19, v82
	;; [unrolled: 20-line block ×3, first 2 shown]
	v_pk_fma_f32 v[22:23], v[8:9], v[18:19], v[0:1] op_sel:[1,0,0]
	global_load_dwordx2 v[0:1], v[14:15], off
	global_load_dwordx4 v[54:57], v[38:39], off offset:1072
	global_load_dwordx4 v[58:61], v[38:39], off offset:1056
	;; [unrolled: 1-line block ×4, first 2 shown]
	v_mov_b32_e32 v16, v76
	v_mov_b32_e32 v48, v11
	v_mov_b32_e32 v19, v76
	v_mov_b32_e32 v50, v7
	s_waitcnt vmcnt(4)
	v_sub_co_u32_e32 v0, vcc, v0, v32
	s_nop 1
	v_subb_co_u32_e32 v1, vcc, v1, v33, vcc
	v_lshlrev_b64 v[0:1], 5, v[0:1]
	v_lshl_add_u64 v[8:9], s[2:3], 0, v[0:1]
	global_load_dwordx4 v[0:3], v[8:9], off offset:16
	global_load_dwordx4 v[44:47], v[8:9], off
	v_pk_fma_f32 v[8:9], v[10:11], v[16:17], v[20:21] op_sel_hi:[0,1,1]
	v_pk_fma_f32 v[8:9], v[48:49], v[18:19], v[8:9] op_sel_hi:[0,1,1]
	v_mov_b32_e32 v16, v72
	v_pk_fma_f32 v[8:9], v[4:5], v[16:17], v[8:9] op_sel_hi:[0,1,1]
	v_mov_b32_e32 v19, v72
	v_pk_fma_f32 v[8:9], v[4:5], v[18:19], v[8:9] op_sel:[1,0,0]
	v_mov_b32_e32 v16, v68
	v_pk_fma_f32 v[8:9], v[6:7], v[16:17], v[8:9] op_sel_hi:[0,1,1]
	v_mov_b32_e32 v19, v68
	v_pk_fma_f32 v[8:9], v[50:51], v[18:19], v[8:9] op_sel_hi:[0,1,1]
	s_waitcnt vmcnt(2)
	v_mov_b32_e32 v16, v80
	v_mov_b32_e32 v19, v80
	s_waitcnt vmcnt(0)
	v_pk_fma_f32 v[8:9], v[44:45], v[16:17], v[8:9] op_sel_hi:[0,1,1]
	v_pk_fma_f32 v[8:9], v[44:45], v[18:19], v[8:9] op_sel:[1,0,0]
	v_mov_b32_e32 v16, v62
	v_pk_fma_f32 v[8:9], v[46:47], v[16:17], v[8:9] op_sel_hi:[0,1,1]
	v_mov_b32_e32 v52, v47
	v_mov_b32_e32 v19, v62
	v_pk_fma_f32 v[8:9], v[52:53], v[18:19], v[8:9] op_sel_hi:[0,1,1]
	v_mov_b32_e32 v16, v58
	v_pk_fma_f32 v[20:21], v[0:1], v[16:17], v[8:9] op_sel_hi:[0,1,1]
	;; [unrolled: 2-line block ×5, first 2 shown]
	v_mov_b32_e32 v19, v73
	v_pk_fma_f32 v[8:9], v[4:5], v[18:19], v[8:9] op_sel:[1,0,0]
	v_mov_b32_e32 v16, v69
	v_pk_fma_f32 v[8:9], v[6:7], v[16:17], v[8:9] op_sel_hi:[0,1,1]
	v_mov_b32_e32 v19, v69
	v_pk_fma_f32 v[8:9], v[50:51], v[18:19], v[8:9] op_sel_hi:[0,1,1]
	;; [unrolled: 2-line block ×3, first 2 shown]
	v_mov_b32_e32 v19, v81
	v_pk_fma_f32 v[8:9], v[44:45], v[18:19], v[8:9] op_sel:[1,0,0]
	v_mov_b32_e32 v16, v63
	v_pk_fma_f32 v[8:9], v[46:47], v[16:17], v[8:9] op_sel_hi:[0,1,1]
	v_mov_b32_e32 v19, v63
	v_pk_fma_f32 v[8:9], v[52:53], v[18:19], v[8:9] op_sel_hi:[0,1,1]
	;; [unrolled: 2-line block ×6, first 2 shown]
	v_mov_b32_e32 v19, v74
	v_pk_fma_f32 v[12:13], v[4:5], v[18:19], v[12:13] op_sel:[1,0,0]
	v_mov_b32_e32 v16, v70
	v_pk_fma_f32 v[12:13], v[6:7], v[16:17], v[12:13] op_sel_hi:[0,1,1]
	v_mov_b32_e32 v19, v70
	v_pk_fma_f32 v[12:13], v[50:51], v[18:19], v[12:13] op_sel_hi:[0,1,1]
	;; [unrolled: 2-line block ×3, first 2 shown]
	v_mov_b32_e32 v19, v82
	v_pk_fma_f32 v[12:13], v[44:45], v[18:19], v[12:13] op_sel:[1,0,0]
	v_mov_b32_e32 v16, v64
	v_pk_fma_f32 v[12:13], v[46:47], v[16:17], v[12:13] op_sel_hi:[0,1,1]
	v_mov_b32_e32 v19, v64
	v_pk_fma_f32 v[12:13], v[52:53], v[18:19], v[12:13] op_sel_hi:[0,1,1]
	;; [unrolled: 2-line block ×6, first 2 shown]
	v_mov_b32_e32 v19, v75
	v_pk_fma_f32 v[4:5], v[4:5], v[18:19], v[10:11] op_sel:[1,0,0]
	v_mov_b32_e32 v16, v71
	v_pk_fma_f32 v[4:5], v[6:7], v[16:17], v[4:5] op_sel_hi:[0,1,1]
	global_load_dwordx2 v[6:7], v[14:15], off offset:64
	v_mov_b32_e32 v19, v71
	v_pk_fma_f32 v[4:5], v[50:51], v[18:19], v[4:5] op_sel_hi:[0,1,1]
	v_mov_b32_e32 v16, v83
	v_pk_fma_f32 v[4:5], v[44:45], v[16:17], v[4:5] op_sel_hi:[0,1,1]
	v_mov_b32_e32 v19, v83
	v_pk_fma_f32 v[4:5], v[44:45], v[18:19], v[4:5] op_sel:[1,0,0]
	v_mov_b32_e32 v16, v65
	v_pk_fma_f32 v[4:5], v[46:47], v[16:17], v[4:5] op_sel_hi:[0,1,1]
	v_mov_b32_e32 v19, v65
	global_load_dwordx4 v[62:65], v[38:39], off offset:1584
	global_load_dwordx4 v[66:69], v[38:39], off offset:1568
	;; [unrolled: 1-line block ×4, first 2 shown]
	v_pk_fma_f32 v[4:5], v[52:53], v[18:19], v[4:5] op_sel_hi:[0,1,1]
	v_mov_b32_e32 v16, v61
	v_mov_b32_e32 v19, v58
	v_pk_fma_f32 v[4:5], v[0:1], v[16:17], v[4:5] op_sel_hi:[0,1,1]
	v_mov_b32_e32 v16, v54
	v_mov_b32_e32 v10, v3
	v_lshl_add_u64 v[14:15], v[14:15], 0, s[12:13]
	v_lshl_add_u64 v[38:39], v[38:39], 0, s[14:15]
	s_waitcnt vmcnt(4)
	v_sub_co_u32_e32 v6, vcc, v6, v32
	s_nop 1
	v_subb_co_u32_e32 v7, vcc, v7, v33, vcc
	v_lshlrev_b64 v[6:7], 5, v[6:7]
	v_lshl_add_u64 v[6:7], s[2:3], 0, v[6:7]
	global_load_dwordx4 v[46:49], v[6:7], off offset:16
	global_load_dwordx4 v[50:53], v[6:7], off
	v_pk_fma_f32 v[6:7], v[0:1], v[18:19], v[20:21] op_sel:[1,0,0]
	v_mov_b32_e32 v19, v54
	v_pk_fma_f32 v[6:7], v[2:3], v[16:17], v[6:7] op_sel_hi:[0,1,1]
	v_pk_fma_f32 v[6:7], v[10:11], v[18:19], v[6:7] op_sel_hi:[0,1,1]
	s_waitcnt vmcnt(2)
	v_mov_b32_e32 v16, v74
	v_mov_b32_e32 v19, v74
	v_cmp_ge_i64_e32 vcc, v[34:35], v[36:37]
	s_or_b64 s[10:11], vcc, s[10:11]
	s_waitcnt vmcnt(1)
	v_mov_b32_e32 v22, v49
	s_waitcnt vmcnt(0)
	v_pk_fma_f32 v[6:7], v[50:51], v[16:17], v[6:7] op_sel_hi:[0,1,1]
	v_pk_fma_f32 v[6:7], v[50:51], v[18:19], v[6:7] op_sel:[1,0,0]
	v_mov_b32_e32 v16, v70
	v_pk_fma_f32 v[6:7], v[52:53], v[16:17], v[6:7] op_sel_hi:[0,1,1]
	v_mov_b32_e32 v20, v53
	v_mov_b32_e32 v19, v70
	v_pk_fma_f32 v[6:7], v[20:21], v[18:19], v[6:7] op_sel_hi:[0,1,1]
	v_mov_b32_e32 v16, v66
	v_pk_fma_f32 v[6:7], v[46:47], v[16:17], v[6:7] op_sel_hi:[0,1,1]
	v_mov_b32_e32 v19, v66
	v_pk_fma_f32 v[6:7], v[46:47], v[18:19], v[6:7] op_sel:[1,0,0]
	v_mov_b32_e32 v16, v62
	v_pk_fma_f32 v[6:7], v[48:49], v[16:17], v[6:7] op_sel_hi:[0,1,1]
	v_mov_b32_e32 v19, v62
	v_pk_fma_f32 v[42:43], v[22:23], v[18:19], v[6:7] op_sel_hi:[0,1,1]
	v_mov_b32_e32 v19, v59
	v_pk_fma_f32 v[6:7], v[0:1], v[18:19], v[8:9] op_sel:[1,0,0]
	v_mov_b32_e32 v16, v55
	v_pk_fma_f32 v[6:7], v[2:3], v[16:17], v[6:7] op_sel_hi:[0,1,1]
	v_mov_b32_e32 v19, v55
	v_pk_fma_f32 v[6:7], v[10:11], v[18:19], v[6:7] op_sel_hi:[0,1,1]
	v_mov_b32_e32 v16, v75
	v_pk_fma_f32 v[6:7], v[50:51], v[16:17], v[6:7] op_sel_hi:[0,1,1]
	v_mov_b32_e32 v19, v75
	v_pk_fma_f32 v[6:7], v[50:51], v[18:19], v[6:7] op_sel:[1,0,0]
	v_mov_b32_e32 v16, v71
	v_pk_fma_f32 v[6:7], v[52:53], v[16:17], v[6:7] op_sel_hi:[0,1,1]
	v_mov_b32_e32 v19, v71
	v_pk_fma_f32 v[6:7], v[20:21], v[18:19], v[6:7] op_sel_hi:[0,1,1]
	v_mov_b32_e32 v16, v67
	v_pk_fma_f32 v[6:7], v[46:47], v[16:17], v[6:7] op_sel_hi:[0,1,1]
	v_mov_b32_e32 v19, v67
	v_pk_fma_f32 v[6:7], v[46:47], v[18:19], v[6:7] op_sel:[1,0,0]
	v_mov_b32_e32 v16, v63
	v_pk_fma_f32 v[6:7], v[48:49], v[16:17], v[6:7] op_sel_hi:[0,1,1]
	v_mov_b32_e32 v19, v63
	v_pk_fma_f32 v[40:41], v[22:23], v[18:19], v[6:7] op_sel_hi:[0,1,1]
	v_mov_b32_e32 v19, v60
	v_pk_fma_f32 v[6:7], v[0:1], v[18:19], v[12:13] op_sel:[1,0,0]
	v_mov_b32_e32 v16, v56
	v_pk_fma_f32 v[6:7], v[2:3], v[16:17], v[6:7] op_sel_hi:[0,1,1]
	v_mov_b32_e32 v19, v56
	v_pk_fma_f32 v[6:7], v[10:11], v[18:19], v[6:7] op_sel_hi:[0,1,1]
	v_mov_b32_e32 v16, v76
	v_pk_fma_f32 v[6:7], v[50:51], v[16:17], v[6:7] op_sel_hi:[0,1,1]
	v_mov_b32_e32 v19, v76
	v_pk_fma_f32 v[6:7], v[50:51], v[18:19], v[6:7] op_sel:[1,0,0]
	v_mov_b32_e32 v16, v72
	v_pk_fma_f32 v[6:7], v[52:53], v[16:17], v[6:7] op_sel_hi:[0,1,1]
	;; [unrolled: 22-line block ×3, first 2 shown]
	v_mov_b32_e32 v19, v73
	v_pk_fma_f32 v[0:1], v[20:21], v[18:19], v[0:1] op_sel_hi:[0,1,1]
	v_mov_b32_e32 v16, v69
	v_pk_fma_f32 v[0:1], v[46:47], v[16:17], v[0:1] op_sel_hi:[0,1,1]
	v_mov_b32_e32 v19, v69
	v_pk_fma_f32 v[0:1], v[46:47], v[18:19], v[0:1] op_sel:[1,0,0]
	v_mov_b32_e32 v16, v65
	v_pk_fma_f32 v[0:1], v[48:49], v[16:17], v[0:1] op_sel_hi:[0,1,1]
	v_mov_b32_e32 v19, v65
	v_pk_fma_f32 v[12:13], v[22:23], v[18:19], v[0:1] op_sel_hi:[0,1,1]
	s_andn2_b64 exec, exec, s[10:11]
	s_cbranch_execnz .LBB131_31
; %bb.32:
	s_or_b64 exec, exec, s[10:11]
.LBB131_33:
	s_or_b64 exec, exec, s[4:5]
	v_mov_b32_e32 v31, v43
.LBB131_34:
	s_or_b64 exec, exec, s[8:9]
.LBB131_35:
	v_mov_b32_dpp v6, v41 row_shr:1 row_mask:0xf bank_mask:0xf
	v_add_f32_e32 v6, v41, v6
	v_mov_b32_dpp v0, v42 row_shr:1 row_mask:0xf bank_mask:0xf
	v_mov_b32_dpp v2, v31 row_shr:1 row_mask:0xf bank_mask:0xf
	;; [unrolled: 1-line block ×3, first 2 shown]
	v_add_f32_e32 v7, v6, v7
	v_mov_b32_dpp v6, v44 row_shr:1 row_mask:0xf bank_mask:0xf
	v_add_f32_e32 v6, v44, v6
	v_mov_b32_dpp v4, v40 row_shr:1 row_mask:0xf bank_mask:0xf
	;; [unrolled: 2-line block ×4, first 2 shown]
	v_add_f32_e32 v6, v45, v6
	v_add_f32_e32 v2, v31, v2
	v_add_f32_e32 v4, v40, v4
	v_mov_b32_dpp v11, v6 row_shr:2 row_mask:0xf bank_mask:0xf
	v_add_f32_e32 v11, v6, v11
	v_mov_b32_dpp v6, v12 row_shr:1 row_mask:0xf bank_mask:0xf
	v_add_f32_e32 v6, v12, v6
	v_mov_b32_dpp v1, v0 row_shr:2 row_mask:0xf bank_mask:0xf
	v_mov_b32_dpp v3, v2 row_shr:2 row_mask:0xf bank_mask:0xf
	;; [unrolled: 1-line block ×3, first 2 shown]
	v_add_f32_e32 v16, v6, v12
	v_mov_b32_dpp v6, v13 row_shr:1 row_mask:0xf bank_mask:0xf
	v_add_f32_e32 v6, v13, v6
	v_mov_b32_dpp v5, v4 row_shr:2 row_mask:0xf bank_mask:0xf
	;; [unrolled: 2-line block ×3, first 2 shown]
	v_add_f32_e32 v2, v2, v3
	v_add_f32_e32 v4, v4, v5
	;; [unrolled: 1-line block ×3, first 2 shown]
	v_mov_b32_dpp v1, v0 row_shr:4 row_mask:0xf bank_mask:0xe
	v_mov_b32_dpp v3, v2 row_shr:4 row_mask:0xf bank_mask:0xe
	;; [unrolled: 1-line block ×8, first 2 shown]
	v_cmp_eq_u32_e32 vcc, 7, v30
	s_and_b64 exec, exec, vcc
	s_cbranch_execz .LBB131_6
; %bb.36:
	s_load_dwordx2 s[0:1], s[0:1], 0x58
	v_cmp_eq_f32_e32 vcc, 0, v26
	s_xor_b64 s[2:3], s[6:7], -1
	v_add_f32_e32 v6, v0, v1
	v_add_f32_e32 v14, v2, v3
	v_add_f32_e32 v4, v4, v5
	v_add_f32_e32 v12, v7, v8
	v_add_f32_e32 v2, v9, v10
	v_add_f32_e32 v10, v11, v15
	v_add_f32_e32 v0, v16, v17
	v_add_f32_e32 v8, v13, v18
	s_and_b64 s[2:3], vcc, s[2:3]
	v_lshlrev_b64 v[16:17], 5, v[28:29]
	s_and_saveexec_b64 s[4:5], s[2:3]
	s_xor_b64 s[2:3], exec, s[4:5]
	s_cbranch_execz .LBB131_38
; %bb.37:
	v_xor_b32_e32 v18, 0x80000000, v25
	v_mov_b32_e32 v19, v24
	v_pk_mul_f32 v[14:15], v[14:15], v[18:19] op_sel_hi:[0,1]
	v_pk_fma_f32 v[14:15], v[24:25], v[6:7], v[14:15] op_sel_hi:[1,0,1]
	v_pk_mul_f32 v[6:7], v[12:13], v[18:19] op_sel_hi:[0,1]
	s_waitcnt lgkmcnt(0)
	v_lshl_add_u64 v[20:21], s[0:1], 0, v[16:17]
	v_pk_fma_f32 v[16:17], v[24:25], v[4:5], v[6:7] op_sel_hi:[1,0,1]
	v_pk_mul_f32 v[4:5], v[10:11], v[18:19] op_sel_hi:[0,1]
	v_pk_fma_f32 v[2:3], v[24:25], v[2:3], v[4:5] op_sel_hi:[1,0,1]
	v_pk_mul_f32 v[4:5], v[8:9], v[18:19] op_sel_hi:[0,1]
	v_pk_fma_f32 v[4:5], v[24:25], v[0:1], v[4:5] op_sel_hi:[1,0,1]
	global_store_dwordx4 v[20:21], v[14:17], off
	global_store_dwordx4 v[20:21], v[2:5], off offset:16
                                        ; implicit-def: $vgpr6
                                        ; implicit-def: $vgpr14
                                        ; implicit-def: $vgpr4
                                        ; implicit-def: $vgpr12
                                        ; implicit-def: $vgpr2
                                        ; implicit-def: $vgpr10
                                        ; implicit-def: $vgpr0
                                        ; implicit-def: $vgpr8
                                        ; implicit-def: $vgpr24_vgpr25
                                        ; implicit-def: $vgpr26_vgpr27
                                        ; implicit-def: $vgpr16_vgpr17
.LBB131_38:
	s_andn2_saveexec_b64 s[2:3], s[2:3]
	s_cbranch_execz .LBB131_6
; %bb.39:
	s_waitcnt lgkmcnt(0)
	v_lshl_add_u64 v[28:29], s[0:1], 0, v[16:17]
	global_load_dwordx4 v[16:19], v[28:29], off
	global_load_dwordx4 v[20:23], v[28:29], off offset:16
	v_xor_b32_e32 v30, 0x80000000, v25
	v_mov_b32_e32 v31, v24
	v_pk_mul_f32 v[14:15], v[14:15], v[30:31] op_sel_hi:[0,1]
	v_pk_mul_f32 v[12:13], v[12:13], v[30:31] op_sel_hi:[0,1]
	;; [unrolled: 1-line block ×4, first 2 shown]
	v_pk_fma_f32 v[6:7], v[24:25], v[6:7], v[14:15] op_sel_hi:[1,0,1]
	v_pk_fma_f32 v[4:5], v[24:25], v[4:5], v[12:13] op_sel_hi:[1,0,1]
	v_xor_b32_e32 v32, 0x80000000, v27
	v_mov_b32_e32 v33, v26
	v_pk_fma_f32 v[2:3], v[24:25], v[2:3], v[10:11] op_sel_hi:[1,0,1]
	v_pk_fma_f32 v[0:1], v[24:25], v[0:1], v[8:9] op_sel_hi:[1,0,1]
	s_waitcnt vmcnt(1)
	v_pk_fma_f32 v[6:7], v[26:27], v[16:17], v[6:7] op_sel_hi:[1,0,1]
	v_pk_fma_f32 v[4:5], v[26:27], v[18:19], v[4:5] op_sel_hi:[1,0,1]
	v_mov_b32_e32 v8, v19
	s_waitcnt vmcnt(0)
	v_pk_fma_f32 v[10:11], v[26:27], v[20:21], v[2:3] op_sel_hi:[1,0,1]
	v_pk_fma_f32 v[12:13], v[26:27], v[22:23], v[0:1] op_sel_hi:[1,0,1]
	v_mov_b32_e32 v14, v23
	v_pk_fma_f32 v[0:1], v[32:33], v[16:17], v[6:7] op_sel:[0,1,0]
	v_pk_fma_f32 v[2:3], v[32:33], v[8:9], v[4:5] op_sel_hi:[1,0,1]
	v_pk_fma_f32 v[4:5], v[32:33], v[20:21], v[10:11] op_sel:[0,1,0]
	v_pk_fma_f32 v[6:7], v[32:33], v[14:15], v[12:13] op_sel_hi:[1,0,1]
	global_store_dwordx4 v[28:29], v[0:3], off
	global_store_dwordx4 v[28:29], v[4:7], off offset:16
	s_endpgm
	.section	.rodata,"a",@progbits
	.p2align	6, 0x0
	.amdhsa_kernel _ZN9rocsparseL18bsrxmvn_4x4_kernelILj128ELj8E21rocsparse_complex_numIfEllfS2_S2_EEvT3_20rocsparse_direction_NS_24const_host_device_scalarIT1_EES3_PKS3_PKT2_SC_S9_PKT4_PKT5_S7_PT6_21rocsparse_index_base_b
		.amdhsa_group_segment_fixed_size 0
		.amdhsa_private_segment_fixed_size 0
		.amdhsa_kernarg_size 104
		.amdhsa_user_sgpr_count 2
		.amdhsa_user_sgpr_dispatch_ptr 0
		.amdhsa_user_sgpr_queue_ptr 0
		.amdhsa_user_sgpr_kernarg_segment_ptr 1
		.amdhsa_user_sgpr_dispatch_id 0
		.amdhsa_user_sgpr_kernarg_preload_length 0
		.amdhsa_user_sgpr_kernarg_preload_offset 0
		.amdhsa_user_sgpr_private_segment_size 0
		.amdhsa_uses_dynamic_stack 0
		.amdhsa_enable_private_segment 0
		.amdhsa_system_sgpr_workgroup_id_x 1
		.amdhsa_system_sgpr_workgroup_id_y 0
		.amdhsa_system_sgpr_workgroup_id_z 0
		.amdhsa_system_sgpr_workgroup_info 0
		.amdhsa_system_vgpr_workitem_id 0
		.amdhsa_next_free_vgpr 104
		.amdhsa_next_free_sgpr 20
		.amdhsa_accum_offset 104
		.amdhsa_reserve_vcc 1
		.amdhsa_float_round_mode_32 0
		.amdhsa_float_round_mode_16_64 0
		.amdhsa_float_denorm_mode_32 3
		.amdhsa_float_denorm_mode_16_64 3
		.amdhsa_dx10_clamp 1
		.amdhsa_ieee_mode 1
		.amdhsa_fp16_overflow 0
		.amdhsa_tg_split 0
		.amdhsa_exception_fp_ieee_invalid_op 0
		.amdhsa_exception_fp_denorm_src 0
		.amdhsa_exception_fp_ieee_div_zero 0
		.amdhsa_exception_fp_ieee_overflow 0
		.amdhsa_exception_fp_ieee_underflow 0
		.amdhsa_exception_fp_ieee_inexact 0
		.amdhsa_exception_int_div_zero 0
	.end_amdhsa_kernel
	.section	.text._ZN9rocsparseL18bsrxmvn_4x4_kernelILj128ELj8E21rocsparse_complex_numIfEllfS2_S2_EEvT3_20rocsparse_direction_NS_24const_host_device_scalarIT1_EES3_PKS3_PKT2_SC_S9_PKT4_PKT5_S7_PT6_21rocsparse_index_base_b,"axG",@progbits,_ZN9rocsparseL18bsrxmvn_4x4_kernelILj128ELj8E21rocsparse_complex_numIfEllfS2_S2_EEvT3_20rocsparse_direction_NS_24const_host_device_scalarIT1_EES3_PKS3_PKT2_SC_S9_PKT4_PKT5_S7_PT6_21rocsparse_index_base_b,comdat
.Lfunc_end131:
	.size	_ZN9rocsparseL18bsrxmvn_4x4_kernelILj128ELj8E21rocsparse_complex_numIfEllfS2_S2_EEvT3_20rocsparse_direction_NS_24const_host_device_scalarIT1_EES3_PKS3_PKT2_SC_S9_PKT4_PKT5_S7_PT6_21rocsparse_index_base_b, .Lfunc_end131-_ZN9rocsparseL18bsrxmvn_4x4_kernelILj128ELj8E21rocsparse_complex_numIfEllfS2_S2_EEvT3_20rocsparse_direction_NS_24const_host_device_scalarIT1_EES3_PKS3_PKT2_SC_S9_PKT4_PKT5_S7_PT6_21rocsparse_index_base_b
                                        ; -- End function
	.set _ZN9rocsparseL18bsrxmvn_4x4_kernelILj128ELj8E21rocsparse_complex_numIfEllfS2_S2_EEvT3_20rocsparse_direction_NS_24const_host_device_scalarIT1_EES3_PKS3_PKT2_SC_S9_PKT4_PKT5_S7_PT6_21rocsparse_index_base_b.num_vgpr, 104
	.set _ZN9rocsparseL18bsrxmvn_4x4_kernelILj128ELj8E21rocsparse_complex_numIfEllfS2_S2_EEvT3_20rocsparse_direction_NS_24const_host_device_scalarIT1_EES3_PKS3_PKT2_SC_S9_PKT4_PKT5_S7_PT6_21rocsparse_index_base_b.num_agpr, 0
	.set _ZN9rocsparseL18bsrxmvn_4x4_kernelILj128ELj8E21rocsparse_complex_numIfEllfS2_S2_EEvT3_20rocsparse_direction_NS_24const_host_device_scalarIT1_EES3_PKS3_PKT2_SC_S9_PKT4_PKT5_S7_PT6_21rocsparse_index_base_b.numbered_sgpr, 20
	.set _ZN9rocsparseL18bsrxmvn_4x4_kernelILj128ELj8E21rocsparse_complex_numIfEllfS2_S2_EEvT3_20rocsparse_direction_NS_24const_host_device_scalarIT1_EES3_PKS3_PKT2_SC_S9_PKT4_PKT5_S7_PT6_21rocsparse_index_base_b.num_named_barrier, 0
	.set _ZN9rocsparseL18bsrxmvn_4x4_kernelILj128ELj8E21rocsparse_complex_numIfEllfS2_S2_EEvT3_20rocsparse_direction_NS_24const_host_device_scalarIT1_EES3_PKS3_PKT2_SC_S9_PKT4_PKT5_S7_PT6_21rocsparse_index_base_b.private_seg_size, 0
	.set _ZN9rocsparseL18bsrxmvn_4x4_kernelILj128ELj8E21rocsparse_complex_numIfEllfS2_S2_EEvT3_20rocsparse_direction_NS_24const_host_device_scalarIT1_EES3_PKS3_PKT2_SC_S9_PKT4_PKT5_S7_PT6_21rocsparse_index_base_b.uses_vcc, 1
	.set _ZN9rocsparseL18bsrxmvn_4x4_kernelILj128ELj8E21rocsparse_complex_numIfEllfS2_S2_EEvT3_20rocsparse_direction_NS_24const_host_device_scalarIT1_EES3_PKS3_PKT2_SC_S9_PKT4_PKT5_S7_PT6_21rocsparse_index_base_b.uses_flat_scratch, 0
	.set _ZN9rocsparseL18bsrxmvn_4x4_kernelILj128ELj8E21rocsparse_complex_numIfEllfS2_S2_EEvT3_20rocsparse_direction_NS_24const_host_device_scalarIT1_EES3_PKS3_PKT2_SC_S9_PKT4_PKT5_S7_PT6_21rocsparse_index_base_b.has_dyn_sized_stack, 0
	.set _ZN9rocsparseL18bsrxmvn_4x4_kernelILj128ELj8E21rocsparse_complex_numIfEllfS2_S2_EEvT3_20rocsparse_direction_NS_24const_host_device_scalarIT1_EES3_PKS3_PKT2_SC_S9_PKT4_PKT5_S7_PT6_21rocsparse_index_base_b.has_recursion, 0
	.set _ZN9rocsparseL18bsrxmvn_4x4_kernelILj128ELj8E21rocsparse_complex_numIfEllfS2_S2_EEvT3_20rocsparse_direction_NS_24const_host_device_scalarIT1_EES3_PKS3_PKT2_SC_S9_PKT4_PKT5_S7_PT6_21rocsparse_index_base_b.has_indirect_call, 0
	.section	.AMDGPU.csdata,"",@progbits
; Kernel info:
; codeLenInByte = 6932
; TotalNumSgprs: 26
; NumVgprs: 104
; NumAgprs: 0
; TotalNumVgprs: 104
; ScratchSize: 0
; MemoryBound: 0
; FloatMode: 240
; IeeeMode: 1
; LDSByteSize: 0 bytes/workgroup (compile time only)
; SGPRBlocks: 3
; VGPRBlocks: 12
; NumSGPRsForWavesPerEU: 26
; NumVGPRsForWavesPerEU: 104
; AccumOffset: 104
; Occupancy: 4
; WaveLimiterHint : 1
; COMPUTE_PGM_RSRC2:SCRATCH_EN: 0
; COMPUTE_PGM_RSRC2:USER_SGPR: 2
; COMPUTE_PGM_RSRC2:TRAP_HANDLER: 0
; COMPUTE_PGM_RSRC2:TGID_X_EN: 1
; COMPUTE_PGM_RSRC2:TGID_Y_EN: 0
; COMPUTE_PGM_RSRC2:TGID_Z_EN: 0
; COMPUTE_PGM_RSRC2:TIDIG_COMP_CNT: 0
; COMPUTE_PGM_RSRC3_GFX90A:ACCUM_OFFSET: 25
; COMPUTE_PGM_RSRC3_GFX90A:TG_SPLIT: 0
	.section	.text._ZN9rocsparseL18bsrxmvn_4x4_kernelILj128ELj16E21rocsparse_complex_numIfEllfS2_S2_EEvT3_20rocsparse_direction_NS_24const_host_device_scalarIT1_EES3_PKS3_PKT2_SC_S9_PKT4_PKT5_S7_PT6_21rocsparse_index_base_b,"axG",@progbits,_ZN9rocsparseL18bsrxmvn_4x4_kernelILj128ELj16E21rocsparse_complex_numIfEllfS2_S2_EEvT3_20rocsparse_direction_NS_24const_host_device_scalarIT1_EES3_PKS3_PKT2_SC_S9_PKT4_PKT5_S7_PT6_21rocsparse_index_base_b,comdat
	.globl	_ZN9rocsparseL18bsrxmvn_4x4_kernelILj128ELj16E21rocsparse_complex_numIfEllfS2_S2_EEvT3_20rocsparse_direction_NS_24const_host_device_scalarIT1_EES3_PKS3_PKT2_SC_S9_PKT4_PKT5_S7_PT6_21rocsparse_index_base_b ; -- Begin function _ZN9rocsparseL18bsrxmvn_4x4_kernelILj128ELj16E21rocsparse_complex_numIfEllfS2_S2_EEvT3_20rocsparse_direction_NS_24const_host_device_scalarIT1_EES3_PKS3_PKT2_SC_S9_PKT4_PKT5_S7_PT6_21rocsparse_index_base_b
	.p2align	8
	.type	_ZN9rocsparseL18bsrxmvn_4x4_kernelILj128ELj16E21rocsparse_complex_numIfEllfS2_S2_EEvT3_20rocsparse_direction_NS_24const_host_device_scalarIT1_EES3_PKS3_PKT2_SC_S9_PKT4_PKT5_S7_PT6_21rocsparse_index_base_b,@function
_ZN9rocsparseL18bsrxmvn_4x4_kernelILj128ELj16E21rocsparse_complex_numIfEllfS2_S2_EEvT3_20rocsparse_direction_NS_24const_host_device_scalarIT1_EES3_PKS3_PKT2_SC_S9_PKT4_PKT5_S7_PT6_21rocsparse_index_base_b: ; @_ZN9rocsparseL18bsrxmvn_4x4_kernelILj128ELj16E21rocsparse_complex_numIfEllfS2_S2_EEvT3_20rocsparse_direction_NS_24const_host_device_scalarIT1_EES3_PKS3_PKT2_SC_S9_PKT4_PKT5_S7_PT6_21rocsparse_index_base_b
; %bb.0:
	s_load_dwordx4 s[8:11], s[0:1], 0x10
	s_load_dwordx2 s[12:13], s[0:1], 0x60
	s_add_u32 s3, s0, 16
	s_addc_u32 s6, s1, 0
	s_load_dwordx2 s[4:5], s[0:1], 0x50
	s_add_u32 s7, s0, 0x50
	s_addc_u32 s14, s1, 0
	s_waitcnt lgkmcnt(0)
	s_bitcmp1_b32 s13, 0
	s_cselect_b32 s3, s3, s8
	s_cselect_b32 s6, s6, s9
	v_mov_b32_e32 v2, s3
	s_cselect_b32 s3, s14, s5
	s_cselect_b32 s4, s7, s4
	v_mov_b32_e32 v3, s6
	v_mov_b32_e32 v4, s4
	;; [unrolled: 1-line block ×3, first 2 shown]
	flat_load_dwordx2 v[24:25], v[2:3]
	flat_load_dwordx2 v[26:27], v[4:5]
	s_waitcnt vmcnt(0) lgkmcnt(0)
	v_cmp_neq_f32_e32 vcc, 0, v24
	v_cmp_neq_f32_e64 s[4:5], 0, v25
	v_cmp_neq_f32_e64 s[8:9], 1.0, v26
	v_cmp_neq_f32_e64 s[6:7], 0, v27
	s_or_b64 s[4:5], vcc, s[4:5]
	s_or_b64 s[8:9], s[8:9], s[6:7]
	s_or_b64 s[4:5], s[4:5], s[8:9]
	s_and_saveexec_b64 s[8:9], s[4:5]
	s_cbranch_execz .LBB132_6
; %bb.1:
	s_load_dwordx2 s[4:5], s[0:1], 0x20
	v_lshrrev_b32_e32 v1, 4, v0
	v_lshl_or_b32 v2, s2, 3, v1
	v_mov_b32_e32 v3, 0
	s_mov_b64 s[2:3], 0
	s_waitcnt lgkmcnt(0)
	s_cmp_lg_u64 s[4:5], 0
	s_cbranch_scc0 .LBB132_7
; %bb.2:
	v_cmp_gt_i64_e32 vcc, s[10:11], v[2:3]
                                        ; implicit-def: $vgpr28_vgpr29
                                        ; implicit-def: $vgpr32_vgpr33
	s_and_saveexec_b64 s[8:9], vcc
	s_xor_b64 s[8:9], exec, s[8:9]
	s_cbranch_execz .LBB132_4
; %bb.3:
	v_lshl_add_u64 v[4:5], v[2:3], 3, s[4:5]
	global_load_dwordx2 v[4:5], v[4:5], off
	s_mov_b32 s13, 0
	s_mov_b64 s[2:3], exec
	v_mov_b64_e32 v[32:33], s[12:13]
	s_waitcnt vmcnt(0)
	v_subrev_co_u32_e32 v28, vcc, s12, v4
	s_nop 1
	v_subbrev_co_u32_e32 v29, vcc, 0, v5, vcc
.LBB132_4:
	s_or_b64 exec, exec, s[8:9]
.LBB132_5:
	s_and_b64 exec, exec, s[2:3]
	s_cbranch_execnz .LBB132_11
.LBB132_6:
	s_endpgm
.LBB132_7:
                                        ; implicit-def: $vgpr28_vgpr29
                                        ; implicit-def: $vgpr32_vgpr33
	s_cbranch_execz .LBB132_5
; %bb.8:
	s_load_dwordx2 s[4:5], s[0:1], 0x0
	s_waitcnt lgkmcnt(0)
	v_cmp_gt_i64_e32 vcc, s[4:5], v[2:3]
	s_and_saveexec_b64 s[4:5], vcc
; %bb.9:
	s_mov_b32 s13, 0
	s_or_b64 s[2:3], s[2:3], exec
; %bb.10:
	s_or_b64 exec, exec, s[4:5]
	v_mov_b64_e32 v[32:33], s[12:13]
	v_mov_b64_e32 v[28:29], v[2:3]
	s_and_b64 exec, exec, s[2:3]
	s_cbranch_execz .LBB132_6
.LBB132_11:
	s_load_dwordx8 s[8:15], s[0:1], 0x28
	v_lshlrev_b64 v[2:3], 3, v[28:29]
	v_and_b32_e32 v30, 15, v0
	v_mov_b32_e32 v31, 0
	s_waitcnt lgkmcnt(0)
	v_lshl_add_u64 v[4:5], s[8:9], 0, v[2:3]
	s_cmp_eq_u64 s[10:11], 0
	v_lshl_add_u64 v[2:3], s[10:11], 0, v[2:3]
	global_load_dwordx2 v[46:47], v[4:5], off
	v_lshl_add_u64 v[4:5], v[4:5], 0, 8
	s_cselect_b64 vcc, -1, 0
	v_cndmask_b32_e32 v3, v3, v5, vcc
	v_cndmask_b32_e32 v2, v2, v4, vcc
	global_load_dwordx2 v[2:3], v[2:3], off
	s_load_dword s4, s[0:1], 0x8
	s_load_dwordx2 s[2:3], s[0:1], 0x48
	s_waitcnt lgkmcnt(0)
	s_cmp_eq_u32 s4, 1
	s_waitcnt vmcnt(1)
	v_sub_co_u32_e32 v0, vcc, v46, v32
	s_nop 1
	v_subb_co_u32_e32 v1, vcc, v47, v33, vcc
	v_lshl_add_u64 v[34:35], v[0:1], 0, v[30:31]
	s_waitcnt vmcnt(0)
	v_sub_co_u32_e32 v36, vcc, v2, v32
	v_lshlrev_b64 v[0:1], 6, v[34:35]
	s_nop 0
	v_subb_co_u32_e32 v37, vcc, v3, v33, vcc
	v_lshl_add_u64 v[38:39], s[14:15], 0, v[0:1]
	v_cmp_lt_i64_e64 s[4:5], v[34:35], v[36:37]
	s_cbranch_scc1 .LBB132_23
; %bb.12:
	v_mov_b32_e32 v42, v31
	v_mov_b32_e32 v41, v31
	;; [unrolled: 1-line block ×7, first 2 shown]
	s_and_saveexec_b64 s[8:9], s[4:5]
	s_cbranch_execz .LBB132_22
; %bb.13:
	v_or_b32_e32 v0, 16, v30
	v_sub_co_u32_e32 v0, vcc, v0, v32
	v_not_b32_e32 v3, v47
	s_nop 0
	v_subb_co_u32_e32 v1, vcc, 0, v33, vcc
	v_lshl_add_u64 v[0:1], v[0:1], 0, v[46:47]
	v_cmp_gt_i64_e32 vcc, v[0:1], v[36:37]
	v_not_b32_e32 v2, v46
	v_mov_b32_e32 v13, 0
	v_cndmask_b32_e32 v1, v37, v1, vcc
	v_cndmask_b32_e32 v0, v36, v0, vcc
	v_sub_co_u32_e32 v4, vcc, v32, v30
	v_mov_b32_e32 v44, v13
	s_nop 0
	v_subbrev_co_u32_e32 v5, vcc, 0, v33, vcc
	v_lshl_add_u64 v[2:3], v[4:5], 0, v[2:3]
	v_lshl_add_u64 v[0:1], v[2:3], 0, v[0:1]
	v_and_b32_e32 v12, 48, v0
	v_cmp_ne_u64_e32 vcc, 48, v[12:13]
	v_mov_b32_e32 v12, v13
	v_mov_b32_e32 v45, v13
	;; [unrolled: 1-line block ×6, first 2 shown]
	v_mov_b64_e32 v[48:49], v[38:39]
	v_mov_b64_e32 v[50:51], v[34:35]
	s_and_saveexec_b64 s[10:11], vcc
	s_cbranch_execz .LBB132_17
; %bb.14:
	v_lshrrev_b32_e32 v2, 4, v0
	v_add_u32_e32 v2, 1, v2
	v_and_b32_e32 v2, 3, v2
	v_sub_co_u32_e32 v6, vcc, 0, v2
	v_mov_b32_e32 v3, 0
	s_nop 0
	v_subb_co_u32_e64 v7, s[16:17], 0, 0, vcc
	v_lshl_add_u64 v[4:5], v[34:35], 3, s[12:13]
	s_mov_b64 s[14:15], 0
	s_mov_b64 s[16:17], 0x400
	;; [unrolled: 1-line block ×3, first 2 shown]
	v_bfrev_b32_e32 v8, 1
	v_mov_b64_e32 v[50:51], v[34:35]
	v_mov_b64_e32 v[48:49], v[38:39]
	v_mov_b32_e32 v12, v3
	v_mov_b32_e32 v13, v3
	;; [unrolled: 1-line block ×8, first 2 shown]
.LBB132_15:                             ; =>This Inner Loop Header: Depth=1
	global_load_dwordx2 v[10:11], v[4:5], off
	global_load_dwordx4 v[54:57], v[48:49], off offset:16
	global_load_dwordx4 v[58:61], v[48:49], off
	v_lshl_add_u64 v[6:7], v[6:7], 0, 1
	v_lshl_add_u64 v[50:51], v[50:51], 0, 16
	;; [unrolled: 1-line block ×3, first 2 shown]
	s_waitcnt vmcnt(2)
	v_sub_co_u32_e32 v10, vcc, v10, v32
	s_nop 1
	v_subb_co_u32_e32 v11, vcc, v11, v33, vcc
	v_lshlrev_b64 v[10:11], 5, v[10:11]
	v_lshl_add_u64 v[10:11], s[2:3], 0, v[10:11]
	global_load_dwordx4 v[14:17], v[10:11], off
	global_load_dwordx4 v[18:21], v[10:11], off offset:16
	global_load_dwordx4 v[62:65], v[48:49], off offset:32
	;; [unrolled: 1-line block ×3, first 2 shown]
	s_waitcnt vmcnt(4)
	v_mov_b32_e32 v2, v58
	v_mov_b32_e32 v9, v58
	v_cmp_eq_u64_e32 vcc, 0, v[6:7]
	v_lshl_add_u64 v[48:49], v[48:49], 0, s[16:17]
	s_or_b64 s[14:15], vcc, s[14:15]
	s_waitcnt vmcnt(3)
	v_pk_fma_f32 v[10:11], v[14:15], v[2:3], v[42:43] op_sel_hi:[0,1,1]
	v_mov_b32_e32 v2, v59
	v_pk_fma_f32 v[10:11], v[14:15], v[8:9], v[10:11] op_sel:[1,0,0]
	v_mov_b32_e32 v22, v17
	v_mov_b32_e32 v9, v59
	v_pk_fma_f32 v[10:11], v[16:17], v[2:3], v[10:11] op_sel_hi:[0,1,1]
	v_mov_b32_e32 v2, v60
	v_pk_fma_f32 v[10:11], v[22:23], v[8:9], v[10:11] op_sel_hi:[0,1,1]
	v_mov_b32_e32 v9, v60
	s_waitcnt vmcnt(2)
	v_pk_fma_f32 v[10:11], v[18:19], v[2:3], v[10:11] op_sel_hi:[0,1,1]
	v_mov_b32_e32 v2, v61
	v_pk_fma_f32 v[10:11], v[18:19], v[8:9], v[10:11] op_sel:[1,0,0]
	v_mov_b32_e32 v52, v21
	v_mov_b32_e32 v9, v61
	v_pk_fma_f32 v[10:11], v[20:21], v[2:3], v[10:11] op_sel_hi:[0,1,1]
	v_mov_b32_e32 v2, v54
	v_pk_fma_f32 v[42:43], v[52:53], v[8:9], v[10:11] op_sel_hi:[0,1,1]
	v_pk_fma_f32 v[10:11], v[14:15], v[2:3], v[40:41] op_sel_hi:[0,1,1]
	v_mov_b32_e32 v9, v54
	v_mov_b32_e32 v2, v55
	v_pk_fma_f32 v[10:11], v[14:15], v[8:9], v[10:11] op_sel:[1,0,0]
	v_mov_b32_e32 v9, v55
	v_pk_fma_f32 v[10:11], v[16:17], v[2:3], v[10:11] op_sel_hi:[0,1,1]
	v_mov_b32_e32 v2, v56
	v_pk_fma_f32 v[10:11], v[22:23], v[8:9], v[10:11] op_sel_hi:[0,1,1]
	;; [unrolled: 2-line block ×3, first 2 shown]
	v_mov_b32_e32 v2, v57
	v_pk_fma_f32 v[10:11], v[18:19], v[8:9], v[10:11] op_sel:[1,0,0]
	v_mov_b32_e32 v9, v57
	v_pk_fma_f32 v[10:11], v[20:21], v[2:3], v[10:11] op_sel_hi:[0,1,1]
	s_waitcnt vmcnt(1)
	v_mov_b32_e32 v2, v62
	v_pk_fma_f32 v[40:41], v[52:53], v[8:9], v[10:11] op_sel_hi:[0,1,1]
	v_pk_fma_f32 v[10:11], v[14:15], v[2:3], v[44:45] op_sel_hi:[0,1,1]
	v_mov_b32_e32 v9, v62
	v_mov_b32_e32 v2, v63
	v_pk_fma_f32 v[10:11], v[14:15], v[8:9], v[10:11] op_sel:[1,0,0]
	v_mov_b32_e32 v9, v63
	v_pk_fma_f32 v[10:11], v[16:17], v[2:3], v[10:11] op_sel_hi:[0,1,1]
	v_mov_b32_e32 v2, v64
	v_pk_fma_f32 v[10:11], v[22:23], v[8:9], v[10:11] op_sel_hi:[0,1,1]
	;; [unrolled: 2-line block ×3, first 2 shown]
	v_mov_b32_e32 v2, v65
	v_pk_fma_f32 v[10:11], v[18:19], v[8:9], v[10:11] op_sel:[1,0,0]
	v_mov_b32_e32 v9, v65
	v_pk_fma_f32 v[10:11], v[20:21], v[2:3], v[10:11] op_sel_hi:[0,1,1]
	s_waitcnt vmcnt(0)
	v_mov_b32_e32 v2, v66
	v_pk_fma_f32 v[44:45], v[52:53], v[8:9], v[10:11] op_sel_hi:[0,1,1]
	v_pk_fma_f32 v[10:11], v[14:15], v[2:3], v[12:13] op_sel_hi:[0,1,1]
	v_mov_b32_e32 v9, v66
	v_mov_b32_e32 v2, v67
	v_pk_fma_f32 v[10:11], v[14:15], v[8:9], v[10:11] op_sel:[1,0,0]
	v_mov_b32_e32 v9, v67
	v_pk_fma_f32 v[10:11], v[16:17], v[2:3], v[10:11] op_sel_hi:[0,1,1]
	v_mov_b32_e32 v2, v68
	v_pk_fma_f32 v[10:11], v[22:23], v[8:9], v[10:11] op_sel_hi:[0,1,1]
	;; [unrolled: 2-line block ×3, first 2 shown]
	v_mov_b32_e32 v2, v69
	v_pk_fma_f32 v[10:11], v[18:19], v[8:9], v[10:11] op_sel:[1,0,0]
	v_mov_b32_e32 v9, v69
	v_pk_fma_f32 v[10:11], v[20:21], v[2:3], v[10:11] op_sel_hi:[0,1,1]
	v_pk_fma_f32 v[12:13], v[52:53], v[8:9], v[10:11] op_sel_hi:[0,1,1]
	s_andn2_b64 exec, exec, s[14:15]
	s_cbranch_execnz .LBB132_15
; %bb.16:
	s_or_b64 exec, exec, s[14:15]
.LBB132_17:
	s_or_b64 exec, exec, s[10:11]
	v_cmp_lt_u64_e32 vcc, 47, v[0:1]
	s_and_saveexec_b64 s[10:11], vcc
	s_cbranch_execz .LBB132_21
; %bb.18:
	v_lshl_add_u64 v[0:1], v[50:51], 3, s[12:13]
	s_mov_b64 s[14:15], 0x100
	v_lshl_add_u64 v[52:53], v[0:1], 0, s[14:15]
	s_mov_b64 s[14:15], 0
	v_mov_b32_e32 v55, 0
	s_mov_b64 s[16:17], 0x1000
	s_mov_b64 s[18:19], 0x200
	v_bfrev_b32_e32 v56, 1
.LBB132_19:                             ; =>This Inner Loop Header: Depth=1
	global_load_dwordx2 v[0:1], v[52:53], off offset:-256
	v_lshl_add_u64 v[50:51], v[50:51], 0, 64
	s_waitcnt vmcnt(0)
	v_sub_co_u32_e32 v0, vcc, v0, v32
	s_nop 1
	v_subb_co_u32_e32 v1, vcc, v1, v33, vcc
	v_lshlrev_b64 v[0:1], 5, v[0:1]
	v_lshl_add_u64 v[0:1], s[2:3], 0, v[0:1]
	global_load_dwordx4 v[8:11], v[0:1], off offset:16
	global_load_dwordx4 v[14:17], v[0:1], off
	global_load_dwordx2 v[2:3], v[52:53], off offset:-128
	global_load_dwordx4 v[64:67], v[48:49], off offset:1072
	global_load_dwordx4 v[68:71], v[48:49], off offset:1056
	;; [unrolled: 1-line block ×4, first 2 shown]
	s_waitcnt vmcnt(4)
	v_sub_co_u32_e32 v0, vcc, v2, v32
	s_nop 1
	v_subb_co_u32_e32 v1, vcc, v3, v33, vcc
	v_lshlrev_b64 v[0:1], 5, v[0:1]
	v_lshl_add_u64 v[18:19], s[2:3], 0, v[0:1]
	global_load_dwordx4 v[0:3], v[18:19], off offset:16
	global_load_dwordx4 v[4:7], v[18:19], off
	global_load_dwordx4 v[76:79], v[48:49], off offset:48
	global_load_dwordx4 v[80:83], v[48:49], off offset:32
	;; [unrolled: 1-line block ×3, first 2 shown]
	global_load_dwordx4 v[20:23], v[48:49], off
	s_waitcnt vmcnt(0)
	v_mov_b32_e32 v54, v20
	v_pk_fma_f32 v[18:19], v[14:15], v[54:55], v[42:43] op_sel_hi:[0,1,1]
	v_mov_b32_e32 v57, v20
	v_pk_fma_f32 v[18:19], v[14:15], v[56:57], v[18:19] op_sel:[1,0,0]
	v_mov_b32_e32 v54, v21
	v_pk_fma_f32 v[18:19], v[16:17], v[54:55], v[18:19] op_sel_hi:[0,1,1]
	v_mov_b32_e32 v20, v17
	v_mov_b32_e32 v57, v21
	v_pk_fma_f32 v[18:19], v[20:21], v[56:57], v[18:19] op_sel_hi:[0,1,1]
	v_mov_b32_e32 v54, v22
	v_pk_fma_f32 v[18:19], v[8:9], v[54:55], v[18:19] op_sel_hi:[0,1,1]
	v_mov_b32_e32 v57, v22
	v_pk_fma_f32 v[18:19], v[8:9], v[56:57], v[18:19] op_sel:[1,0,0]
	v_mov_b32_e32 v54, v23
	v_pk_fma_f32 v[18:19], v[10:11], v[54:55], v[18:19] op_sel_hi:[0,1,1]
	v_mov_b32_e32 v22, v11
	v_mov_b32_e32 v57, v23
	v_pk_fma_f32 v[18:19], v[22:23], v[56:57], v[18:19] op_sel_hi:[0,1,1]
	v_mov_b32_e32 v54, v58
	v_pk_fma_f32 v[18:19], v[4:5], v[54:55], v[18:19] op_sel_hi:[0,1,1]
	v_mov_b32_e32 v57, v58
	v_mov_b32_e32 v54, v84
	v_pk_fma_f32 v[42:43], v[4:5], v[56:57], v[18:19] op_sel:[1,0,0]
	v_pk_fma_f32 v[18:19], v[14:15], v[54:55], v[40:41] op_sel_hi:[0,1,1]
	v_mov_b32_e32 v57, v84
	v_pk_fma_f32 v[18:19], v[14:15], v[56:57], v[18:19] op_sel:[1,0,0]
	v_mov_b32_e32 v54, v85
	v_pk_fma_f32 v[18:19], v[16:17], v[54:55], v[18:19] op_sel_hi:[0,1,1]
	v_mov_b32_e32 v57, v85
	v_pk_fma_f32 v[18:19], v[20:21], v[56:57], v[18:19] op_sel_hi:[0,1,1]
	v_mov_b32_e32 v54, v86
	v_pk_fma_f32 v[18:19], v[8:9], v[54:55], v[18:19] op_sel_hi:[0,1,1]
	v_mov_b32_e32 v57, v86
	v_pk_fma_f32 v[18:19], v[8:9], v[56:57], v[18:19] op_sel:[1,0,0]
	v_mov_b32_e32 v54, v87
	v_pk_fma_f32 v[18:19], v[10:11], v[54:55], v[18:19] op_sel_hi:[0,1,1]
	v_mov_b32_e32 v57, v87
	v_pk_fma_f32 v[18:19], v[22:23], v[56:57], v[18:19] op_sel_hi:[0,1,1]
	v_mov_b32_e32 v54, v72
	v_pk_fma_f32 v[18:19], v[4:5], v[54:55], v[18:19] op_sel_hi:[0,1,1]
	v_mov_b32_e32 v57, v72
	v_mov_b32_e32 v54, v80
	v_pk_fma_f32 v[40:41], v[4:5], v[56:57], v[18:19] op_sel:[1,0,0]
	v_pk_fma_f32 v[18:19], v[14:15], v[54:55], v[44:45] op_sel_hi:[0,1,1]
	v_mov_b32_e32 v57, v80
	v_pk_fma_f32 v[18:19], v[14:15], v[56:57], v[18:19] op_sel:[1,0,0]
	v_mov_b32_e32 v54, v81
	v_pk_fma_f32 v[18:19], v[16:17], v[54:55], v[18:19] op_sel_hi:[0,1,1]
	v_mov_b32_e32 v57, v81
	v_pk_fma_f32 v[18:19], v[20:21], v[56:57], v[18:19] op_sel_hi:[0,1,1]
	v_mov_b32_e32 v54, v82
	v_pk_fma_f32 v[18:19], v[8:9], v[54:55], v[18:19] op_sel_hi:[0,1,1]
	v_mov_b32_e32 v57, v82
	v_pk_fma_f32 v[18:19], v[8:9], v[56:57], v[18:19] op_sel:[1,0,0]
	v_mov_b32_e32 v54, v83
	v_pk_fma_f32 v[18:19], v[10:11], v[54:55], v[18:19] op_sel_hi:[0,1,1]
	;; [unrolled: 20-line block ×3, first 2 shown]
	v_mov_b32_e32 v57, v79
	v_pk_fma_f32 v[8:9], v[22:23], v[56:57], v[8:9] op_sel_hi:[0,1,1]
	v_mov_b32_e32 v54, v64
	v_pk_fma_f32 v[8:9], v[4:5], v[54:55], v[8:9] op_sel_hi:[0,1,1]
	v_mov_b32_e32 v57, v64
	v_pk_fma_f32 v[4:5], v[4:5], v[56:57], v[8:9] op_sel:[1,0,0]
	global_load_dwordx2 v[8:9], v[52:53], off
	v_mov_b32_e32 v54, v59
	v_pk_fma_f32 v[42:43], v[6:7], v[54:55], v[42:43] op_sel_hi:[0,1,1]
	v_mov_b32_e32 v58, v7
	v_mov_b32_e32 v57, v59
	v_pk_fma_f32 v[42:43], v[58:59], v[56:57], v[42:43] op_sel_hi:[0,1,1]
	v_mov_b32_e32 v54, v60
	v_pk_fma_f32 v[42:43], v[0:1], v[54:55], v[42:43] op_sel_hi:[0,1,1]
	v_mov_b32_e32 v57, v60
	v_pk_fma_f32 v[42:43], v[0:1], v[56:57], v[42:43] op_sel:[1,0,0]
	v_mov_b32_e32 v54, v61
	v_pk_fma_f32 v[42:43], v[2:3], v[54:55], v[42:43] op_sel_hi:[0,1,1]
	v_mov_b32_e32 v60, v3
	v_mov_b32_e32 v57, v61
	v_pk_fma_f32 v[42:43], v[60:61], v[56:57], v[42:43] op_sel_hi:[0,1,1]
	s_waitcnt vmcnt(0)
	v_sub_co_u32_e32 v8, vcc, v8, v32
	s_nop 1
	v_subb_co_u32_e32 v9, vcc, v9, v33, vcc
	v_lshlrev_b64 v[8:9], 5, v[8:9]
	v_lshl_add_u64 v[16:17], s[2:3], 0, v[8:9]
	global_load_dwordx4 v[8:11], v[16:17], off offset:16
	global_load_dwordx4 v[12:15], v[16:17], off
	global_load_dwordx2 v[18:19], v[52:53], off offset:128
	v_lshl_add_u64 v[52:53], v[52:53], 0, s[18:19]
	s_waitcnt vmcnt(2)
	v_mov_b32_e32 v64, v11
	s_waitcnt vmcnt(0)
	v_sub_co_u32_e32 v16, vcc, v18, v32
	s_nop 1
	v_subb_co_u32_e32 v17, vcc, v19, v33, vcc
	v_lshlrev_b64 v[16:17], 5, v[16:17]
	v_lshl_add_u64 v[62:63], s[2:3], 0, v[16:17]
	global_load_dwordx4 v[16:19], v[62:63], off offset:16
	global_load_dwordx4 v[20:23], v[62:63], off
	global_load_dwordx4 v[76:79], v[48:49], off offset:2096
	global_load_dwordx4 v[80:83], v[48:49], off offset:2080
	;; [unrolled: 1-line block ×4, first 2 shown]
	v_mov_b32_e32 v62, v15
	v_cmp_ge_i64_e32 vcc, v[50:51], v[36:37]
	s_or_b64 s[14:15], vcc, s[14:15]
	s_waitcnt vmcnt(5)
	v_mov_b32_e32 v72, v19
	s_waitcnt vmcnt(4)
	v_mov_b32_e32 v68, v23
	;; [unrolled: 2-line block ×3, first 2 shown]
	v_pk_fma_f32 v[42:43], v[12:13], v[54:55], v[42:43] op_sel_hi:[0,1,1]
	v_mov_b32_e32 v57, v88
	v_pk_fma_f32 v[42:43], v[12:13], v[56:57], v[42:43] op_sel:[1,0,0]
	v_mov_b32_e32 v54, v89
	v_pk_fma_f32 v[42:43], v[14:15], v[54:55], v[42:43] op_sel_hi:[0,1,1]
	v_mov_b32_e32 v57, v89
	v_pk_fma_f32 v[42:43], v[62:63], v[56:57], v[42:43] op_sel_hi:[0,1,1]
	v_mov_b32_e32 v54, v90
	v_pk_fma_f32 v[42:43], v[54:55], v[8:9], v[42:43] op_sel_hi:[1,0,1]
	v_mov_b32_e32 v57, v90
	v_pk_fma_f32 v[42:43], v[8:9], v[56:57], v[42:43] op_sel:[1,0,0]
	v_mov_b32_e32 v54, v91
	v_mov_b32_e32 v57, v91
	global_load_dwordx4 v[88:91], v[48:49], off offset:3120
	global_load_dwordx4 v[92:95], v[48:49], off offset:3104
	global_load_dwordx4 v[96:99], v[48:49], off offset:3088
	global_load_dwordx4 v[100:103], v[48:49], off offset:3072
	v_pk_fma_f32 v[42:43], v[10:11], v[54:55], v[42:43] op_sel_hi:[0,1,1]
	v_pk_fma_f32 v[42:43], v[64:65], v[56:57], v[42:43] op_sel_hi:[0,1,1]
	v_lshl_add_u64 v[48:49], v[48:49], 0, s[16:17]
	s_waitcnt vmcnt(0)
	v_mov_b32_e32 v54, v100
	v_pk_fma_f32 v[42:43], v[20:21], v[54:55], v[42:43] op_sel_hi:[0,1,1]
	v_mov_b32_e32 v57, v100
	v_pk_fma_f32 v[42:43], v[20:21], v[56:57], v[42:43] op_sel:[1,0,0]
	v_mov_b32_e32 v54, v101
	v_pk_fma_f32 v[42:43], v[22:23], v[54:55], v[42:43] op_sel_hi:[0,1,1]
	v_mov_b32_e32 v57, v101
	v_pk_fma_f32 v[42:43], v[68:69], v[56:57], v[42:43] op_sel_hi:[0,1,1]
	v_mov_b32_e32 v54, v102
	v_pk_fma_f32 v[42:43], v[16:17], v[54:55], v[42:43] op_sel_hi:[0,1,1]
	v_mov_b32_e32 v57, v102
	v_pk_fma_f32 v[42:43], v[16:17], v[56:57], v[42:43] op_sel:[1,0,0]
	v_mov_b32_e32 v54, v103
	v_pk_fma_f32 v[42:43], v[18:19], v[54:55], v[42:43] op_sel_hi:[0,1,1]
	v_mov_b32_e32 v57, v103
	v_mov_b32_e32 v54, v73
	v_pk_fma_f32 v[42:43], v[72:73], v[56:57], v[42:43] op_sel_hi:[0,1,1]
	v_pk_fma_f32 v[40:41], v[6:7], v[54:55], v[40:41] op_sel_hi:[0,1,1]
	v_mov_b32_e32 v57, v73
	v_pk_fma_f32 v[40:41], v[58:59], v[56:57], v[40:41] op_sel_hi:[0,1,1]
	v_mov_b32_e32 v54, v74
	v_pk_fma_f32 v[40:41], v[0:1], v[54:55], v[40:41] op_sel_hi:[0,1,1]
	v_mov_b32_e32 v57, v74
	v_pk_fma_f32 v[40:41], v[0:1], v[56:57], v[40:41] op_sel:[1,0,0]
	v_mov_b32_e32 v54, v75
	v_pk_fma_f32 v[40:41], v[2:3], v[54:55], v[40:41] op_sel_hi:[0,1,1]
	v_mov_b32_e32 v57, v75
	v_pk_fma_f32 v[40:41], v[60:61], v[56:57], v[40:41] op_sel_hi:[0,1,1]
	v_mov_b32_e32 v54, v84
	v_pk_fma_f32 v[40:41], v[12:13], v[54:55], v[40:41] op_sel_hi:[0,1,1]
	v_mov_b32_e32 v57, v84
	v_pk_fma_f32 v[40:41], v[12:13], v[56:57], v[40:41] op_sel:[1,0,0]
	v_mov_b32_e32 v54, v85
	v_pk_fma_f32 v[40:41], v[14:15], v[54:55], v[40:41] op_sel_hi:[0,1,1]
	v_mov_b32_e32 v57, v85
	v_pk_fma_f32 v[40:41], v[62:63], v[56:57], v[40:41] op_sel_hi:[0,1,1]
	v_mov_b32_e32 v54, v86
	v_pk_fma_f32 v[40:41], v[54:55], v[8:9], v[40:41] op_sel_hi:[1,0,1]
	v_mov_b32_e32 v57, v86
	v_pk_fma_f32 v[40:41], v[8:9], v[56:57], v[40:41] op_sel:[1,0,0]
	v_mov_b32_e32 v54, v87
	v_pk_fma_f32 v[40:41], v[10:11], v[54:55], v[40:41] op_sel_hi:[0,1,1]
	v_mov_b32_e32 v57, v87
	v_pk_fma_f32 v[40:41], v[64:65], v[56:57], v[40:41] op_sel_hi:[0,1,1]
	v_mov_b32_e32 v54, v96
	v_pk_fma_f32 v[40:41], v[20:21], v[54:55], v[40:41] op_sel_hi:[0,1,1]
	v_mov_b32_e32 v57, v96
	v_pk_fma_f32 v[40:41], v[20:21], v[56:57], v[40:41] op_sel:[1,0,0]
	v_mov_b32_e32 v54, v97
	v_pk_fma_f32 v[40:41], v[22:23], v[54:55], v[40:41] op_sel_hi:[0,1,1]
	v_mov_b32_e32 v57, v97
	v_pk_fma_f32 v[40:41], v[68:69], v[56:57], v[40:41] op_sel_hi:[0,1,1]
	v_mov_b32_e32 v54, v98
	v_pk_fma_f32 v[40:41], v[16:17], v[54:55], v[40:41] op_sel_hi:[0,1,1]
	v_mov_b32_e32 v57, v98
	v_pk_fma_f32 v[40:41], v[16:17], v[56:57], v[40:41] op_sel:[1,0,0]
	v_mov_b32_e32 v54, v99
	v_pk_fma_f32 v[40:41], v[18:19], v[54:55], v[40:41] op_sel_hi:[0,1,1]
	v_mov_b32_e32 v57, v99
	v_mov_b32_e32 v54, v69
	v_pk_fma_f32 v[40:41], v[72:73], v[56:57], v[40:41] op_sel_hi:[0,1,1]
	v_pk_fma_f32 v[44:45], v[6:7], v[54:55], v[44:45] op_sel_hi:[0,1,1]
	v_mov_b32_e32 v57, v69
	v_pk_fma_f32 v[44:45], v[58:59], v[56:57], v[44:45] op_sel_hi:[0,1,1]
	v_mov_b32_e32 v54, v70
	v_pk_fma_f32 v[44:45], v[0:1], v[54:55], v[44:45] op_sel_hi:[0,1,1]
	v_mov_b32_e32 v57, v70
	v_pk_fma_f32 v[44:45], v[0:1], v[56:57], v[44:45] op_sel:[1,0,0]
	v_mov_b32_e32 v54, v71
	v_pk_fma_f32 v[44:45], v[2:3], v[54:55], v[44:45] op_sel_hi:[0,1,1]
	v_mov_b32_e32 v57, v71
	v_pk_fma_f32 v[44:45], v[60:61], v[56:57], v[44:45] op_sel_hi:[0,1,1]
	v_mov_b32_e32 v54, v80
	v_pk_fma_f32 v[44:45], v[12:13], v[54:55], v[44:45] op_sel_hi:[0,1,1]
	v_mov_b32_e32 v57, v80
	v_pk_fma_f32 v[44:45], v[12:13], v[56:57], v[44:45] op_sel:[1,0,0]
	v_mov_b32_e32 v54, v81
	v_pk_fma_f32 v[44:45], v[14:15], v[54:55], v[44:45] op_sel_hi:[0,1,1]
	v_mov_b32_e32 v57, v81
	v_pk_fma_f32 v[44:45], v[62:63], v[56:57], v[44:45] op_sel_hi:[0,1,1]
	v_mov_b32_e32 v54, v82
	v_pk_fma_f32 v[44:45], v[54:55], v[8:9], v[44:45] op_sel_hi:[1,0,1]
	v_mov_b32_e32 v57, v82
	v_pk_fma_f32 v[44:45], v[8:9], v[56:57], v[44:45] op_sel:[1,0,0]
	v_mov_b32_e32 v54, v83
	v_pk_fma_f32 v[44:45], v[10:11], v[54:55], v[44:45] op_sel_hi:[0,1,1]
	v_mov_b32_e32 v57, v83
	v_pk_fma_f32 v[44:45], v[64:65], v[56:57], v[44:45] op_sel_hi:[0,1,1]
	;; [unrolled: 44-line block ×3, first 2 shown]
	v_mov_b32_e32 v54, v88
	v_pk_fma_f32 v[0:1], v[20:21], v[54:55], v[0:1] op_sel_hi:[0,1,1]
	v_mov_b32_e32 v57, v88
	v_pk_fma_f32 v[0:1], v[20:21], v[56:57], v[0:1] op_sel:[1,0,0]
	v_mov_b32_e32 v54, v89
	v_pk_fma_f32 v[0:1], v[22:23], v[54:55], v[0:1] op_sel_hi:[0,1,1]
	v_mov_b32_e32 v57, v89
	v_pk_fma_f32 v[0:1], v[68:69], v[56:57], v[0:1] op_sel_hi:[0,1,1]
	;; [unrolled: 2-line block ×3, first 2 shown]
	v_mov_b32_e32 v57, v90
	v_pk_fma_f32 v[0:1], v[16:17], v[56:57], v[0:1] op_sel:[1,0,0]
	v_mov_b32_e32 v54, v91
	v_pk_fma_f32 v[0:1], v[18:19], v[54:55], v[0:1] op_sel_hi:[0,1,1]
	v_mov_b32_e32 v57, v91
	v_pk_fma_f32 v[12:13], v[72:73], v[56:57], v[0:1] op_sel_hi:[0,1,1]
	s_andn2_b64 exec, exec, s[14:15]
	s_cbranch_execnz .LBB132_19
; %bb.20:
	s_or_b64 exec, exec, s[14:15]
.LBB132_21:
	s_or_b64 exec, exec, s[10:11]
	v_mov_b32_e32 v31, v43
.LBB132_22:
	s_or_b64 exec, exec, s[8:9]
	s_cbranch_execz .LBB132_24
	s_branch .LBB132_35
.LBB132_23:
                                        ; implicit-def: $vgpr42
                                        ; implicit-def: $vgpr41
                                        ; implicit-def: $vgpr45
                                        ; implicit-def: $vgpr13
.LBB132_24:
	v_mov_b32_e32 v31, 0
	v_mov_b32_e32 v42, 0
	;; [unrolled: 1-line block ×8, first 2 shown]
	s_and_saveexec_b64 s[8:9], s[4:5]
	s_cbranch_execz .LBB132_34
; %bb.25:
	v_or_b32_e32 v0, 16, v30
	v_sub_co_u32_e32 v0, vcc, v0, v32
	v_not_b32_e32 v3, v47
	s_nop 0
	v_subb_co_u32_e32 v1, vcc, 0, v33, vcc
	v_lshl_add_u64 v[0:1], v[0:1], 0, v[46:47]
	v_cmp_gt_i64_e32 vcc, v[0:1], v[36:37]
	v_not_b32_e32 v2, v46
	v_mov_b32_e32 v13, 0
	v_cndmask_b32_e32 v1, v37, v1, vcc
	v_cndmask_b32_e32 v0, v36, v0, vcc
	v_sub_co_u32_e32 v4, vcc, v32, v30
	v_mov_b32_e32 v44, v13
	s_nop 0
	v_subbrev_co_u32_e32 v5, vcc, 0, v33, vcc
	v_lshl_add_u64 v[2:3], v[4:5], 0, v[2:3]
	v_lshl_add_u64 v[0:1], v[2:3], 0, v[0:1]
	v_and_b32_e32 v12, 48, v0
	v_cmp_ne_u64_e32 vcc, 48, v[12:13]
	v_mov_b32_e32 v12, v13
	v_mov_b32_e32 v45, v13
	v_mov_b32_e32 v40, v13
	v_mov_b32_e32 v41, v13
	v_mov_b32_e32 v42, v13
	v_mov_b32_e32 v43, v13
	s_and_saveexec_b64 s[4:5], vcc
	s_cbranch_execz .LBB132_29
; %bb.26:
	v_lshrrev_b32_e32 v2, 4, v0
	v_add_u32_e32 v2, 1, v2
	v_and_b32_e32 v2, 3, v2
	v_sub_co_u32_e32 v6, vcc, 0, v2
	v_mov_b32_e32 v3, 0
	s_nop 0
	v_subb_co_u32_e64 v7, s[14:15], 0, 0, vcc
	v_lshl_add_u64 v[4:5], v[34:35], 3, s[12:13]
	s_mov_b64 s[10:11], 0
	s_mov_b64 s[14:15], 0x400
	;; [unrolled: 1-line block ×3, first 2 shown]
	v_bfrev_b32_e32 v8, 1
	v_mov_b32_e32 v12, v3
	v_mov_b32_e32 v13, v3
	v_mov_b32_e32 v44, v3
	v_mov_b32_e32 v45, v3
	v_mov_b32_e32 v40, v3
	v_mov_b32_e32 v41, v3
	v_mov_b32_e32 v42, v3
	v_mov_b32_e32 v43, v3
.LBB132_27:                             ; =>This Inner Loop Header: Depth=1
	global_load_dwordx2 v[10:11], v[4:5], off
	global_load_dwordx4 v[48:51], v[38:39], off offset:32
	global_load_dwordx4 v[52:55], v[38:39], off offset:16
	global_load_dwordx4 v[56:59], v[38:39], off
	v_lshl_add_u64 v[6:7], v[6:7], 0, 1
	v_lshl_add_u64 v[34:35], v[34:35], 0, 16
	;; [unrolled: 1-line block ×3, first 2 shown]
	s_waitcnt vmcnt(3)
	v_sub_co_u32_e32 v10, vcc, v10, v32
	s_nop 1
	v_subb_co_u32_e32 v11, vcc, v11, v33, vcc
	v_lshlrev_b64 v[10:11], 5, v[10:11]
	v_lshl_add_u64 v[10:11], s[2:3], 0, v[10:11]
	global_load_dwordx4 v[14:17], v[10:11], off
	global_load_dwordx4 v[18:21], v[10:11], off offset:16
	global_load_dwordx4 v[60:63], v[38:39], off offset:48
	s_waitcnt vmcnt(3)
	v_mov_b32_e32 v2, v56
	v_mov_b32_e32 v9, v56
	v_cmp_eq_u64_e32 vcc, 0, v[6:7]
	v_lshl_add_u64 v[38:39], v[38:39], 0, s[14:15]
	s_or_b64 s[10:11], vcc, s[10:11]
	s_waitcnt vmcnt(2)
	v_pk_fma_f32 v[10:11], v[14:15], v[2:3], v[42:43] op_sel_hi:[0,1,1]
	v_mov_b32_e32 v2, v52
	v_pk_fma_f32 v[10:11], v[14:15], v[8:9], v[10:11] op_sel:[1,0,0]
	v_mov_b32_e32 v22, v17
	v_mov_b32_e32 v9, v52
	v_pk_fma_f32 v[10:11], v[16:17], v[2:3], v[10:11] op_sel_hi:[0,1,1]
	v_mov_b32_e32 v2, v48
	v_pk_fma_f32 v[10:11], v[22:23], v[8:9], v[10:11] op_sel_hi:[0,1,1]
	v_mov_b32_e32 v9, v48
	s_waitcnt vmcnt(1)
	v_pk_fma_f32 v[10:11], v[18:19], v[2:3], v[10:11] op_sel_hi:[0,1,1]
	s_waitcnt vmcnt(0)
	v_mov_b32_e32 v2, v60
	v_pk_fma_f32 v[10:11], v[18:19], v[8:9], v[10:11] op_sel:[1,0,0]
	v_mov_b32_e32 v46, v21
	v_mov_b32_e32 v9, v60
	v_pk_fma_f32 v[10:11], v[20:21], v[2:3], v[10:11] op_sel_hi:[0,1,1]
	v_mov_b32_e32 v2, v57
	v_pk_fma_f32 v[42:43], v[46:47], v[8:9], v[10:11] op_sel_hi:[0,1,1]
	v_pk_fma_f32 v[10:11], v[14:15], v[2:3], v[40:41] op_sel_hi:[0,1,1]
	v_mov_b32_e32 v9, v57
	v_mov_b32_e32 v2, v53
	v_pk_fma_f32 v[10:11], v[14:15], v[8:9], v[10:11] op_sel:[1,0,0]
	v_mov_b32_e32 v9, v53
	v_pk_fma_f32 v[10:11], v[16:17], v[2:3], v[10:11] op_sel_hi:[0,1,1]
	v_mov_b32_e32 v2, v49
	v_pk_fma_f32 v[10:11], v[22:23], v[8:9], v[10:11] op_sel_hi:[0,1,1]
	v_mov_b32_e32 v9, v49
	v_pk_fma_f32 v[10:11], v[18:19], v[2:3], v[10:11] op_sel_hi:[0,1,1]
	v_mov_b32_e32 v2, v61
	v_pk_fma_f32 v[10:11], v[18:19], v[8:9], v[10:11] op_sel:[1,0,0]
	v_mov_b32_e32 v9, v61
	v_pk_fma_f32 v[10:11], v[20:21], v[2:3], v[10:11] op_sel_hi:[0,1,1]
	v_mov_b32_e32 v2, v58
	v_pk_fma_f32 v[40:41], v[46:47], v[8:9], v[10:11] op_sel_hi:[0,1,1]
	v_pk_fma_f32 v[10:11], v[14:15], v[2:3], v[44:45] op_sel_hi:[0,1,1]
	v_mov_b32_e32 v9, v58
	v_mov_b32_e32 v2, v54
	v_pk_fma_f32 v[10:11], v[14:15], v[8:9], v[10:11] op_sel:[1,0,0]
	v_mov_b32_e32 v9, v54
	v_pk_fma_f32 v[10:11], v[16:17], v[2:3], v[10:11] op_sel_hi:[0,1,1]
	v_mov_b32_e32 v2, v50
	v_pk_fma_f32 v[10:11], v[22:23], v[8:9], v[10:11] op_sel_hi:[0,1,1]
	v_mov_b32_e32 v9, v50
	v_pk_fma_f32 v[10:11], v[18:19], v[2:3], v[10:11] op_sel_hi:[0,1,1]
	v_mov_b32_e32 v2, v62
	v_pk_fma_f32 v[10:11], v[18:19], v[8:9], v[10:11] op_sel:[1,0,0]
	;; [unrolled: 16-line block ×3, first 2 shown]
	v_mov_b32_e32 v9, v63
	v_pk_fma_f32 v[10:11], v[20:21], v[2:3], v[10:11] op_sel_hi:[0,1,1]
	v_pk_fma_f32 v[12:13], v[46:47], v[8:9], v[10:11] op_sel_hi:[0,1,1]
	s_andn2_b64 exec, exec, s[10:11]
	s_cbranch_execnz .LBB132_27
; %bb.28:
	s_or_b64 exec, exec, s[10:11]
.LBB132_29:
	s_or_b64 exec, exec, s[4:5]
	v_cmp_lt_u64_e32 vcc, 47, v[0:1]
	s_and_saveexec_b64 s[4:5], vcc
	s_cbranch_execz .LBB132_33
; %bb.30:
	v_lshl_add_u64 v[0:1], v[34:35], 3, s[12:13]
	s_mov_b64 s[10:11], 0x100
	v_lshl_add_u64 v[14:15], v[0:1], 0, s[10:11]
	s_mov_b64 s[10:11], 0
	v_mov_b32_e32 v17, 0
	s_mov_b64 s[12:13], 0x200
	s_mov_b64 s[14:15], 0x1000
	v_bfrev_b32_e32 v18, 1
.LBB132_31:                             ; =>This Inner Loop Header: Depth=1
	global_load_dwordx2 v[0:1], v[14:15], off offset:-256
	global_load_dwordx4 v[52:55], v[38:39], off offset:48
	global_load_dwordx4 v[56:59], v[38:39], off offset:32
	;; [unrolled: 1-line block ×3, first 2 shown]
	global_load_dwordx4 v[64:67], v[38:39], off
	v_lshl_add_u64 v[34:35], v[34:35], 0, 64
	s_waitcnt vmcnt(4)
	v_sub_co_u32_e32 v0, vcc, v0, v32
	s_nop 1
	v_subb_co_u32_e32 v1, vcc, v1, v33, vcc
	v_lshlrev_b64 v[0:1], 5, v[0:1]
	v_lshl_add_u64 v[4:5], s[2:3], 0, v[0:1]
	global_load_dwordx4 v[0:3], v[4:5], off offset:16
	global_load_dwordx4 v[46:49], v[4:5], off
	global_load_dwordx2 v[6:7], v[14:15], off offset:-128
	global_load_dwordx4 v[68:71], v[38:39], off offset:1072
	global_load_dwordx4 v[72:75], v[38:39], off offset:1056
	global_load_dwordx4 v[76:79], v[38:39], off offset:1040
	global_load_dwordx4 v[80:83], v[38:39], off offset:1024
	s_waitcnt vmcnt(7)
	v_mov_b32_e32 v16, v64
	v_mov_b32_e32 v19, v64
	s_waitcnt vmcnt(6)
	v_mov_b32_e32 v50, v3
	s_waitcnt vmcnt(5)
	;; [unrolled: 2-line block ×3, first 2 shown]
	v_sub_co_u32_e32 v4, vcc, v6, v32
	s_nop 1
	v_subb_co_u32_e32 v5, vcc, v7, v33, vcc
	v_lshlrev_b64 v[4:5], 5, v[4:5]
	v_lshl_add_u64 v[20:21], s[2:3], 0, v[4:5]
	global_load_dwordx4 v[4:7], v[20:21], off offset:16
	global_load_dwordx4 v[8:11], v[20:21], off
	v_pk_fma_f32 v[20:21], v[46:47], v[16:17], v[42:43] op_sel_hi:[0,1,1]
	v_pk_fma_f32 v[20:21], v[46:47], v[18:19], v[20:21] op_sel:[1,0,0]
	v_mov_b32_e32 v16, v60
	v_pk_fma_f32 v[20:21], v[48:49], v[16:17], v[20:21] op_sel_hi:[0,1,1]
	v_mov_b32_e32 v19, v60
	v_pk_fma_f32 v[20:21], v[22:23], v[18:19], v[20:21] op_sel_hi:[0,1,1]
	;; [unrolled: 2-line block ×3, first 2 shown]
	v_mov_b32_e32 v19, v56
	v_pk_fma_f32 v[20:21], v[0:1], v[18:19], v[20:21] op_sel:[1,0,0]
	v_mov_b32_e32 v16, v52
	v_pk_fma_f32 v[20:21], v[2:3], v[16:17], v[20:21] op_sel_hi:[0,1,1]
	v_mov_b32_e32 v19, v52
	v_pk_fma_f32 v[20:21], v[50:51], v[18:19], v[20:21] op_sel_hi:[0,1,1]
	s_waitcnt vmcnt(2)
	v_mov_b32_e32 v16, v80
	v_mov_b32_e32 v19, v80
	s_waitcnt vmcnt(0)
	v_pk_fma_f32 v[20:21], v[8:9], v[16:17], v[20:21] op_sel_hi:[0,1,1]
	v_mov_b32_e32 v16, v65
	v_pk_fma_f32 v[20:21], v[8:9], v[18:19], v[20:21] op_sel:[1,0,0]
	v_pk_fma_f32 v[40:41], v[46:47], v[16:17], v[40:41] op_sel_hi:[0,1,1]
	v_mov_b32_e32 v19, v65
	v_pk_fma_f32 v[40:41], v[46:47], v[18:19], v[40:41] op_sel:[1,0,0]
	v_mov_b32_e32 v16, v61
	v_pk_fma_f32 v[40:41], v[48:49], v[16:17], v[40:41] op_sel_hi:[0,1,1]
	v_mov_b32_e32 v19, v61
	v_pk_fma_f32 v[40:41], v[22:23], v[18:19], v[40:41] op_sel_hi:[0,1,1]
	v_mov_b32_e32 v16, v57
	v_pk_fma_f32 v[40:41], v[0:1], v[16:17], v[40:41] op_sel_hi:[0,1,1]
	v_mov_b32_e32 v19, v57
	v_pk_fma_f32 v[40:41], v[0:1], v[18:19], v[40:41] op_sel:[1,0,0]
	v_mov_b32_e32 v16, v53
	v_pk_fma_f32 v[40:41], v[2:3], v[16:17], v[40:41] op_sel_hi:[0,1,1]
	v_mov_b32_e32 v19, v53
	v_pk_fma_f32 v[40:41], v[50:51], v[18:19], v[40:41] op_sel_hi:[0,1,1]
	v_mov_b32_e32 v16, v81
	v_pk_fma_f32 v[40:41], v[8:9], v[16:17], v[40:41] op_sel_hi:[0,1,1]
	v_mov_b32_e32 v19, v81
	v_mov_b32_e32 v16, v66
	v_pk_fma_f32 v[42:43], v[8:9], v[18:19], v[40:41] op_sel:[1,0,0]
	v_pk_fma_f32 v[40:41], v[46:47], v[16:17], v[44:45] op_sel_hi:[0,1,1]
	v_mov_b32_e32 v19, v66
	v_pk_fma_f32 v[40:41], v[46:47], v[18:19], v[40:41] op_sel:[1,0,0]
	v_mov_b32_e32 v16, v62
	v_pk_fma_f32 v[40:41], v[48:49], v[16:17], v[40:41] op_sel_hi:[0,1,1]
	v_mov_b32_e32 v19, v62
	v_pk_fma_f32 v[40:41], v[22:23], v[18:19], v[40:41] op_sel_hi:[0,1,1]
	v_mov_b32_e32 v16, v58
	v_pk_fma_f32 v[40:41], v[0:1], v[16:17], v[40:41] op_sel_hi:[0,1,1]
	v_mov_b32_e32 v19, v58
	v_pk_fma_f32 v[40:41], v[0:1], v[18:19], v[40:41] op_sel:[1,0,0]
	v_mov_b32_e32 v16, v54
	v_pk_fma_f32 v[40:41], v[2:3], v[16:17], v[40:41] op_sel_hi:[0,1,1]
	v_mov_b32_e32 v19, v54
	v_pk_fma_f32 v[40:41], v[50:51], v[18:19], v[40:41] op_sel_hi:[0,1,1]
	v_mov_b32_e32 v16, v82
	v_pk_fma_f32 v[40:41], v[8:9], v[16:17], v[40:41] op_sel_hi:[0,1,1]
	v_mov_b32_e32 v19, v82
	;; [unrolled: 20-line block ×3, first 2 shown]
	v_pk_fma_f32 v[22:23], v[8:9], v[18:19], v[0:1] op_sel:[1,0,0]
	global_load_dwordx2 v[0:1], v[14:15], off
	global_load_dwordx4 v[54:57], v[38:39], off offset:2096
	global_load_dwordx4 v[58:61], v[38:39], off offset:2080
	;; [unrolled: 1-line block ×4, first 2 shown]
	v_mov_b32_e32 v16, v76
	v_mov_b32_e32 v48, v11
	;; [unrolled: 1-line block ×4, first 2 shown]
	s_waitcnt vmcnt(4)
	v_sub_co_u32_e32 v0, vcc, v0, v32
	s_nop 1
	v_subb_co_u32_e32 v1, vcc, v1, v33, vcc
	v_lshlrev_b64 v[0:1], 5, v[0:1]
	v_lshl_add_u64 v[8:9], s[2:3], 0, v[0:1]
	global_load_dwordx4 v[0:3], v[8:9], off offset:16
	global_load_dwordx4 v[44:47], v[8:9], off
	v_pk_fma_f32 v[8:9], v[10:11], v[16:17], v[20:21] op_sel_hi:[0,1,1]
	v_pk_fma_f32 v[8:9], v[48:49], v[18:19], v[8:9] op_sel_hi:[0,1,1]
	v_mov_b32_e32 v16, v72
	v_pk_fma_f32 v[8:9], v[4:5], v[16:17], v[8:9] op_sel_hi:[0,1,1]
	v_mov_b32_e32 v19, v72
	v_pk_fma_f32 v[8:9], v[4:5], v[18:19], v[8:9] op_sel:[1,0,0]
	v_mov_b32_e32 v16, v68
	v_pk_fma_f32 v[8:9], v[6:7], v[16:17], v[8:9] op_sel_hi:[0,1,1]
	v_mov_b32_e32 v19, v68
	v_pk_fma_f32 v[8:9], v[50:51], v[18:19], v[8:9] op_sel_hi:[0,1,1]
	s_waitcnt vmcnt(2)
	v_mov_b32_e32 v16, v80
	v_mov_b32_e32 v19, v80
	s_waitcnt vmcnt(0)
	v_pk_fma_f32 v[8:9], v[44:45], v[16:17], v[8:9] op_sel_hi:[0,1,1]
	v_pk_fma_f32 v[8:9], v[44:45], v[18:19], v[8:9] op_sel:[1,0,0]
	v_mov_b32_e32 v16, v62
	v_pk_fma_f32 v[8:9], v[46:47], v[16:17], v[8:9] op_sel_hi:[0,1,1]
	v_mov_b32_e32 v52, v47
	v_mov_b32_e32 v19, v62
	v_pk_fma_f32 v[8:9], v[52:53], v[18:19], v[8:9] op_sel_hi:[0,1,1]
	v_mov_b32_e32 v16, v58
	v_pk_fma_f32 v[20:21], v[0:1], v[16:17], v[8:9] op_sel_hi:[0,1,1]
	;; [unrolled: 2-line block ×5, first 2 shown]
	v_mov_b32_e32 v19, v73
	v_pk_fma_f32 v[8:9], v[4:5], v[18:19], v[8:9] op_sel:[1,0,0]
	v_mov_b32_e32 v16, v69
	v_pk_fma_f32 v[8:9], v[6:7], v[16:17], v[8:9] op_sel_hi:[0,1,1]
	v_mov_b32_e32 v19, v69
	v_pk_fma_f32 v[8:9], v[50:51], v[18:19], v[8:9] op_sel_hi:[0,1,1]
	;; [unrolled: 2-line block ×3, first 2 shown]
	v_mov_b32_e32 v19, v81
	v_pk_fma_f32 v[8:9], v[44:45], v[18:19], v[8:9] op_sel:[1,0,0]
	v_mov_b32_e32 v16, v63
	v_pk_fma_f32 v[8:9], v[46:47], v[16:17], v[8:9] op_sel_hi:[0,1,1]
	v_mov_b32_e32 v19, v63
	v_pk_fma_f32 v[8:9], v[52:53], v[18:19], v[8:9] op_sel_hi:[0,1,1]
	;; [unrolled: 2-line block ×6, first 2 shown]
	v_mov_b32_e32 v19, v74
	v_pk_fma_f32 v[12:13], v[4:5], v[18:19], v[12:13] op_sel:[1,0,0]
	v_mov_b32_e32 v16, v70
	v_pk_fma_f32 v[12:13], v[6:7], v[16:17], v[12:13] op_sel_hi:[0,1,1]
	v_mov_b32_e32 v19, v70
	v_pk_fma_f32 v[12:13], v[50:51], v[18:19], v[12:13] op_sel_hi:[0,1,1]
	v_mov_b32_e32 v16, v82
	v_pk_fma_f32 v[12:13], v[44:45], v[16:17], v[12:13] op_sel_hi:[0,1,1]
	v_mov_b32_e32 v19, v82
	v_pk_fma_f32 v[12:13], v[44:45], v[18:19], v[12:13] op_sel:[1,0,0]
	v_mov_b32_e32 v16, v64
	v_pk_fma_f32 v[12:13], v[46:47], v[16:17], v[12:13] op_sel_hi:[0,1,1]
	v_mov_b32_e32 v19, v64
	v_pk_fma_f32 v[12:13], v[52:53], v[18:19], v[12:13] op_sel_hi:[0,1,1]
	v_mov_b32_e32 v16, v60
	v_pk_fma_f32 v[12:13], v[0:1], v[16:17], v[12:13] op_sel_hi:[0,1,1]
	v_mov_b32_e32 v16, v79
	v_pk_fma_f32 v[10:11], v[10:11], v[16:17], v[22:23] op_sel_hi:[0,1,1]
	v_mov_b32_e32 v19, v79
	v_pk_fma_f32 v[10:11], v[48:49], v[18:19], v[10:11] op_sel_hi:[0,1,1]
	v_mov_b32_e32 v16, v75
	v_pk_fma_f32 v[10:11], v[4:5], v[16:17], v[10:11] op_sel_hi:[0,1,1]
	v_mov_b32_e32 v19, v75
	v_pk_fma_f32 v[4:5], v[4:5], v[18:19], v[10:11] op_sel:[1,0,0]
	v_mov_b32_e32 v16, v71
	v_pk_fma_f32 v[4:5], v[6:7], v[16:17], v[4:5] op_sel_hi:[0,1,1]
	global_load_dwordx2 v[6:7], v[14:15], off offset:128
	v_mov_b32_e32 v19, v71
	v_pk_fma_f32 v[4:5], v[50:51], v[18:19], v[4:5] op_sel_hi:[0,1,1]
	v_mov_b32_e32 v16, v83
	v_pk_fma_f32 v[4:5], v[44:45], v[16:17], v[4:5] op_sel_hi:[0,1,1]
	v_mov_b32_e32 v19, v83
	v_pk_fma_f32 v[4:5], v[44:45], v[18:19], v[4:5] op_sel:[1,0,0]
	v_mov_b32_e32 v16, v65
	v_pk_fma_f32 v[4:5], v[46:47], v[16:17], v[4:5] op_sel_hi:[0,1,1]
	v_mov_b32_e32 v19, v65
	global_load_dwordx4 v[62:65], v[38:39], off offset:3120
	global_load_dwordx4 v[66:69], v[38:39], off offset:3104
	;; [unrolled: 1-line block ×4, first 2 shown]
	v_pk_fma_f32 v[4:5], v[52:53], v[18:19], v[4:5] op_sel_hi:[0,1,1]
	v_mov_b32_e32 v16, v61
	v_mov_b32_e32 v19, v58
	v_pk_fma_f32 v[4:5], v[0:1], v[16:17], v[4:5] op_sel_hi:[0,1,1]
	v_mov_b32_e32 v16, v54
	v_mov_b32_e32 v10, v3
	v_lshl_add_u64 v[14:15], v[14:15], 0, s[12:13]
	v_lshl_add_u64 v[38:39], v[38:39], 0, s[14:15]
	s_waitcnt vmcnt(4)
	v_sub_co_u32_e32 v6, vcc, v6, v32
	s_nop 1
	v_subb_co_u32_e32 v7, vcc, v7, v33, vcc
	v_lshlrev_b64 v[6:7], 5, v[6:7]
	v_lshl_add_u64 v[6:7], s[2:3], 0, v[6:7]
	global_load_dwordx4 v[46:49], v[6:7], off offset:16
	global_load_dwordx4 v[50:53], v[6:7], off
	v_pk_fma_f32 v[6:7], v[0:1], v[18:19], v[20:21] op_sel:[1,0,0]
	v_mov_b32_e32 v19, v54
	v_pk_fma_f32 v[6:7], v[2:3], v[16:17], v[6:7] op_sel_hi:[0,1,1]
	v_pk_fma_f32 v[6:7], v[10:11], v[18:19], v[6:7] op_sel_hi:[0,1,1]
	s_waitcnt vmcnt(2)
	v_mov_b32_e32 v16, v74
	v_mov_b32_e32 v19, v74
	v_cmp_ge_i64_e32 vcc, v[34:35], v[36:37]
	s_or_b64 s[10:11], vcc, s[10:11]
	s_waitcnt vmcnt(1)
	v_mov_b32_e32 v22, v49
	s_waitcnt vmcnt(0)
	v_pk_fma_f32 v[6:7], v[50:51], v[16:17], v[6:7] op_sel_hi:[0,1,1]
	v_pk_fma_f32 v[6:7], v[50:51], v[18:19], v[6:7] op_sel:[1,0,0]
	v_mov_b32_e32 v16, v70
	v_pk_fma_f32 v[6:7], v[52:53], v[16:17], v[6:7] op_sel_hi:[0,1,1]
	v_mov_b32_e32 v20, v53
	v_mov_b32_e32 v19, v70
	v_pk_fma_f32 v[6:7], v[20:21], v[18:19], v[6:7] op_sel_hi:[0,1,1]
	v_mov_b32_e32 v16, v66
	v_pk_fma_f32 v[6:7], v[46:47], v[16:17], v[6:7] op_sel_hi:[0,1,1]
	v_mov_b32_e32 v19, v66
	v_pk_fma_f32 v[6:7], v[46:47], v[18:19], v[6:7] op_sel:[1,0,0]
	v_mov_b32_e32 v16, v62
	v_pk_fma_f32 v[6:7], v[48:49], v[16:17], v[6:7] op_sel_hi:[0,1,1]
	v_mov_b32_e32 v19, v62
	v_pk_fma_f32 v[42:43], v[22:23], v[18:19], v[6:7] op_sel_hi:[0,1,1]
	v_mov_b32_e32 v19, v59
	v_pk_fma_f32 v[6:7], v[0:1], v[18:19], v[8:9] op_sel:[1,0,0]
	v_mov_b32_e32 v16, v55
	v_pk_fma_f32 v[6:7], v[2:3], v[16:17], v[6:7] op_sel_hi:[0,1,1]
	v_mov_b32_e32 v19, v55
	v_pk_fma_f32 v[6:7], v[10:11], v[18:19], v[6:7] op_sel_hi:[0,1,1]
	v_mov_b32_e32 v16, v75
	v_pk_fma_f32 v[6:7], v[50:51], v[16:17], v[6:7] op_sel_hi:[0,1,1]
	v_mov_b32_e32 v19, v75
	v_pk_fma_f32 v[6:7], v[50:51], v[18:19], v[6:7] op_sel:[1,0,0]
	v_mov_b32_e32 v16, v71
	v_pk_fma_f32 v[6:7], v[52:53], v[16:17], v[6:7] op_sel_hi:[0,1,1]
	v_mov_b32_e32 v19, v71
	v_pk_fma_f32 v[6:7], v[20:21], v[18:19], v[6:7] op_sel_hi:[0,1,1]
	v_mov_b32_e32 v16, v67
	v_pk_fma_f32 v[6:7], v[46:47], v[16:17], v[6:7] op_sel_hi:[0,1,1]
	v_mov_b32_e32 v19, v67
	v_pk_fma_f32 v[6:7], v[46:47], v[18:19], v[6:7] op_sel:[1,0,0]
	v_mov_b32_e32 v16, v63
	v_pk_fma_f32 v[6:7], v[48:49], v[16:17], v[6:7] op_sel_hi:[0,1,1]
	v_mov_b32_e32 v19, v63
	v_pk_fma_f32 v[40:41], v[22:23], v[18:19], v[6:7] op_sel_hi:[0,1,1]
	v_mov_b32_e32 v19, v60
	v_pk_fma_f32 v[6:7], v[0:1], v[18:19], v[12:13] op_sel:[1,0,0]
	v_mov_b32_e32 v16, v56
	v_pk_fma_f32 v[6:7], v[2:3], v[16:17], v[6:7] op_sel_hi:[0,1,1]
	v_mov_b32_e32 v19, v56
	v_pk_fma_f32 v[6:7], v[10:11], v[18:19], v[6:7] op_sel_hi:[0,1,1]
	v_mov_b32_e32 v16, v76
	v_pk_fma_f32 v[6:7], v[50:51], v[16:17], v[6:7] op_sel_hi:[0,1,1]
	v_mov_b32_e32 v19, v76
	v_pk_fma_f32 v[6:7], v[50:51], v[18:19], v[6:7] op_sel:[1,0,0]
	v_mov_b32_e32 v16, v72
	v_pk_fma_f32 v[6:7], v[52:53], v[16:17], v[6:7] op_sel_hi:[0,1,1]
	;; [unrolled: 22-line block ×3, first 2 shown]
	v_mov_b32_e32 v19, v73
	v_pk_fma_f32 v[0:1], v[20:21], v[18:19], v[0:1] op_sel_hi:[0,1,1]
	v_mov_b32_e32 v16, v69
	v_pk_fma_f32 v[0:1], v[46:47], v[16:17], v[0:1] op_sel_hi:[0,1,1]
	v_mov_b32_e32 v19, v69
	v_pk_fma_f32 v[0:1], v[46:47], v[18:19], v[0:1] op_sel:[1,0,0]
	v_mov_b32_e32 v16, v65
	v_pk_fma_f32 v[0:1], v[48:49], v[16:17], v[0:1] op_sel_hi:[0,1,1]
	v_mov_b32_e32 v19, v65
	v_pk_fma_f32 v[12:13], v[22:23], v[18:19], v[0:1] op_sel_hi:[0,1,1]
	s_andn2_b64 exec, exec, s[10:11]
	s_cbranch_execnz .LBB132_31
; %bb.32:
	s_or_b64 exec, exec, s[10:11]
.LBB132_33:
	s_or_b64 exec, exec, s[4:5]
	v_mov_b32_e32 v31, v43
.LBB132_34:
	s_or_b64 exec, exec, s[8:9]
.LBB132_35:
	v_mov_b32_dpp v6, v41 row_shr:1 row_mask:0xf bank_mask:0xf
	v_add_f32_e32 v6, v41, v6
	v_mov_b32_dpp v0, v42 row_shr:1 row_mask:0xf bank_mask:0xf
	v_mov_b32_dpp v2, v31 row_shr:1 row_mask:0xf bank_mask:0xf
	;; [unrolled: 1-line block ×3, first 2 shown]
	v_add_f32_e32 v6, v6, v7
	v_mov_b32_dpp v4, v40 row_shr:1 row_mask:0xf bank_mask:0xf
	v_add_f32_e32 v0, v42, v0
	v_mov_b32_dpp v7, v6 row_shr:4 row_mask:0xf bank_mask:0xe
	;; [unrolled: 2-line block ×3, first 2 shown]
	v_add_f32_e32 v6, v44, v6
	v_add_f32_e32 v2, v31, v2
	;; [unrolled: 1-line block ×3, first 2 shown]
	v_mov_b32_dpp v9, v6 row_shr:2 row_mask:0xf bank_mask:0xf
	v_add_f32_e32 v6, v6, v9
	v_mov_b32_dpp v1, v0 row_shr:2 row_mask:0xf bank_mask:0xf
	v_mov_b32_dpp v3, v2 row_shr:2 row_mask:0xf bank_mask:0xf
	;; [unrolled: 1-line block ×3, first 2 shown]
	v_add_f32_e32 v9, v6, v9
	v_mov_b32_dpp v6, v45 row_shr:1 row_mask:0xf bank_mask:0xf
	v_add_f32_e32 v6, v45, v6
	v_mov_b32_dpp v5, v4 row_shr:2 row_mask:0xf bank_mask:0xf
	;; [unrolled: 2-line block ×3, first 2 shown]
	v_add_f32_e32 v6, v6, v11
	v_add_f32_e32 v2, v2, v3
	;; [unrolled: 1-line block ×3, first 2 shown]
	v_mov_b32_dpp v11, v6 row_shr:4 row_mask:0xf bank_mask:0xe
	v_add_f32_e32 v11, v6, v11
	v_mov_b32_dpp v6, v12 row_shr:1 row_mask:0xf bank_mask:0xf
	v_add_f32_e32 v6, v12, v6
	v_mov_b32_dpp v1, v0 row_shr:4 row_mask:0xf bank_mask:0xe
	v_mov_b32_dpp v3, v2 row_shr:4 row_mask:0xf bank_mask:0xe
	;; [unrolled: 1-line block ×3, first 2 shown]
	v_add_f32_e32 v6, v6, v12
	v_mov_b32_dpp v5, v4 row_shr:4 row_mask:0xf bank_mask:0xe
	v_add_f32_e32 v0, v0, v1
	v_mov_b32_dpp v12, v6 row_shr:4 row_mask:0xf bank_mask:0xe
	;; [unrolled: 2-line block ×3, first 2 shown]
	v_add_f32_e32 v6, v13, v6
	v_add_f32_e32 v2, v2, v3
	v_add_f32_e32 v4, v4, v5
	v_mov_b32_dpp v12, v6 row_shr:2 row_mask:0xf bank_mask:0xf
	v_add_f32_e32 v6, v6, v12
	v_mov_b32_dpp v1, v0 row_shr:8 row_mask:0xf bank_mask:0xc
	v_mov_b32_dpp v3, v2 row_shr:8 row_mask:0xf bank_mask:0xc
	;; [unrolled: 1-line block ×3, first 2 shown]
	v_add_f32_e32 v13, v6, v12
	v_mov_b32_dpp v5, v4 row_shr:8 row_mask:0xf bank_mask:0xc
	v_mov_b32_dpp v8, v7 row_shr:8 row_mask:0xf bank_mask:0xc
	;; [unrolled: 1-line block ×6, first 2 shown]
	v_cmp_eq_u32_e32 vcc, 15, v30
	s_and_b64 exec, exec, vcc
	s_cbranch_execz .LBB132_6
; %bb.36:
	s_load_dwordx2 s[0:1], s[0:1], 0x58
	v_cmp_eq_f32_e32 vcc, 0, v26
	s_xor_b64 s[2:3], s[6:7], -1
	v_add_f32_e32 v6, v0, v1
	v_add_f32_e32 v14, v2, v3
	;; [unrolled: 1-line block ×8, first 2 shown]
	s_and_b64 s[2:3], vcc, s[2:3]
	v_lshlrev_b64 v[16:17], 5, v[28:29]
	s_and_saveexec_b64 s[4:5], s[2:3]
	s_xor_b64 s[2:3], exec, s[4:5]
	s_cbranch_execz .LBB132_38
; %bb.37:
	v_xor_b32_e32 v18, 0x80000000, v25
	v_mov_b32_e32 v19, v24
	v_pk_mul_f32 v[14:15], v[14:15], v[18:19] op_sel_hi:[0,1]
	v_pk_fma_f32 v[14:15], v[24:25], v[6:7], v[14:15] op_sel_hi:[1,0,1]
	v_pk_mul_f32 v[6:7], v[12:13], v[18:19] op_sel_hi:[0,1]
	s_waitcnt lgkmcnt(0)
	v_lshl_add_u64 v[20:21], s[0:1], 0, v[16:17]
	v_pk_fma_f32 v[16:17], v[24:25], v[4:5], v[6:7] op_sel_hi:[1,0,1]
	v_pk_mul_f32 v[4:5], v[10:11], v[18:19] op_sel_hi:[0,1]
	v_pk_fma_f32 v[2:3], v[24:25], v[2:3], v[4:5] op_sel_hi:[1,0,1]
	v_pk_mul_f32 v[4:5], v[8:9], v[18:19] op_sel_hi:[0,1]
	v_pk_fma_f32 v[4:5], v[24:25], v[0:1], v[4:5] op_sel_hi:[1,0,1]
	global_store_dwordx4 v[20:21], v[14:17], off
	global_store_dwordx4 v[20:21], v[2:5], off offset:16
                                        ; implicit-def: $vgpr6
                                        ; implicit-def: $vgpr14
                                        ; implicit-def: $vgpr4
                                        ; implicit-def: $vgpr12
                                        ; implicit-def: $vgpr2
                                        ; implicit-def: $vgpr10
                                        ; implicit-def: $vgpr0
                                        ; implicit-def: $vgpr8
                                        ; implicit-def: $vgpr24_vgpr25
                                        ; implicit-def: $vgpr26_vgpr27
                                        ; implicit-def: $vgpr16_vgpr17
.LBB132_38:
	s_andn2_saveexec_b64 s[2:3], s[2:3]
	s_cbranch_execz .LBB132_6
; %bb.39:
	s_waitcnt lgkmcnt(0)
	v_lshl_add_u64 v[28:29], s[0:1], 0, v[16:17]
	global_load_dwordx4 v[16:19], v[28:29], off
	global_load_dwordx4 v[20:23], v[28:29], off offset:16
	v_xor_b32_e32 v30, 0x80000000, v25
	v_mov_b32_e32 v31, v24
	v_pk_mul_f32 v[14:15], v[14:15], v[30:31] op_sel_hi:[0,1]
	v_pk_mul_f32 v[12:13], v[12:13], v[30:31] op_sel_hi:[0,1]
	;; [unrolled: 1-line block ×4, first 2 shown]
	v_pk_fma_f32 v[6:7], v[24:25], v[6:7], v[14:15] op_sel_hi:[1,0,1]
	v_pk_fma_f32 v[4:5], v[24:25], v[4:5], v[12:13] op_sel_hi:[1,0,1]
	v_xor_b32_e32 v32, 0x80000000, v27
	v_mov_b32_e32 v33, v26
	v_pk_fma_f32 v[2:3], v[24:25], v[2:3], v[10:11] op_sel_hi:[1,0,1]
	v_pk_fma_f32 v[0:1], v[24:25], v[0:1], v[8:9] op_sel_hi:[1,0,1]
	s_waitcnt vmcnt(1)
	v_pk_fma_f32 v[6:7], v[26:27], v[16:17], v[6:7] op_sel_hi:[1,0,1]
	v_pk_fma_f32 v[4:5], v[26:27], v[18:19], v[4:5] op_sel_hi:[1,0,1]
	v_mov_b32_e32 v8, v19
	s_waitcnt vmcnt(0)
	v_pk_fma_f32 v[10:11], v[26:27], v[20:21], v[2:3] op_sel_hi:[1,0,1]
	v_pk_fma_f32 v[12:13], v[26:27], v[22:23], v[0:1] op_sel_hi:[1,0,1]
	v_mov_b32_e32 v14, v23
	v_pk_fma_f32 v[0:1], v[32:33], v[16:17], v[6:7] op_sel:[0,1,0]
	v_pk_fma_f32 v[2:3], v[32:33], v[8:9], v[4:5] op_sel_hi:[1,0,1]
	v_pk_fma_f32 v[4:5], v[32:33], v[20:21], v[10:11] op_sel:[0,1,0]
	v_pk_fma_f32 v[6:7], v[32:33], v[14:15], v[12:13] op_sel_hi:[1,0,1]
	global_store_dwordx4 v[28:29], v[0:3], off
	global_store_dwordx4 v[28:29], v[4:7], off offset:16
	s_endpgm
	.section	.rodata,"a",@progbits
	.p2align	6, 0x0
	.amdhsa_kernel _ZN9rocsparseL18bsrxmvn_4x4_kernelILj128ELj16E21rocsparse_complex_numIfEllfS2_S2_EEvT3_20rocsparse_direction_NS_24const_host_device_scalarIT1_EES3_PKS3_PKT2_SC_S9_PKT4_PKT5_S7_PT6_21rocsparse_index_base_b
		.amdhsa_group_segment_fixed_size 0
		.amdhsa_private_segment_fixed_size 0
		.amdhsa_kernarg_size 104
		.amdhsa_user_sgpr_count 2
		.amdhsa_user_sgpr_dispatch_ptr 0
		.amdhsa_user_sgpr_queue_ptr 0
		.amdhsa_user_sgpr_kernarg_segment_ptr 1
		.amdhsa_user_sgpr_dispatch_id 0
		.amdhsa_user_sgpr_kernarg_preload_length 0
		.amdhsa_user_sgpr_kernarg_preload_offset 0
		.amdhsa_user_sgpr_private_segment_size 0
		.amdhsa_uses_dynamic_stack 0
		.amdhsa_enable_private_segment 0
		.amdhsa_system_sgpr_workgroup_id_x 1
		.amdhsa_system_sgpr_workgroup_id_y 0
		.amdhsa_system_sgpr_workgroup_id_z 0
		.amdhsa_system_sgpr_workgroup_info 0
		.amdhsa_system_vgpr_workitem_id 0
		.amdhsa_next_free_vgpr 104
		.amdhsa_next_free_sgpr 20
		.amdhsa_accum_offset 104
		.amdhsa_reserve_vcc 1
		.amdhsa_float_round_mode_32 0
		.amdhsa_float_round_mode_16_64 0
		.amdhsa_float_denorm_mode_32 3
		.amdhsa_float_denorm_mode_16_64 3
		.amdhsa_dx10_clamp 1
		.amdhsa_ieee_mode 1
		.amdhsa_fp16_overflow 0
		.amdhsa_tg_split 0
		.amdhsa_exception_fp_ieee_invalid_op 0
		.amdhsa_exception_fp_denorm_src 0
		.amdhsa_exception_fp_ieee_div_zero 0
		.amdhsa_exception_fp_ieee_overflow 0
		.amdhsa_exception_fp_ieee_underflow 0
		.amdhsa_exception_fp_ieee_inexact 0
		.amdhsa_exception_int_div_zero 0
	.end_amdhsa_kernel
	.section	.text._ZN9rocsparseL18bsrxmvn_4x4_kernelILj128ELj16E21rocsparse_complex_numIfEllfS2_S2_EEvT3_20rocsparse_direction_NS_24const_host_device_scalarIT1_EES3_PKS3_PKT2_SC_S9_PKT4_PKT5_S7_PT6_21rocsparse_index_base_b,"axG",@progbits,_ZN9rocsparseL18bsrxmvn_4x4_kernelILj128ELj16E21rocsparse_complex_numIfEllfS2_S2_EEvT3_20rocsparse_direction_NS_24const_host_device_scalarIT1_EES3_PKS3_PKT2_SC_S9_PKT4_PKT5_S7_PT6_21rocsparse_index_base_b,comdat
.Lfunc_end132:
	.size	_ZN9rocsparseL18bsrxmvn_4x4_kernelILj128ELj16E21rocsparse_complex_numIfEllfS2_S2_EEvT3_20rocsparse_direction_NS_24const_host_device_scalarIT1_EES3_PKS3_PKT2_SC_S9_PKT4_PKT5_S7_PT6_21rocsparse_index_base_b, .Lfunc_end132-_ZN9rocsparseL18bsrxmvn_4x4_kernelILj128ELj16E21rocsparse_complex_numIfEllfS2_S2_EEvT3_20rocsparse_direction_NS_24const_host_device_scalarIT1_EES3_PKS3_PKT2_SC_S9_PKT4_PKT5_S7_PT6_21rocsparse_index_base_b
                                        ; -- End function
	.set _ZN9rocsparseL18bsrxmvn_4x4_kernelILj128ELj16E21rocsparse_complex_numIfEllfS2_S2_EEvT3_20rocsparse_direction_NS_24const_host_device_scalarIT1_EES3_PKS3_PKT2_SC_S9_PKT4_PKT5_S7_PT6_21rocsparse_index_base_b.num_vgpr, 104
	.set _ZN9rocsparseL18bsrxmvn_4x4_kernelILj128ELj16E21rocsparse_complex_numIfEllfS2_S2_EEvT3_20rocsparse_direction_NS_24const_host_device_scalarIT1_EES3_PKS3_PKT2_SC_S9_PKT4_PKT5_S7_PT6_21rocsparse_index_base_b.num_agpr, 0
	.set _ZN9rocsparseL18bsrxmvn_4x4_kernelILj128ELj16E21rocsparse_complex_numIfEllfS2_S2_EEvT3_20rocsparse_direction_NS_24const_host_device_scalarIT1_EES3_PKS3_PKT2_SC_S9_PKT4_PKT5_S7_PT6_21rocsparse_index_base_b.numbered_sgpr, 20
	.set _ZN9rocsparseL18bsrxmvn_4x4_kernelILj128ELj16E21rocsparse_complex_numIfEllfS2_S2_EEvT3_20rocsparse_direction_NS_24const_host_device_scalarIT1_EES3_PKS3_PKT2_SC_S9_PKT4_PKT5_S7_PT6_21rocsparse_index_base_b.num_named_barrier, 0
	.set _ZN9rocsparseL18bsrxmvn_4x4_kernelILj128ELj16E21rocsparse_complex_numIfEllfS2_S2_EEvT3_20rocsparse_direction_NS_24const_host_device_scalarIT1_EES3_PKS3_PKT2_SC_S9_PKT4_PKT5_S7_PT6_21rocsparse_index_base_b.private_seg_size, 0
	.set _ZN9rocsparseL18bsrxmvn_4x4_kernelILj128ELj16E21rocsparse_complex_numIfEllfS2_S2_EEvT3_20rocsparse_direction_NS_24const_host_device_scalarIT1_EES3_PKS3_PKT2_SC_S9_PKT4_PKT5_S7_PT6_21rocsparse_index_base_b.uses_vcc, 1
	.set _ZN9rocsparseL18bsrxmvn_4x4_kernelILj128ELj16E21rocsparse_complex_numIfEllfS2_S2_EEvT3_20rocsparse_direction_NS_24const_host_device_scalarIT1_EES3_PKS3_PKT2_SC_S9_PKT4_PKT5_S7_PT6_21rocsparse_index_base_b.uses_flat_scratch, 0
	.set _ZN9rocsparseL18bsrxmvn_4x4_kernelILj128ELj16E21rocsparse_complex_numIfEllfS2_S2_EEvT3_20rocsparse_direction_NS_24const_host_device_scalarIT1_EES3_PKS3_PKT2_SC_S9_PKT4_PKT5_S7_PT6_21rocsparse_index_base_b.has_dyn_sized_stack, 0
	.set _ZN9rocsparseL18bsrxmvn_4x4_kernelILj128ELj16E21rocsparse_complex_numIfEllfS2_S2_EEvT3_20rocsparse_direction_NS_24const_host_device_scalarIT1_EES3_PKS3_PKT2_SC_S9_PKT4_PKT5_S7_PT6_21rocsparse_index_base_b.has_recursion, 0
	.set _ZN9rocsparseL18bsrxmvn_4x4_kernelILj128ELj16E21rocsparse_complex_numIfEllfS2_S2_EEvT3_20rocsparse_direction_NS_24const_host_device_scalarIT1_EES3_PKS3_PKT2_SC_S9_PKT4_PKT5_S7_PT6_21rocsparse_index_base_b.has_indirect_call, 0
	.section	.AMDGPU.csdata,"",@progbits
; Kernel info:
; codeLenInByte = 7044
; TotalNumSgprs: 26
; NumVgprs: 104
; NumAgprs: 0
; TotalNumVgprs: 104
; ScratchSize: 0
; MemoryBound: 0
; FloatMode: 240
; IeeeMode: 1
; LDSByteSize: 0 bytes/workgroup (compile time only)
; SGPRBlocks: 3
; VGPRBlocks: 12
; NumSGPRsForWavesPerEU: 26
; NumVGPRsForWavesPerEU: 104
; AccumOffset: 104
; Occupancy: 4
; WaveLimiterHint : 1
; COMPUTE_PGM_RSRC2:SCRATCH_EN: 0
; COMPUTE_PGM_RSRC2:USER_SGPR: 2
; COMPUTE_PGM_RSRC2:TRAP_HANDLER: 0
; COMPUTE_PGM_RSRC2:TGID_X_EN: 1
; COMPUTE_PGM_RSRC2:TGID_Y_EN: 0
; COMPUTE_PGM_RSRC2:TGID_Z_EN: 0
; COMPUTE_PGM_RSRC2:TIDIG_COMP_CNT: 0
; COMPUTE_PGM_RSRC3_GFX90A:ACCUM_OFFSET: 25
; COMPUTE_PGM_RSRC3_GFX90A:TG_SPLIT: 0
	.section	.text._ZN9rocsparseL18bsrxmvn_4x4_kernelILj128ELj32E21rocsparse_complex_numIfEllfS2_S2_EEvT3_20rocsparse_direction_NS_24const_host_device_scalarIT1_EES3_PKS3_PKT2_SC_S9_PKT4_PKT5_S7_PT6_21rocsparse_index_base_b,"axG",@progbits,_ZN9rocsparseL18bsrxmvn_4x4_kernelILj128ELj32E21rocsparse_complex_numIfEllfS2_S2_EEvT3_20rocsparse_direction_NS_24const_host_device_scalarIT1_EES3_PKS3_PKT2_SC_S9_PKT4_PKT5_S7_PT6_21rocsparse_index_base_b,comdat
	.globl	_ZN9rocsparseL18bsrxmvn_4x4_kernelILj128ELj32E21rocsparse_complex_numIfEllfS2_S2_EEvT3_20rocsparse_direction_NS_24const_host_device_scalarIT1_EES3_PKS3_PKT2_SC_S9_PKT4_PKT5_S7_PT6_21rocsparse_index_base_b ; -- Begin function _ZN9rocsparseL18bsrxmvn_4x4_kernelILj128ELj32E21rocsparse_complex_numIfEllfS2_S2_EEvT3_20rocsparse_direction_NS_24const_host_device_scalarIT1_EES3_PKS3_PKT2_SC_S9_PKT4_PKT5_S7_PT6_21rocsparse_index_base_b
	.p2align	8
	.type	_ZN9rocsparseL18bsrxmvn_4x4_kernelILj128ELj32E21rocsparse_complex_numIfEllfS2_S2_EEvT3_20rocsparse_direction_NS_24const_host_device_scalarIT1_EES3_PKS3_PKT2_SC_S9_PKT4_PKT5_S7_PT6_21rocsparse_index_base_b,@function
_ZN9rocsparseL18bsrxmvn_4x4_kernelILj128ELj32E21rocsparse_complex_numIfEllfS2_S2_EEvT3_20rocsparse_direction_NS_24const_host_device_scalarIT1_EES3_PKS3_PKT2_SC_S9_PKT4_PKT5_S7_PT6_21rocsparse_index_base_b: ; @_ZN9rocsparseL18bsrxmvn_4x4_kernelILj128ELj32E21rocsparse_complex_numIfEllfS2_S2_EEvT3_20rocsparse_direction_NS_24const_host_device_scalarIT1_EES3_PKS3_PKT2_SC_S9_PKT4_PKT5_S7_PT6_21rocsparse_index_base_b
; %bb.0:
	s_load_dwordx4 s[8:11], s[0:1], 0x10
	s_load_dwordx2 s[12:13], s[0:1], 0x60
	s_add_u32 s3, s0, 16
	s_addc_u32 s6, s1, 0
	s_load_dwordx2 s[4:5], s[0:1], 0x50
	s_add_u32 s7, s0, 0x50
	s_addc_u32 s14, s1, 0
	s_waitcnt lgkmcnt(0)
	s_bitcmp1_b32 s13, 0
	s_cselect_b32 s3, s3, s8
	s_cselect_b32 s6, s6, s9
	v_mov_b32_e32 v2, s3
	s_cselect_b32 s3, s14, s5
	s_cselect_b32 s4, s7, s4
	v_mov_b32_e32 v3, s6
	v_mov_b32_e32 v4, s4
	;; [unrolled: 1-line block ×3, first 2 shown]
	flat_load_dwordx2 v[24:25], v[2:3]
	flat_load_dwordx2 v[26:27], v[4:5]
	s_waitcnt vmcnt(0) lgkmcnt(0)
	v_cmp_neq_f32_e32 vcc, 0, v24
	v_cmp_neq_f32_e64 s[4:5], 0, v25
	v_cmp_neq_f32_e64 s[8:9], 1.0, v26
	v_cmp_neq_f32_e64 s[6:7], 0, v27
	s_or_b64 s[4:5], vcc, s[4:5]
	s_or_b64 s[8:9], s[8:9], s[6:7]
	s_or_b64 s[4:5], s[4:5], s[8:9]
	s_and_saveexec_b64 s[8:9], s[4:5]
	s_cbranch_execz .LBB133_6
; %bb.1:
	s_load_dwordx2 s[4:5], s[0:1], 0x20
	v_lshrrev_b32_e32 v1, 5, v0
	v_lshl_or_b32 v2, s2, 2, v1
	v_mov_b32_e32 v3, 0
	s_mov_b64 s[2:3], 0
	s_waitcnt lgkmcnt(0)
	s_cmp_lg_u64 s[4:5], 0
	s_cbranch_scc0 .LBB133_7
; %bb.2:
	v_cmp_gt_i64_e32 vcc, s[10:11], v[2:3]
                                        ; implicit-def: $vgpr28_vgpr29
                                        ; implicit-def: $vgpr32_vgpr33
	s_and_saveexec_b64 s[8:9], vcc
	s_xor_b64 s[8:9], exec, s[8:9]
	s_cbranch_execz .LBB133_4
; %bb.3:
	v_lshl_add_u64 v[4:5], v[2:3], 3, s[4:5]
	global_load_dwordx2 v[4:5], v[4:5], off
	s_mov_b32 s13, 0
	s_mov_b64 s[2:3], exec
	v_mov_b64_e32 v[32:33], s[12:13]
	s_waitcnt vmcnt(0)
	v_subrev_co_u32_e32 v28, vcc, s12, v4
	s_nop 1
	v_subbrev_co_u32_e32 v29, vcc, 0, v5, vcc
.LBB133_4:
	s_or_b64 exec, exec, s[8:9]
.LBB133_5:
	s_and_b64 exec, exec, s[2:3]
	s_cbranch_execnz .LBB133_11
.LBB133_6:
	s_endpgm
.LBB133_7:
                                        ; implicit-def: $vgpr28_vgpr29
                                        ; implicit-def: $vgpr32_vgpr33
	s_cbranch_execz .LBB133_5
; %bb.8:
	s_load_dwordx2 s[4:5], s[0:1], 0x0
	s_waitcnt lgkmcnt(0)
	v_cmp_gt_i64_e32 vcc, s[4:5], v[2:3]
	s_and_saveexec_b64 s[4:5], vcc
; %bb.9:
	s_mov_b32 s13, 0
	s_or_b64 s[2:3], s[2:3], exec
; %bb.10:
	s_or_b64 exec, exec, s[4:5]
	v_mov_b64_e32 v[32:33], s[12:13]
	v_mov_b64_e32 v[28:29], v[2:3]
	s_and_b64 exec, exec, s[2:3]
	s_cbranch_execz .LBB133_6
.LBB133_11:
	s_load_dwordx8 s[8:15], s[0:1], 0x28
	v_lshlrev_b64 v[2:3], 3, v[28:29]
	v_and_b32_e32 v30, 31, v0
	v_mov_b32_e32 v31, 0
	s_waitcnt lgkmcnt(0)
	v_lshl_add_u64 v[4:5], s[8:9], 0, v[2:3]
	s_cmp_eq_u64 s[10:11], 0
	v_lshl_add_u64 v[2:3], s[10:11], 0, v[2:3]
	global_load_dwordx2 v[46:47], v[4:5], off
	v_lshl_add_u64 v[4:5], v[4:5], 0, 8
	s_cselect_b64 vcc, -1, 0
	v_cndmask_b32_e32 v3, v3, v5, vcc
	v_cndmask_b32_e32 v2, v2, v4, vcc
	global_load_dwordx2 v[2:3], v[2:3], off
	s_load_dword s4, s[0:1], 0x8
	s_load_dwordx2 s[2:3], s[0:1], 0x48
	s_waitcnt lgkmcnt(0)
	s_cmp_eq_u32 s4, 1
	s_waitcnt vmcnt(1)
	v_sub_co_u32_e32 v0, vcc, v46, v32
	s_nop 1
	v_subb_co_u32_e32 v1, vcc, v47, v33, vcc
	v_lshl_add_u64 v[34:35], v[0:1], 0, v[30:31]
	s_waitcnt vmcnt(0)
	v_sub_co_u32_e32 v36, vcc, v2, v32
	v_lshlrev_b64 v[0:1], 6, v[34:35]
	s_nop 0
	v_subb_co_u32_e32 v37, vcc, v3, v33, vcc
	v_lshl_add_u64 v[38:39], s[14:15], 0, v[0:1]
	v_cmp_lt_i64_e64 s[4:5], v[34:35], v[36:37]
	s_cbranch_scc1 .LBB133_23
; %bb.12:
	v_mov_b32_e32 v44, v31
	v_mov_b32_e32 v41, v31
	;; [unrolled: 1-line block ×7, first 2 shown]
	s_and_saveexec_b64 s[8:9], s[4:5]
	s_cbranch_execz .LBB133_22
; %bb.13:
	v_or_b32_e32 v0, 32, v30
	v_sub_co_u32_e32 v0, vcc, v0, v32
	v_not_b32_e32 v3, v47
	s_nop 0
	v_subb_co_u32_e32 v1, vcc, 0, v33, vcc
	v_lshl_add_u64 v[0:1], v[0:1], 0, v[46:47]
	v_cmp_gt_i64_e32 vcc, v[0:1], v[36:37]
	v_not_b32_e32 v2, v46
	v_mov_b32_e32 v13, 0
	v_cndmask_b32_e32 v1, v37, v1, vcc
	v_cndmask_b32_e32 v0, v36, v0, vcc
	v_sub_co_u32_e32 v4, vcc, v32, v30
	s_mov_b64 s[10:11], 0x60
	s_nop 0
	v_subbrev_co_u32_e32 v5, vcc, 0, v33, vcc
	v_lshl_add_u64 v[2:3], v[4:5], 0, v[2:3]
	v_lshl_add_u64 v[0:1], v[2:3], 0, v[0:1]
	v_and_b32_e32 v12, 0x60, v0
	v_cmp_ne_u64_e32 vcc, s[10:11], v[12:13]
	v_mov_b32_e32 v12, v13
	v_mov_b32_e32 v42, v13
	;; [unrolled: 1-line block ×7, first 2 shown]
	v_mov_b64_e32 v[2:3], v[38:39]
	v_mov_b64_e32 v[48:49], v[34:35]
	s_and_saveexec_b64 s[10:11], vcc
	s_cbranch_execz .LBB133_17
; %bb.14:
	v_lshrrev_b32_e32 v2, 5, v0
	v_add_u32_e32 v2, 1, v2
	v_and_b32_e32 v2, 3, v2
	v_sub_co_u32_e32 v8, vcc, 0, v2
	v_mov_b32_e32 v5, 0
	s_nop 0
	v_subb_co_u32_e64 v9, s[16:17], 0, 0, vcc
	v_lshl_add_u64 v[6:7], v[34:35], 3, s[12:13]
	s_mov_b64 s[14:15], 0
	s_mov_b64 s[16:17], 0x800
	;; [unrolled: 1-line block ×3, first 2 shown]
	v_bfrev_b32_e32 v10, 1
	v_mov_b64_e32 v[48:49], v[34:35]
	v_mov_b64_e32 v[2:3], v[38:39]
	v_mov_b32_e32 v12, v5
	v_mov_b32_e32 v13, v5
	v_mov_b32_e32 v42, v5
	v_mov_b32_e32 v43, v5
	v_mov_b32_e32 v40, v5
	v_mov_b32_e32 v41, v5
	v_mov_b32_e32 v44, v5
	v_mov_b32_e32 v45, v5
.LBB133_15:                             ; =>This Inner Loop Header: Depth=1
	global_load_dwordx2 v[14:15], v[6:7], off
	global_load_dwordx4 v[54:57], v[2:3], off offset:16
	global_load_dwordx4 v[58:61], v[2:3], off
	v_lshl_add_u64 v[8:9], v[8:9], 0, 1
	v_lshl_add_u64 v[48:49], v[48:49], 0, 32
	;; [unrolled: 1-line block ×3, first 2 shown]
	s_waitcnt vmcnt(2)
	v_sub_co_u32_e32 v14, vcc, v14, v32
	s_nop 1
	v_subb_co_u32_e32 v15, vcc, v15, v33, vcc
	v_lshlrev_b64 v[14:15], 5, v[14:15]
	v_lshl_add_u64 v[22:23], s[2:3], 0, v[14:15]
	global_load_dwordx4 v[14:17], v[22:23], off
	global_load_dwordx4 v[18:21], v[22:23], off offset:16
	global_load_dwordx4 v[62:65], v[2:3], off offset:32
	global_load_dwordx4 v[66:69], v[2:3], off offset:48
	s_waitcnt vmcnt(4)
	v_mov_b32_e32 v4, v58
	v_mov_b32_e32 v11, v58
	v_cmp_eq_u64_e32 vcc, 0, v[8:9]
	v_lshl_add_u64 v[2:3], v[2:3], 0, s[16:17]
	s_or_b64 s[14:15], vcc, s[14:15]
	s_waitcnt vmcnt(3)
	v_pk_fma_f32 v[22:23], v[14:15], v[4:5], v[44:45] op_sel_hi:[0,1,1]
	v_mov_b32_e32 v4, v59
	v_pk_fma_f32 v[22:23], v[14:15], v[10:11], v[22:23] op_sel:[1,0,0]
	v_mov_b32_e32 v50, v17
	v_mov_b32_e32 v11, v59
	v_pk_fma_f32 v[22:23], v[16:17], v[4:5], v[22:23] op_sel_hi:[0,1,1]
	v_mov_b32_e32 v4, v60
	v_pk_fma_f32 v[22:23], v[50:51], v[10:11], v[22:23] op_sel_hi:[0,1,1]
	v_mov_b32_e32 v11, v60
	s_waitcnt vmcnt(2)
	v_pk_fma_f32 v[22:23], v[18:19], v[4:5], v[22:23] op_sel_hi:[0,1,1]
	v_mov_b32_e32 v4, v61
	v_pk_fma_f32 v[22:23], v[18:19], v[10:11], v[22:23] op_sel:[1,0,0]
	v_mov_b32_e32 v52, v21
	v_mov_b32_e32 v11, v61
	v_pk_fma_f32 v[22:23], v[20:21], v[4:5], v[22:23] op_sel_hi:[0,1,1]
	v_mov_b32_e32 v4, v54
	v_pk_fma_f32 v[44:45], v[52:53], v[10:11], v[22:23] op_sel_hi:[0,1,1]
	v_pk_fma_f32 v[22:23], v[14:15], v[4:5], v[40:41] op_sel_hi:[0,1,1]
	v_mov_b32_e32 v11, v54
	v_mov_b32_e32 v4, v55
	v_pk_fma_f32 v[22:23], v[14:15], v[10:11], v[22:23] op_sel:[1,0,0]
	v_mov_b32_e32 v11, v55
	v_pk_fma_f32 v[22:23], v[16:17], v[4:5], v[22:23] op_sel_hi:[0,1,1]
	v_mov_b32_e32 v4, v56
	v_pk_fma_f32 v[22:23], v[50:51], v[10:11], v[22:23] op_sel_hi:[0,1,1]
	v_mov_b32_e32 v11, v56
	v_pk_fma_f32 v[22:23], v[18:19], v[4:5], v[22:23] op_sel_hi:[0,1,1]
	v_mov_b32_e32 v4, v57
	v_pk_fma_f32 v[22:23], v[18:19], v[10:11], v[22:23] op_sel:[1,0,0]
	v_mov_b32_e32 v11, v57
	v_pk_fma_f32 v[22:23], v[20:21], v[4:5], v[22:23] op_sel_hi:[0,1,1]
	s_waitcnt vmcnt(1)
	v_mov_b32_e32 v4, v62
	v_pk_fma_f32 v[40:41], v[52:53], v[10:11], v[22:23] op_sel_hi:[0,1,1]
	v_pk_fma_f32 v[22:23], v[14:15], v[4:5], v[42:43] op_sel_hi:[0,1,1]
	v_mov_b32_e32 v11, v62
	v_mov_b32_e32 v4, v63
	v_pk_fma_f32 v[22:23], v[14:15], v[10:11], v[22:23] op_sel:[1,0,0]
	v_mov_b32_e32 v11, v63
	v_pk_fma_f32 v[22:23], v[16:17], v[4:5], v[22:23] op_sel_hi:[0,1,1]
	v_mov_b32_e32 v4, v64
	v_pk_fma_f32 v[22:23], v[50:51], v[10:11], v[22:23] op_sel_hi:[0,1,1]
	;; [unrolled: 2-line block ×3, first 2 shown]
	v_mov_b32_e32 v4, v65
	v_pk_fma_f32 v[22:23], v[18:19], v[10:11], v[22:23] op_sel:[1,0,0]
	v_mov_b32_e32 v11, v65
	v_pk_fma_f32 v[22:23], v[20:21], v[4:5], v[22:23] op_sel_hi:[0,1,1]
	s_waitcnt vmcnt(0)
	v_mov_b32_e32 v4, v66
	v_pk_fma_f32 v[42:43], v[52:53], v[10:11], v[22:23] op_sel_hi:[0,1,1]
	v_pk_fma_f32 v[12:13], v[14:15], v[4:5], v[12:13] op_sel_hi:[0,1,1]
	v_mov_b32_e32 v11, v66
	v_mov_b32_e32 v4, v67
	v_pk_fma_f32 v[12:13], v[14:15], v[10:11], v[12:13] op_sel:[1,0,0]
	v_mov_b32_e32 v11, v67
	v_pk_fma_f32 v[12:13], v[16:17], v[4:5], v[12:13] op_sel_hi:[0,1,1]
	v_mov_b32_e32 v4, v68
	v_pk_fma_f32 v[12:13], v[50:51], v[10:11], v[12:13] op_sel_hi:[0,1,1]
	;; [unrolled: 2-line block ×3, first 2 shown]
	v_mov_b32_e32 v4, v69
	v_pk_fma_f32 v[12:13], v[18:19], v[10:11], v[12:13] op_sel:[1,0,0]
	v_mov_b32_e32 v11, v69
	v_pk_fma_f32 v[12:13], v[20:21], v[4:5], v[12:13] op_sel_hi:[0,1,1]
	v_pk_fma_f32 v[12:13], v[52:53], v[10:11], v[12:13] op_sel_hi:[0,1,1]
	s_andn2_b64 exec, exec, s[14:15]
	s_cbranch_execnz .LBB133_15
; %bb.16:
	s_or_b64 exec, exec, s[14:15]
.LBB133_17:
	s_or_b64 exec, exec, s[10:11]
	s_mov_b64 s[10:11], 0x5f
	v_cmp_lt_u64_e32 vcc, s[10:11], v[0:1]
	s_and_saveexec_b64 s[10:11], vcc
	s_cbranch_execz .LBB133_21
; %bb.18:
	v_lshl_add_u64 v[0:1], v[48:49], 3, s[12:13]
	s_mov_b64 s[14:15], 0x200
	v_lshl_add_u64 v[50:51], v[0:1], 0, s[14:15]
	s_mov_b64 s[14:15], 0x1000
	;; [unrolled: 2-line block ×3, first 2 shown]
	v_mov_b32_e32 v55, 0
	s_mov_b64 s[16:17], 0x80
	s_mov_b64 s[18:19], 0x400
	;; [unrolled: 1-line block ×3, first 2 shown]
	v_bfrev_b32_e32 v56, 1
.LBB133_19:                             ; =>This Inner Loop Header: Depth=1
	global_load_dwordx2 v[0:1], v[50:51], off offset:-512
	v_lshl_add_u64 v[48:49], v[48:49], 0, s[16:17]
	s_waitcnt vmcnt(0)
	v_sub_co_u32_e32 v0, vcc, v0, v32
	s_nop 1
	v_subb_co_u32_e32 v1, vcc, v1, v33, vcc
	v_lshlrev_b64 v[0:1], 5, v[0:1]
	v_lshl_add_u64 v[0:1], s[2:3], 0, v[0:1]
	global_load_dwordx4 v[8:11], v[0:1], off offset:16
	global_load_dwordx4 v[14:17], v[0:1], off
	global_load_dwordx2 v[2:3], v[50:51], off offset:-256
	global_load_dwordx4 v[64:67], v[52:53], off offset:-2000
	global_load_dwordx4 v[68:71], v[52:53], off offset:-2016
	;; [unrolled: 1-line block ×4, first 2 shown]
	s_waitcnt vmcnt(4)
	v_sub_co_u32_e32 v0, vcc, v2, v32
	s_nop 1
	v_subb_co_u32_e32 v1, vcc, v3, v33, vcc
	v_lshlrev_b64 v[0:1], 5, v[0:1]
	v_lshl_add_u64 v[18:19], s[2:3], 0, v[0:1]
	global_load_dwordx4 v[0:3], v[18:19], off offset:16
	global_load_dwordx4 v[4:7], v[18:19], off
	global_load_dwordx4 v[76:79], v[52:53], off offset:-4048
	global_load_dwordx4 v[80:83], v[52:53], off offset:-4064
	;; [unrolled: 1-line block ×4, first 2 shown]
	s_waitcnt vmcnt(0)
	v_mov_b32_e32 v54, v20
	v_pk_fma_f32 v[18:19], v[14:15], v[54:55], v[44:45] op_sel_hi:[0,1,1]
	v_mov_b32_e32 v57, v20
	v_pk_fma_f32 v[18:19], v[14:15], v[56:57], v[18:19] op_sel:[1,0,0]
	v_mov_b32_e32 v54, v21
	v_pk_fma_f32 v[18:19], v[16:17], v[54:55], v[18:19] op_sel_hi:[0,1,1]
	v_mov_b32_e32 v20, v17
	v_mov_b32_e32 v57, v21
	v_pk_fma_f32 v[18:19], v[20:21], v[56:57], v[18:19] op_sel_hi:[0,1,1]
	v_mov_b32_e32 v54, v22
	v_pk_fma_f32 v[18:19], v[8:9], v[54:55], v[18:19] op_sel_hi:[0,1,1]
	v_mov_b32_e32 v57, v22
	v_pk_fma_f32 v[18:19], v[8:9], v[56:57], v[18:19] op_sel:[1,0,0]
	v_mov_b32_e32 v54, v23
	v_pk_fma_f32 v[18:19], v[10:11], v[54:55], v[18:19] op_sel_hi:[0,1,1]
	v_mov_b32_e32 v22, v11
	v_mov_b32_e32 v57, v23
	v_pk_fma_f32 v[18:19], v[22:23], v[56:57], v[18:19] op_sel_hi:[0,1,1]
	v_mov_b32_e32 v54, v58
	v_pk_fma_f32 v[18:19], v[4:5], v[54:55], v[18:19] op_sel_hi:[0,1,1]
	v_mov_b32_e32 v57, v58
	v_mov_b32_e32 v54, v84
	v_pk_fma_f32 v[44:45], v[4:5], v[56:57], v[18:19] op_sel:[1,0,0]
	v_pk_fma_f32 v[18:19], v[14:15], v[54:55], v[40:41] op_sel_hi:[0,1,1]
	v_mov_b32_e32 v57, v84
	v_pk_fma_f32 v[18:19], v[14:15], v[56:57], v[18:19] op_sel:[1,0,0]
	v_mov_b32_e32 v54, v85
	v_pk_fma_f32 v[18:19], v[16:17], v[54:55], v[18:19] op_sel_hi:[0,1,1]
	v_mov_b32_e32 v57, v85
	v_pk_fma_f32 v[18:19], v[20:21], v[56:57], v[18:19] op_sel_hi:[0,1,1]
	v_mov_b32_e32 v54, v86
	v_pk_fma_f32 v[18:19], v[8:9], v[54:55], v[18:19] op_sel_hi:[0,1,1]
	v_mov_b32_e32 v57, v86
	v_pk_fma_f32 v[18:19], v[8:9], v[56:57], v[18:19] op_sel:[1,0,0]
	v_mov_b32_e32 v54, v87
	v_pk_fma_f32 v[18:19], v[10:11], v[54:55], v[18:19] op_sel_hi:[0,1,1]
	v_mov_b32_e32 v57, v87
	v_pk_fma_f32 v[18:19], v[22:23], v[56:57], v[18:19] op_sel_hi:[0,1,1]
	v_mov_b32_e32 v54, v72
	v_pk_fma_f32 v[18:19], v[4:5], v[54:55], v[18:19] op_sel_hi:[0,1,1]
	v_mov_b32_e32 v57, v72
	v_mov_b32_e32 v54, v80
	v_pk_fma_f32 v[40:41], v[4:5], v[56:57], v[18:19] op_sel:[1,0,0]
	v_pk_fma_f32 v[18:19], v[14:15], v[54:55], v[42:43] op_sel_hi:[0,1,1]
	v_mov_b32_e32 v57, v80
	v_pk_fma_f32 v[18:19], v[14:15], v[56:57], v[18:19] op_sel:[1,0,0]
	v_mov_b32_e32 v54, v81
	v_pk_fma_f32 v[18:19], v[16:17], v[54:55], v[18:19] op_sel_hi:[0,1,1]
	v_mov_b32_e32 v57, v81
	v_pk_fma_f32 v[18:19], v[20:21], v[56:57], v[18:19] op_sel_hi:[0,1,1]
	v_mov_b32_e32 v54, v82
	v_pk_fma_f32 v[18:19], v[8:9], v[54:55], v[18:19] op_sel_hi:[0,1,1]
	v_mov_b32_e32 v57, v82
	v_pk_fma_f32 v[18:19], v[8:9], v[56:57], v[18:19] op_sel:[1,0,0]
	v_mov_b32_e32 v54, v83
	v_pk_fma_f32 v[18:19], v[10:11], v[54:55], v[18:19] op_sel_hi:[0,1,1]
	;; [unrolled: 20-line block ×3, first 2 shown]
	v_mov_b32_e32 v57, v79
	v_pk_fma_f32 v[8:9], v[22:23], v[56:57], v[8:9] op_sel_hi:[0,1,1]
	v_mov_b32_e32 v54, v64
	v_pk_fma_f32 v[8:9], v[4:5], v[54:55], v[8:9] op_sel_hi:[0,1,1]
	v_mov_b32_e32 v57, v64
	v_pk_fma_f32 v[4:5], v[4:5], v[56:57], v[8:9] op_sel:[1,0,0]
	global_load_dwordx2 v[8:9], v[50:51], off
	v_mov_b32_e32 v54, v59
	v_pk_fma_f32 v[44:45], v[6:7], v[54:55], v[44:45] op_sel_hi:[0,1,1]
	v_mov_b32_e32 v58, v7
	v_mov_b32_e32 v57, v59
	v_pk_fma_f32 v[44:45], v[58:59], v[56:57], v[44:45] op_sel_hi:[0,1,1]
	v_mov_b32_e32 v54, v60
	v_pk_fma_f32 v[44:45], v[0:1], v[54:55], v[44:45] op_sel_hi:[0,1,1]
	v_mov_b32_e32 v57, v60
	v_pk_fma_f32 v[44:45], v[0:1], v[56:57], v[44:45] op_sel:[1,0,0]
	v_mov_b32_e32 v54, v61
	v_pk_fma_f32 v[44:45], v[2:3], v[54:55], v[44:45] op_sel_hi:[0,1,1]
	v_mov_b32_e32 v60, v3
	v_mov_b32_e32 v57, v61
	v_pk_fma_f32 v[44:45], v[60:61], v[56:57], v[44:45] op_sel_hi:[0,1,1]
	s_waitcnt vmcnt(0)
	v_sub_co_u32_e32 v8, vcc, v8, v32
	s_nop 1
	v_subb_co_u32_e32 v9, vcc, v9, v33, vcc
	v_lshlrev_b64 v[8:9], 5, v[8:9]
	v_lshl_add_u64 v[16:17], s[2:3], 0, v[8:9]
	global_load_dwordx4 v[8:11], v[16:17], off offset:16
	global_load_dwordx4 v[12:15], v[16:17], off
	global_load_dwordx2 v[18:19], v[50:51], off offset:256
	v_lshl_add_u64 v[50:51], v[50:51], 0, s[18:19]
	s_waitcnt vmcnt(2)
	v_mov_b32_e32 v64, v11
	s_waitcnt vmcnt(0)
	v_sub_co_u32_e32 v16, vcc, v18, v32
	s_nop 1
	v_subb_co_u32_e32 v17, vcc, v19, v33, vcc
	v_lshlrev_b64 v[16:17], 5, v[16:17]
	v_lshl_add_u64 v[62:63], s[2:3], 0, v[16:17]
	global_load_dwordx4 v[16:19], v[62:63], off offset:16
	global_load_dwordx4 v[20:23], v[62:63], off
	global_load_dwordx4 v[76:79], v[52:53], off offset:48
	global_load_dwordx4 v[80:83], v[52:53], off offset:32
	;; [unrolled: 1-line block ×3, first 2 shown]
	global_load_dwordx4 v[88:91], v[52:53], off
	v_mov_b32_e32 v62, v15
	v_cmp_ge_i64_e32 vcc, v[48:49], v[36:37]
	s_or_b64 s[14:15], vcc, s[14:15]
	s_waitcnt vmcnt(5)
	v_mov_b32_e32 v72, v19
	s_waitcnt vmcnt(4)
	v_mov_b32_e32 v68, v23
	;; [unrolled: 2-line block ×3, first 2 shown]
	v_pk_fma_f32 v[44:45], v[12:13], v[54:55], v[44:45] op_sel_hi:[0,1,1]
	v_mov_b32_e32 v57, v88
	v_pk_fma_f32 v[44:45], v[12:13], v[56:57], v[44:45] op_sel:[1,0,0]
	v_mov_b32_e32 v54, v89
	v_pk_fma_f32 v[44:45], v[14:15], v[54:55], v[44:45] op_sel_hi:[0,1,1]
	v_mov_b32_e32 v57, v89
	v_pk_fma_f32 v[44:45], v[62:63], v[56:57], v[44:45] op_sel_hi:[0,1,1]
	;; [unrolled: 2-line block ×3, first 2 shown]
	v_mov_b32_e32 v57, v90
	v_pk_fma_f32 v[44:45], v[8:9], v[56:57], v[44:45] op_sel:[1,0,0]
	v_mov_b32_e32 v54, v91
	v_mov_b32_e32 v57, v91
	global_load_dwordx4 v[88:91], v[52:53], off offset:2096
	global_load_dwordx4 v[92:95], v[52:53], off offset:2080
	;; [unrolled: 1-line block ×4, first 2 shown]
	v_pk_fma_f32 v[44:45], v[10:11], v[54:55], v[44:45] op_sel_hi:[0,1,1]
	v_pk_fma_f32 v[44:45], v[64:65], v[56:57], v[44:45] op_sel_hi:[0,1,1]
	v_lshl_add_u64 v[52:53], v[52:53], 0, s[20:21]
	s_waitcnt vmcnt(0)
	v_mov_b32_e32 v54, v100
	v_pk_fma_f32 v[44:45], v[20:21], v[54:55], v[44:45] op_sel_hi:[0,1,1]
	v_mov_b32_e32 v57, v100
	v_pk_fma_f32 v[44:45], v[20:21], v[56:57], v[44:45] op_sel:[1,0,0]
	v_mov_b32_e32 v54, v101
	v_pk_fma_f32 v[44:45], v[22:23], v[54:55], v[44:45] op_sel_hi:[0,1,1]
	v_mov_b32_e32 v57, v101
	v_pk_fma_f32 v[44:45], v[68:69], v[56:57], v[44:45] op_sel_hi:[0,1,1]
	v_mov_b32_e32 v54, v102
	v_pk_fma_f32 v[44:45], v[16:17], v[54:55], v[44:45] op_sel_hi:[0,1,1]
	v_mov_b32_e32 v57, v102
	v_pk_fma_f32 v[44:45], v[16:17], v[56:57], v[44:45] op_sel:[1,0,0]
	v_mov_b32_e32 v54, v103
	v_pk_fma_f32 v[44:45], v[18:19], v[54:55], v[44:45] op_sel_hi:[0,1,1]
	v_mov_b32_e32 v57, v103
	v_mov_b32_e32 v54, v73
	v_pk_fma_f32 v[44:45], v[72:73], v[56:57], v[44:45] op_sel_hi:[0,1,1]
	v_pk_fma_f32 v[40:41], v[6:7], v[54:55], v[40:41] op_sel_hi:[0,1,1]
	v_mov_b32_e32 v57, v73
	v_pk_fma_f32 v[40:41], v[58:59], v[56:57], v[40:41] op_sel_hi:[0,1,1]
	v_mov_b32_e32 v54, v74
	v_pk_fma_f32 v[40:41], v[0:1], v[54:55], v[40:41] op_sel_hi:[0,1,1]
	v_mov_b32_e32 v57, v74
	v_pk_fma_f32 v[40:41], v[0:1], v[56:57], v[40:41] op_sel:[1,0,0]
	v_mov_b32_e32 v54, v75
	v_pk_fma_f32 v[40:41], v[2:3], v[54:55], v[40:41] op_sel_hi:[0,1,1]
	v_mov_b32_e32 v57, v75
	v_pk_fma_f32 v[40:41], v[60:61], v[56:57], v[40:41] op_sel_hi:[0,1,1]
	v_mov_b32_e32 v54, v84
	v_pk_fma_f32 v[40:41], v[12:13], v[54:55], v[40:41] op_sel_hi:[0,1,1]
	v_mov_b32_e32 v57, v84
	v_pk_fma_f32 v[40:41], v[12:13], v[56:57], v[40:41] op_sel:[1,0,0]
	v_mov_b32_e32 v54, v85
	v_pk_fma_f32 v[40:41], v[14:15], v[54:55], v[40:41] op_sel_hi:[0,1,1]
	v_mov_b32_e32 v57, v85
	v_pk_fma_f32 v[40:41], v[62:63], v[56:57], v[40:41] op_sel_hi:[0,1,1]
	v_mov_b32_e32 v54, v86
	v_pk_fma_f32 v[40:41], v[54:55], v[8:9], v[40:41] op_sel_hi:[1,0,1]
	v_mov_b32_e32 v57, v86
	v_pk_fma_f32 v[40:41], v[8:9], v[56:57], v[40:41] op_sel:[1,0,0]
	v_mov_b32_e32 v54, v87
	v_pk_fma_f32 v[40:41], v[10:11], v[54:55], v[40:41] op_sel_hi:[0,1,1]
	v_mov_b32_e32 v57, v87
	v_pk_fma_f32 v[40:41], v[64:65], v[56:57], v[40:41] op_sel_hi:[0,1,1]
	v_mov_b32_e32 v54, v96
	v_pk_fma_f32 v[40:41], v[20:21], v[54:55], v[40:41] op_sel_hi:[0,1,1]
	v_mov_b32_e32 v57, v96
	v_pk_fma_f32 v[40:41], v[20:21], v[56:57], v[40:41] op_sel:[1,0,0]
	v_mov_b32_e32 v54, v97
	v_pk_fma_f32 v[40:41], v[22:23], v[54:55], v[40:41] op_sel_hi:[0,1,1]
	v_mov_b32_e32 v57, v97
	v_pk_fma_f32 v[40:41], v[68:69], v[56:57], v[40:41] op_sel_hi:[0,1,1]
	v_mov_b32_e32 v54, v98
	v_pk_fma_f32 v[40:41], v[16:17], v[54:55], v[40:41] op_sel_hi:[0,1,1]
	v_mov_b32_e32 v57, v98
	v_pk_fma_f32 v[40:41], v[16:17], v[56:57], v[40:41] op_sel:[1,0,0]
	v_mov_b32_e32 v54, v99
	v_pk_fma_f32 v[40:41], v[18:19], v[54:55], v[40:41] op_sel_hi:[0,1,1]
	v_mov_b32_e32 v57, v99
	v_mov_b32_e32 v54, v69
	v_pk_fma_f32 v[40:41], v[72:73], v[56:57], v[40:41] op_sel_hi:[0,1,1]
	v_pk_fma_f32 v[42:43], v[6:7], v[54:55], v[42:43] op_sel_hi:[0,1,1]
	v_mov_b32_e32 v57, v69
	v_pk_fma_f32 v[42:43], v[58:59], v[56:57], v[42:43] op_sel_hi:[0,1,1]
	v_mov_b32_e32 v54, v70
	v_pk_fma_f32 v[42:43], v[0:1], v[54:55], v[42:43] op_sel_hi:[0,1,1]
	v_mov_b32_e32 v57, v70
	v_pk_fma_f32 v[42:43], v[0:1], v[56:57], v[42:43] op_sel:[1,0,0]
	v_mov_b32_e32 v54, v71
	v_pk_fma_f32 v[42:43], v[2:3], v[54:55], v[42:43] op_sel_hi:[0,1,1]
	v_mov_b32_e32 v57, v71
	v_pk_fma_f32 v[42:43], v[60:61], v[56:57], v[42:43] op_sel_hi:[0,1,1]
	v_mov_b32_e32 v54, v80
	v_pk_fma_f32 v[42:43], v[12:13], v[54:55], v[42:43] op_sel_hi:[0,1,1]
	v_mov_b32_e32 v57, v80
	v_pk_fma_f32 v[42:43], v[12:13], v[56:57], v[42:43] op_sel:[1,0,0]
	v_mov_b32_e32 v54, v81
	v_pk_fma_f32 v[42:43], v[14:15], v[54:55], v[42:43] op_sel_hi:[0,1,1]
	v_mov_b32_e32 v57, v81
	v_pk_fma_f32 v[42:43], v[62:63], v[56:57], v[42:43] op_sel_hi:[0,1,1]
	v_mov_b32_e32 v54, v82
	v_pk_fma_f32 v[42:43], v[54:55], v[8:9], v[42:43] op_sel_hi:[1,0,1]
	v_mov_b32_e32 v57, v82
	v_pk_fma_f32 v[42:43], v[8:9], v[56:57], v[42:43] op_sel:[1,0,0]
	v_mov_b32_e32 v54, v83
	v_pk_fma_f32 v[42:43], v[10:11], v[54:55], v[42:43] op_sel_hi:[0,1,1]
	v_mov_b32_e32 v57, v83
	v_pk_fma_f32 v[42:43], v[64:65], v[56:57], v[42:43] op_sel_hi:[0,1,1]
	v_mov_b32_e32 v54, v92
	v_pk_fma_f32 v[42:43], v[20:21], v[54:55], v[42:43] op_sel_hi:[0,1,1]
	v_mov_b32_e32 v57, v92
	v_pk_fma_f32 v[42:43], v[20:21], v[56:57], v[42:43] op_sel:[1,0,0]
	v_mov_b32_e32 v54, v93
	v_pk_fma_f32 v[42:43], v[22:23], v[54:55], v[42:43] op_sel_hi:[0,1,1]
	v_mov_b32_e32 v57, v93
	v_pk_fma_f32 v[42:43], v[68:69], v[56:57], v[42:43] op_sel_hi:[0,1,1]
	v_mov_b32_e32 v54, v94
	v_pk_fma_f32 v[42:43], v[16:17], v[54:55], v[42:43] op_sel_hi:[0,1,1]
	v_mov_b32_e32 v57, v94
	v_pk_fma_f32 v[42:43], v[16:17], v[56:57], v[42:43] op_sel:[1,0,0]
	v_mov_b32_e32 v54, v95
	v_pk_fma_f32 v[42:43], v[18:19], v[54:55], v[42:43] op_sel_hi:[0,1,1]
	v_mov_b32_e32 v57, v95
	v_mov_b32_e32 v54, v65
	v_pk_fma_f32 v[42:43], v[72:73], v[56:57], v[42:43] op_sel_hi:[0,1,1]
	v_pk_fma_f32 v[4:5], v[6:7], v[54:55], v[4:5] op_sel_hi:[0,1,1]
	v_mov_b32_e32 v57, v65
	v_pk_fma_f32 v[4:5], v[58:59], v[56:57], v[4:5] op_sel_hi:[0,1,1]
	v_mov_b32_e32 v54, v66
	v_pk_fma_f32 v[4:5], v[0:1], v[54:55], v[4:5] op_sel_hi:[0,1,1]
	v_mov_b32_e32 v57, v66
	v_pk_fma_f32 v[0:1], v[0:1], v[56:57], v[4:5] op_sel:[1,0,0]
	v_mov_b32_e32 v54, v67
	v_pk_fma_f32 v[0:1], v[2:3], v[54:55], v[0:1] op_sel_hi:[0,1,1]
	v_mov_b32_e32 v57, v67
	v_pk_fma_f32 v[0:1], v[60:61], v[56:57], v[0:1] op_sel_hi:[0,1,1]
	v_mov_b32_e32 v54, v76
	v_pk_fma_f32 v[0:1], v[12:13], v[54:55], v[0:1] op_sel_hi:[0,1,1]
	v_mov_b32_e32 v57, v76
	v_pk_fma_f32 v[0:1], v[12:13], v[56:57], v[0:1] op_sel:[1,0,0]
	v_mov_b32_e32 v54, v77
	v_pk_fma_f32 v[0:1], v[14:15], v[54:55], v[0:1] op_sel_hi:[0,1,1]
	v_mov_b32_e32 v57, v77
	v_pk_fma_f32 v[0:1], v[62:63], v[56:57], v[0:1] op_sel_hi:[0,1,1]
	v_mov_b32_e32 v54, v78
	v_pk_fma_f32 v[0:1], v[54:55], v[8:9], v[0:1] op_sel_hi:[1,0,1]
	v_mov_b32_e32 v57, v78
	v_pk_fma_f32 v[0:1], v[8:9], v[56:57], v[0:1] op_sel:[1,0,0]
	v_mov_b32_e32 v54, v79
	v_pk_fma_f32 v[0:1], v[10:11], v[54:55], v[0:1] op_sel_hi:[0,1,1]
	v_mov_b32_e32 v57, v79
	v_pk_fma_f32 v[0:1], v[64:65], v[56:57], v[0:1] op_sel_hi:[0,1,1]
	v_mov_b32_e32 v54, v88
	v_pk_fma_f32 v[0:1], v[20:21], v[54:55], v[0:1] op_sel_hi:[0,1,1]
	v_mov_b32_e32 v57, v88
	v_pk_fma_f32 v[0:1], v[20:21], v[56:57], v[0:1] op_sel:[1,0,0]
	v_mov_b32_e32 v54, v89
	v_pk_fma_f32 v[0:1], v[22:23], v[54:55], v[0:1] op_sel_hi:[0,1,1]
	v_mov_b32_e32 v57, v89
	v_pk_fma_f32 v[0:1], v[68:69], v[56:57], v[0:1] op_sel_hi:[0,1,1]
	;; [unrolled: 2-line block ×3, first 2 shown]
	v_mov_b32_e32 v57, v90
	v_pk_fma_f32 v[0:1], v[16:17], v[56:57], v[0:1] op_sel:[1,0,0]
	v_mov_b32_e32 v54, v91
	v_pk_fma_f32 v[0:1], v[18:19], v[54:55], v[0:1] op_sel_hi:[0,1,1]
	v_mov_b32_e32 v57, v91
	v_pk_fma_f32 v[12:13], v[72:73], v[56:57], v[0:1] op_sel_hi:[0,1,1]
	s_andn2_b64 exec, exec, s[14:15]
	s_cbranch_execnz .LBB133_19
; %bb.20:
	s_or_b64 exec, exec, s[14:15]
.LBB133_21:
	s_or_b64 exec, exec, s[10:11]
	v_mov_b32_e32 v31, v45
.LBB133_22:
	s_or_b64 exec, exec, s[8:9]
	s_cbranch_execz .LBB133_24
	s_branch .LBB133_35
.LBB133_23:
                                        ; implicit-def: $vgpr44
                                        ; implicit-def: $vgpr41
                                        ; implicit-def: $vgpr43
                                        ; implicit-def: $vgpr13
.LBB133_24:
	v_mov_b32_e32 v31, 0
	v_mov_b32_e32 v44, 0
	;; [unrolled: 1-line block ×8, first 2 shown]
	s_and_saveexec_b64 s[8:9], s[4:5]
	s_cbranch_execz .LBB133_34
; %bb.25:
	v_or_b32_e32 v0, 32, v30
	v_sub_co_u32_e32 v0, vcc, v0, v32
	v_not_b32_e32 v3, v47
	s_nop 0
	v_subb_co_u32_e32 v1, vcc, 0, v33, vcc
	v_lshl_add_u64 v[0:1], v[0:1], 0, v[46:47]
	v_cmp_gt_i64_e32 vcc, v[0:1], v[36:37]
	v_not_b32_e32 v2, v46
	v_mov_b32_e32 v13, 0
	v_cndmask_b32_e32 v1, v37, v1, vcc
	v_cndmask_b32_e32 v0, v36, v0, vcc
	v_sub_co_u32_e32 v4, vcc, v32, v30
	s_mov_b64 s[4:5], 0x60
	s_nop 0
	v_subbrev_co_u32_e32 v5, vcc, 0, v33, vcc
	v_lshl_add_u64 v[2:3], v[4:5], 0, v[2:3]
	v_lshl_add_u64 v[0:1], v[2:3], 0, v[0:1]
	v_and_b32_e32 v12, 0x60, v0
	v_cmp_ne_u64_e32 vcc, s[4:5], v[12:13]
	v_mov_b32_e32 v12, v13
	v_mov_b32_e32 v42, v13
	;; [unrolled: 1-line block ×7, first 2 shown]
	s_and_saveexec_b64 s[4:5], vcc
	s_cbranch_execz .LBB133_29
; %bb.26:
	v_lshrrev_b32_e32 v2, 5, v0
	v_add_u32_e32 v2, 1, v2
	v_and_b32_e32 v2, 3, v2
	v_sub_co_u32_e32 v6, vcc, 0, v2
	v_mov_b32_e32 v3, 0
	s_nop 0
	v_subb_co_u32_e64 v7, s[14:15], 0, 0, vcc
	v_lshl_add_u64 v[4:5], v[34:35], 3, s[12:13]
	s_mov_b64 s[10:11], 0
	s_mov_b64 s[14:15], 0x800
	;; [unrolled: 1-line block ×3, first 2 shown]
	v_bfrev_b32_e32 v8, 1
	v_mov_b32_e32 v12, v3
	v_mov_b32_e32 v13, v3
	;; [unrolled: 1-line block ×8, first 2 shown]
.LBB133_27:                             ; =>This Inner Loop Header: Depth=1
	global_load_dwordx2 v[10:11], v[4:5], off
	global_load_dwordx4 v[48:51], v[38:39], off offset:32
	global_load_dwordx4 v[52:55], v[38:39], off offset:16
	global_load_dwordx4 v[56:59], v[38:39], off
	v_lshl_add_u64 v[6:7], v[6:7], 0, 1
	v_lshl_add_u64 v[34:35], v[34:35], 0, 32
	;; [unrolled: 1-line block ×3, first 2 shown]
	s_waitcnt vmcnt(3)
	v_sub_co_u32_e32 v10, vcc, v10, v32
	s_nop 1
	v_subb_co_u32_e32 v11, vcc, v11, v33, vcc
	v_lshlrev_b64 v[10:11], 5, v[10:11]
	v_lshl_add_u64 v[10:11], s[2:3], 0, v[10:11]
	global_load_dwordx4 v[14:17], v[10:11], off
	global_load_dwordx4 v[18:21], v[10:11], off offset:16
	global_load_dwordx4 v[60:63], v[38:39], off offset:48
	s_waitcnt vmcnt(3)
	v_mov_b32_e32 v2, v56
	v_mov_b32_e32 v9, v56
	v_cmp_eq_u64_e32 vcc, 0, v[6:7]
	v_lshl_add_u64 v[38:39], v[38:39], 0, s[14:15]
	s_or_b64 s[10:11], vcc, s[10:11]
	s_waitcnt vmcnt(2)
	v_pk_fma_f32 v[10:11], v[14:15], v[2:3], v[44:45] op_sel_hi:[0,1,1]
	v_mov_b32_e32 v2, v52
	v_pk_fma_f32 v[10:11], v[14:15], v[8:9], v[10:11] op_sel:[1,0,0]
	v_mov_b32_e32 v22, v17
	v_mov_b32_e32 v9, v52
	v_pk_fma_f32 v[10:11], v[16:17], v[2:3], v[10:11] op_sel_hi:[0,1,1]
	v_mov_b32_e32 v2, v48
	v_pk_fma_f32 v[10:11], v[22:23], v[8:9], v[10:11] op_sel_hi:[0,1,1]
	v_mov_b32_e32 v9, v48
	s_waitcnt vmcnt(1)
	v_pk_fma_f32 v[10:11], v[18:19], v[2:3], v[10:11] op_sel_hi:[0,1,1]
	s_waitcnt vmcnt(0)
	v_mov_b32_e32 v2, v60
	v_pk_fma_f32 v[10:11], v[18:19], v[8:9], v[10:11] op_sel:[1,0,0]
	v_mov_b32_e32 v46, v21
	v_mov_b32_e32 v9, v60
	v_pk_fma_f32 v[10:11], v[20:21], v[2:3], v[10:11] op_sel_hi:[0,1,1]
	v_mov_b32_e32 v2, v57
	v_pk_fma_f32 v[44:45], v[46:47], v[8:9], v[10:11] op_sel_hi:[0,1,1]
	v_pk_fma_f32 v[10:11], v[14:15], v[2:3], v[40:41] op_sel_hi:[0,1,1]
	v_mov_b32_e32 v9, v57
	v_mov_b32_e32 v2, v53
	v_pk_fma_f32 v[10:11], v[14:15], v[8:9], v[10:11] op_sel:[1,0,0]
	v_mov_b32_e32 v9, v53
	v_pk_fma_f32 v[10:11], v[16:17], v[2:3], v[10:11] op_sel_hi:[0,1,1]
	v_mov_b32_e32 v2, v49
	v_pk_fma_f32 v[10:11], v[22:23], v[8:9], v[10:11] op_sel_hi:[0,1,1]
	v_mov_b32_e32 v9, v49
	v_pk_fma_f32 v[10:11], v[18:19], v[2:3], v[10:11] op_sel_hi:[0,1,1]
	v_mov_b32_e32 v2, v61
	v_pk_fma_f32 v[10:11], v[18:19], v[8:9], v[10:11] op_sel:[1,0,0]
	v_mov_b32_e32 v9, v61
	v_pk_fma_f32 v[10:11], v[20:21], v[2:3], v[10:11] op_sel_hi:[0,1,1]
	v_mov_b32_e32 v2, v58
	v_pk_fma_f32 v[40:41], v[46:47], v[8:9], v[10:11] op_sel_hi:[0,1,1]
	v_pk_fma_f32 v[10:11], v[14:15], v[2:3], v[42:43] op_sel_hi:[0,1,1]
	v_mov_b32_e32 v9, v58
	v_mov_b32_e32 v2, v54
	v_pk_fma_f32 v[10:11], v[14:15], v[8:9], v[10:11] op_sel:[1,0,0]
	v_mov_b32_e32 v9, v54
	v_pk_fma_f32 v[10:11], v[16:17], v[2:3], v[10:11] op_sel_hi:[0,1,1]
	v_mov_b32_e32 v2, v50
	v_pk_fma_f32 v[10:11], v[22:23], v[8:9], v[10:11] op_sel_hi:[0,1,1]
	v_mov_b32_e32 v9, v50
	v_pk_fma_f32 v[10:11], v[18:19], v[2:3], v[10:11] op_sel_hi:[0,1,1]
	v_mov_b32_e32 v2, v62
	v_pk_fma_f32 v[10:11], v[18:19], v[8:9], v[10:11] op_sel:[1,0,0]
	;; [unrolled: 16-line block ×3, first 2 shown]
	v_mov_b32_e32 v9, v63
	v_pk_fma_f32 v[10:11], v[20:21], v[2:3], v[10:11] op_sel_hi:[0,1,1]
	v_pk_fma_f32 v[12:13], v[46:47], v[8:9], v[10:11] op_sel_hi:[0,1,1]
	s_andn2_b64 exec, exec, s[10:11]
	s_cbranch_execnz .LBB133_27
; %bb.28:
	s_or_b64 exec, exec, s[10:11]
.LBB133_29:
	s_or_b64 exec, exec, s[4:5]
	s_mov_b64 s[4:5], 0x5f
	v_cmp_lt_u64_e32 vcc, s[4:5], v[0:1]
	s_and_saveexec_b64 s[4:5], vcc
	s_cbranch_execz .LBB133_33
; %bb.30:
	v_lshl_add_u64 v[0:1], v[34:35], 3, s[12:13]
	s_mov_b64 s[10:11], 0x200
	v_lshl_add_u64 v[14:15], v[0:1], 0, s[10:11]
	s_mov_b64 s[10:11], 0
	v_mov_b32_e32 v17, 0
	s_mov_b64 s[12:13], 0x1000
	s_movk_i32 s20, 0x1000
	s_mov_b64 s[14:15], 0x80
	s_mov_b64 s[16:17], 0x400
	;; [unrolled: 1-line block ×3, first 2 shown]
	v_bfrev_b32_e32 v18, 1
.LBB133_31:                             ; =>This Inner Loop Header: Depth=1
	global_load_dwordx2 v[0:1], v[14:15], off offset:-512
	global_load_dwordx4 v[54:57], v[38:39], off offset:48
	global_load_dwordx4 v[58:61], v[38:39], off offset:32
	global_load_dwordx4 v[62:65], v[38:39], off offset:16
	global_load_dwordx4 v[66:69], v[38:39], off
	v_lshl_add_u64 v[34:35], v[34:35], 0, s[14:15]
	s_waitcnt vmcnt(4)
	v_sub_co_u32_e32 v0, vcc, v0, v32
	s_nop 1
	v_subb_co_u32_e32 v1, vcc, v1, v33, vcc
	v_lshlrev_b64 v[0:1], 5, v[0:1]
	v_lshl_add_u64 v[4:5], s[2:3], 0, v[0:1]
	global_load_dwordx4 v[0:3], v[4:5], off offset:16
	global_load_dwordx4 v[46:49], v[4:5], off
	global_load_dwordx2 v[6:7], v[14:15], off offset:-256
	global_load_dwordx4 v[70:73], v[38:39], off offset:2096
	global_load_dwordx4 v[74:77], v[38:39], off offset:2080
	;; [unrolled: 1-line block ×4, first 2 shown]
	s_waitcnt vmcnt(7)
	v_mov_b32_e32 v16, v66
	v_mov_b32_e32 v19, v66
	s_waitcnt vmcnt(6)
	v_mov_b32_e32 v52, v3
	s_waitcnt vmcnt(5)
	;; [unrolled: 2-line block ×3, first 2 shown]
	v_sub_co_u32_e32 v4, vcc, v6, v32
	s_nop 1
	v_subb_co_u32_e32 v5, vcc, v7, v33, vcc
	v_lshlrev_b64 v[4:5], 5, v[4:5]
	v_lshl_add_u64 v[20:21], s[2:3], 0, v[4:5]
	global_load_dwordx4 v[4:7], v[20:21], off offset:16
	global_load_dwordx4 v[8:11], v[20:21], off
	v_pk_fma_f32 v[20:21], v[46:47], v[16:17], v[44:45] op_sel_hi:[0,1,1]
	v_pk_fma_f32 v[20:21], v[46:47], v[18:19], v[20:21] op_sel:[1,0,0]
	v_mov_b32_e32 v16, v62
	v_pk_fma_f32 v[20:21], v[48:49], v[16:17], v[20:21] op_sel_hi:[0,1,1]
	v_mov_b32_e32 v19, v62
	v_pk_fma_f32 v[20:21], v[50:51], v[18:19], v[20:21] op_sel_hi:[0,1,1]
	;; [unrolled: 2-line block ×3, first 2 shown]
	v_mov_b32_e32 v19, v58
	v_pk_fma_f32 v[20:21], v[0:1], v[18:19], v[20:21] op_sel:[1,0,0]
	v_mov_b32_e32 v16, v54
	v_pk_fma_f32 v[20:21], v[2:3], v[16:17], v[20:21] op_sel_hi:[0,1,1]
	v_mov_b32_e32 v19, v54
	v_pk_fma_f32 v[20:21], v[52:53], v[18:19], v[20:21] op_sel_hi:[0,1,1]
	s_waitcnt vmcnt(2)
	v_mov_b32_e32 v16, v82
	v_mov_b32_e32 v19, v82
	s_waitcnt vmcnt(0)
	v_pk_fma_f32 v[20:21], v[8:9], v[16:17], v[20:21] op_sel_hi:[0,1,1]
	v_mov_b32_e32 v16, v67
	v_pk_fma_f32 v[22:23], v[8:9], v[18:19], v[20:21] op_sel:[1,0,0]
	v_pk_fma_f32 v[20:21], v[46:47], v[16:17], v[40:41] op_sel_hi:[0,1,1]
	v_mov_b32_e32 v19, v67
	v_pk_fma_f32 v[20:21], v[46:47], v[18:19], v[20:21] op_sel:[1,0,0]
	v_mov_b32_e32 v16, v63
	v_pk_fma_f32 v[20:21], v[48:49], v[16:17], v[20:21] op_sel_hi:[0,1,1]
	v_mov_b32_e32 v19, v63
	v_pk_fma_f32 v[20:21], v[50:51], v[18:19], v[20:21] op_sel_hi:[0,1,1]
	v_mov_b32_e32 v16, v59
	v_pk_fma_f32 v[20:21], v[0:1], v[16:17], v[20:21] op_sel_hi:[0,1,1]
	v_mov_b32_e32 v19, v59
	v_pk_fma_f32 v[20:21], v[0:1], v[18:19], v[20:21] op_sel:[1,0,0]
	v_mov_b32_e32 v16, v55
	v_pk_fma_f32 v[20:21], v[2:3], v[16:17], v[20:21] op_sel_hi:[0,1,1]
	v_mov_b32_e32 v19, v55
	v_pk_fma_f32 v[20:21], v[52:53], v[18:19], v[20:21] op_sel_hi:[0,1,1]
	v_mov_b32_e32 v16, v83
	v_pk_fma_f32 v[20:21], v[8:9], v[16:17], v[20:21] op_sel_hi:[0,1,1]
	v_mov_b32_e32 v19, v83
	v_mov_b32_e32 v16, v68
	v_pk_fma_f32 v[44:45], v[8:9], v[18:19], v[20:21] op_sel:[1,0,0]
	v_pk_fma_f32 v[20:21], v[46:47], v[16:17], v[42:43] op_sel_hi:[0,1,1]
	v_mov_b32_e32 v19, v68
	v_pk_fma_f32 v[20:21], v[46:47], v[18:19], v[20:21] op_sel:[1,0,0]
	v_mov_b32_e32 v16, v64
	v_pk_fma_f32 v[20:21], v[48:49], v[16:17], v[20:21] op_sel_hi:[0,1,1]
	v_mov_b32_e32 v19, v64
	v_pk_fma_f32 v[20:21], v[50:51], v[18:19], v[20:21] op_sel_hi:[0,1,1]
	v_mov_b32_e32 v16, v60
	v_pk_fma_f32 v[20:21], v[0:1], v[16:17], v[20:21] op_sel_hi:[0,1,1]
	v_mov_b32_e32 v19, v60
	v_pk_fma_f32 v[20:21], v[0:1], v[18:19], v[20:21] op_sel:[1,0,0]
	v_mov_b32_e32 v16, v56
	v_pk_fma_f32 v[20:21], v[2:3], v[16:17], v[20:21] op_sel_hi:[0,1,1]
	v_mov_b32_e32 v19, v56
	v_pk_fma_f32 v[20:21], v[52:53], v[18:19], v[20:21] op_sel_hi:[0,1,1]
	v_mov_b32_e32 v16, v84
	v_pk_fma_f32 v[20:21], v[8:9], v[16:17], v[20:21] op_sel_hi:[0,1,1]
	v_mov_b32_e32 v19, v84
	;; [unrolled: 20-line block ×3, first 2 shown]
	v_pk_fma_f32 v[40:41], v[8:9], v[18:19], v[0:1] op_sel:[1,0,0]
	global_load_dwordx2 v[0:1], v[14:15], off
	v_lshl_add_u64 v[8:9], v[38:39], 0, s[12:13]
	v_mov_b32_e32 v16, v78
	v_mov_b32_e32 v42, v11
	;; [unrolled: 1-line block ×4, first 2 shown]
	s_waitcnt vmcnt(0)
	v_sub_co_u32_e32 v0, vcc, v0, v32
	s_nop 1
	v_subb_co_u32_e32 v1, vcc, v1, v33, vcc
	v_add_co_u32_e32 v2, vcc, s20, v38
	v_lshlrev_b64 v[0:1], 5, v[0:1]
	s_nop 0
	v_addc_co_u32_e32 v3, vcc, 0, v39, vcc
	v_lshl_add_u64 v[12:13], s[2:3], 0, v[0:1]
	global_load_dwordx4 v[52:55], v[2:3], off
	global_load_dwordx4 v[56:59], v[8:9], off offset:48
	global_load_dwordx4 v[60:63], v[8:9], off offset:32
	;; [unrolled: 1-line block ×3, first 2 shown]
	s_nop 0
	global_load_dwordx4 v[0:3], v[12:13], off offset:16
	global_load_dwordx4 v[46:49], v[12:13], off
	v_pk_fma_f32 v[12:13], v[10:11], v[16:17], v[22:23] op_sel_hi:[0,1,1]
	v_pk_fma_f32 v[12:13], v[42:43], v[18:19], v[12:13] op_sel_hi:[0,1,1]
	v_mov_b32_e32 v16, v74
	v_pk_fma_f32 v[12:13], v[4:5], v[16:17], v[12:13] op_sel_hi:[0,1,1]
	v_mov_b32_e32 v19, v74
	v_pk_fma_f32 v[12:13], v[4:5], v[18:19], v[12:13] op_sel:[1,0,0]
	v_mov_b32_e32 v16, v70
	v_pk_fma_f32 v[12:13], v[6:7], v[16:17], v[12:13] op_sel_hi:[0,1,1]
	v_mov_b32_e32 v19, v70
	v_pk_fma_f32 v[12:13], v[50:51], v[18:19], v[12:13] op_sel_hi:[0,1,1]
	v_lshl_add_u64 v[38:39], v[38:39], 0, s[18:19]
	s_waitcnt vmcnt(5)
	v_mov_b32_e32 v16, v52
	v_mov_b32_e32 v19, v52
	s_waitcnt vmcnt(0)
	v_pk_fma_f32 v[12:13], v[46:47], v[16:17], v[12:13] op_sel_hi:[0,1,1]
	v_pk_fma_f32 v[12:13], v[46:47], v[18:19], v[12:13] op_sel:[1,0,0]
	v_mov_b32_e32 v16, v64
	v_pk_fma_f32 v[12:13], v[48:49], v[16:17], v[12:13] op_sel_hi:[0,1,1]
	v_mov_b32_e32 v52, v49
	v_mov_b32_e32 v19, v64
	v_pk_fma_f32 v[12:13], v[52:53], v[18:19], v[12:13] op_sel_hi:[0,1,1]
	v_mov_b32_e32 v16, v60
	v_pk_fma_f32 v[22:23], v[0:1], v[16:17], v[12:13] op_sel_hi:[0,1,1]
	;; [unrolled: 2-line block ×5, first 2 shown]
	v_mov_b32_e32 v19, v75
	v_pk_fma_f32 v[12:13], v[4:5], v[18:19], v[12:13] op_sel:[1,0,0]
	v_mov_b32_e32 v16, v71
	v_pk_fma_f32 v[12:13], v[6:7], v[16:17], v[12:13] op_sel_hi:[0,1,1]
	v_mov_b32_e32 v19, v71
	v_pk_fma_f32 v[12:13], v[50:51], v[18:19], v[12:13] op_sel_hi:[0,1,1]
	;; [unrolled: 2-line block ×3, first 2 shown]
	v_mov_b32_e32 v19, v53
	v_pk_fma_f32 v[12:13], v[46:47], v[18:19], v[12:13] op_sel:[1,0,0]
	v_mov_b32_e32 v16, v65
	v_pk_fma_f32 v[12:13], v[48:49], v[16:17], v[12:13] op_sel_hi:[0,1,1]
	v_mov_b32_e32 v19, v65
	v_pk_fma_f32 v[12:13], v[52:53], v[18:19], v[12:13] op_sel_hi:[0,1,1]
	;; [unrolled: 2-line block ×6, first 2 shown]
	v_mov_b32_e32 v19, v76
	v_pk_fma_f32 v[20:21], v[4:5], v[18:19], v[20:21] op_sel:[1,0,0]
	v_mov_b32_e32 v16, v72
	v_pk_fma_f32 v[20:21], v[6:7], v[16:17], v[20:21] op_sel_hi:[0,1,1]
	v_mov_b32_e32 v19, v72
	v_pk_fma_f32 v[20:21], v[50:51], v[18:19], v[20:21] op_sel_hi:[0,1,1]
	;; [unrolled: 2-line block ×3, first 2 shown]
	v_mov_b32_e32 v19, v54
	v_pk_fma_f32 v[20:21], v[46:47], v[18:19], v[20:21] op_sel:[1,0,0]
	v_mov_b32_e32 v16, v66
	v_pk_fma_f32 v[20:21], v[48:49], v[16:17], v[20:21] op_sel_hi:[0,1,1]
	v_mov_b32_e32 v19, v66
	v_pk_fma_f32 v[20:21], v[52:53], v[18:19], v[20:21] op_sel_hi:[0,1,1]
	;; [unrolled: 2-line block ×6, first 2 shown]
	v_mov_b32_e32 v19, v77
	v_pk_fma_f32 v[4:5], v[4:5], v[18:19], v[10:11] op_sel:[1,0,0]
	v_mov_b32_e32 v16, v73
	v_pk_fma_f32 v[4:5], v[6:7], v[16:17], v[4:5] op_sel_hi:[0,1,1]
	global_load_dwordx2 v[6:7], v[14:15], off offset:256
	v_mov_b32_e32 v19, v73
	v_pk_fma_f32 v[4:5], v[50:51], v[18:19], v[4:5] op_sel_hi:[0,1,1]
	v_mov_b32_e32 v16, v55
	v_pk_fma_f32 v[4:5], v[46:47], v[16:17], v[4:5] op_sel_hi:[0,1,1]
	v_mov_b32_e32 v19, v55
	v_pk_fma_f32 v[4:5], v[46:47], v[18:19], v[4:5] op_sel:[1,0,0]
	v_mov_b32_e32 v16, v67
	v_pk_fma_f32 v[4:5], v[48:49], v[16:17], v[4:5] op_sel_hi:[0,1,1]
	v_mov_b32_e32 v19, v67
	v_pk_fma_f32 v[4:5], v[52:53], v[18:19], v[4:5] op_sel_hi:[0,1,1]
	global_load_dwordx4 v[64:67], v[8:9], off offset:2096
	global_load_dwordx4 v[52:55], v[8:9], off offset:2080
	;; [unrolled: 1-line block ×4, first 2 shown]
	v_mov_b32_e32 v16, v63
	v_mov_b32_e32 v19, v60
	v_pk_fma_f32 v[4:5], v[0:1], v[16:17], v[4:5] op_sel_hi:[0,1,1]
	v_mov_b32_e32 v16, v56
	v_lshl_add_u64 v[14:15], v[14:15], 0, s[16:17]
	s_waitcnt vmcnt(4)
	v_sub_co_u32_e32 v6, vcc, v6, v32
	s_nop 1
	v_subb_co_u32_e32 v7, vcc, v7, v33, vcc
	v_lshlrev_b64 v[6:7], 5, v[6:7]
	v_lshl_add_u64 v[10:11], s[2:3], 0, v[6:7]
	global_load_dwordx4 v[6:9], v[10:11], off offset:16
	global_load_dwordx4 v[46:49], v[10:11], off
	v_pk_fma_f32 v[10:11], v[0:1], v[18:19], v[22:23] op_sel:[1,0,0]
	v_mov_b32_e32 v22, v3
	v_pk_fma_f32 v[10:11], v[2:3], v[16:17], v[10:11] op_sel_hi:[0,1,1]
	v_mov_b32_e32 v19, v56
	v_pk_fma_f32 v[10:11], v[22:23], v[18:19], v[10:11] op_sel_hi:[0,1,1]
	s_waitcnt vmcnt(2)
	v_mov_b32_e32 v16, v72
	v_mov_b32_e32 v19, v72
	v_cmp_ge_i64_e32 vcc, v[34:35], v[36:37]
	s_or_b64 s[10:11], vcc, s[10:11]
	s_waitcnt vmcnt(0)
	v_pk_fma_f32 v[10:11], v[46:47], v[16:17], v[10:11] op_sel_hi:[0,1,1]
	v_pk_fma_f32 v[10:11], v[46:47], v[18:19], v[10:11] op_sel:[1,0,0]
	v_mov_b32_e32 v16, v68
	v_pk_fma_f32 v[10:11], v[48:49], v[16:17], v[10:11] op_sel_hi:[0,1,1]
	v_mov_b32_e32 v50, v49
	v_mov_b32_e32 v19, v68
	v_pk_fma_f32 v[10:11], v[50:51], v[18:19], v[10:11] op_sel_hi:[0,1,1]
	v_mov_b32_e32 v16, v52
	v_pk_fma_f32 v[10:11], v[6:7], v[16:17], v[10:11] op_sel_hi:[0,1,1]
	v_mov_b32_e32 v19, v52
	v_pk_fma_f32 v[10:11], v[6:7], v[18:19], v[10:11] op_sel:[1,0,0]
	v_mov_b32_e32 v16, v64
	v_pk_fma_f32 v[10:11], v[8:9], v[16:17], v[10:11] op_sel_hi:[0,1,1]
	v_mov_b32_e32 v52, v9
	v_mov_b32_e32 v19, v64
	v_pk_fma_f32 v[44:45], v[52:53], v[18:19], v[10:11] op_sel_hi:[0,1,1]
	v_mov_b32_e32 v19, v61
	v_pk_fma_f32 v[10:11], v[0:1], v[18:19], v[12:13] op_sel:[1,0,0]
	v_mov_b32_e32 v16, v57
	v_pk_fma_f32 v[10:11], v[2:3], v[16:17], v[10:11] op_sel_hi:[0,1,1]
	v_mov_b32_e32 v19, v57
	v_pk_fma_f32 v[10:11], v[22:23], v[18:19], v[10:11] op_sel_hi:[0,1,1]
	v_mov_b32_e32 v16, v73
	v_pk_fma_f32 v[10:11], v[46:47], v[16:17], v[10:11] op_sel_hi:[0,1,1]
	v_mov_b32_e32 v19, v73
	v_pk_fma_f32 v[10:11], v[46:47], v[18:19], v[10:11] op_sel:[1,0,0]
	v_mov_b32_e32 v16, v69
	v_pk_fma_f32 v[10:11], v[48:49], v[16:17], v[10:11] op_sel_hi:[0,1,1]
	v_mov_b32_e32 v19, v69
	v_pk_fma_f32 v[10:11], v[50:51], v[18:19], v[10:11] op_sel_hi:[0,1,1]
	v_mov_b32_e32 v16, v53
	v_pk_fma_f32 v[10:11], v[6:7], v[16:17], v[10:11] op_sel_hi:[0,1,1]
	v_mov_b32_e32 v19, v53
	v_pk_fma_f32 v[10:11], v[6:7], v[18:19], v[10:11] op_sel:[1,0,0]
	v_mov_b32_e32 v16, v65
	v_pk_fma_f32 v[10:11], v[8:9], v[16:17], v[10:11] op_sel_hi:[0,1,1]
	v_mov_b32_e32 v19, v65
	v_pk_fma_f32 v[40:41], v[52:53], v[18:19], v[10:11] op_sel_hi:[0,1,1]
	v_mov_b32_e32 v19, v62
	v_pk_fma_f32 v[10:11], v[0:1], v[18:19], v[20:21] op_sel:[1,0,0]
	v_mov_b32_e32 v16, v58
	v_pk_fma_f32 v[10:11], v[2:3], v[16:17], v[10:11] op_sel_hi:[0,1,1]
	v_mov_b32_e32 v19, v58
	v_pk_fma_f32 v[10:11], v[22:23], v[18:19], v[10:11] op_sel_hi:[0,1,1]
	v_mov_b32_e32 v16, v74
	v_pk_fma_f32 v[10:11], v[46:47], v[16:17], v[10:11] op_sel_hi:[0,1,1]
	v_mov_b32_e32 v19, v74
	v_pk_fma_f32 v[10:11], v[46:47], v[18:19], v[10:11] op_sel:[1,0,0]
	v_mov_b32_e32 v16, v70
	v_pk_fma_f32 v[10:11], v[48:49], v[16:17], v[10:11] op_sel_hi:[0,1,1]
	v_mov_b32_e32 v19, v70
	v_pk_fma_f32 v[10:11], v[50:51], v[18:19], v[10:11] op_sel_hi:[0,1,1]
	v_mov_b32_e32 v16, v54
	v_pk_fma_f32 v[10:11], v[6:7], v[16:17], v[10:11] op_sel_hi:[0,1,1]
	v_mov_b32_e32 v19, v54
	v_pk_fma_f32 v[10:11], v[6:7], v[18:19], v[10:11] op_sel:[1,0,0]
	v_mov_b32_e32 v16, v66
	v_pk_fma_f32 v[10:11], v[8:9], v[16:17], v[10:11] op_sel_hi:[0,1,1]
	;; [unrolled: 22-line block ×3, first 2 shown]
	v_mov_b32_e32 v19, v67
	v_pk_fma_f32 v[12:13], v[52:53], v[18:19], v[0:1] op_sel_hi:[0,1,1]
	s_andn2_b64 exec, exec, s[10:11]
	s_cbranch_execnz .LBB133_31
; %bb.32:
	s_or_b64 exec, exec, s[10:11]
.LBB133_33:
	s_or_b64 exec, exec, s[4:5]
	v_mov_b32_e32 v31, v45
.LBB133_34:
	s_or_b64 exec, exec, s[8:9]
.LBB133_35:
	v_mov_b32_dpp v6, v41 row_shr:1 row_mask:0xf bank_mask:0xf
	v_add_f32_e32 v6, v41, v6
	v_mov_b32_dpp v0, v44 row_shr:1 row_mask:0xf bank_mask:0xf
	v_mov_b32_dpp v2, v31 row_shr:1 row_mask:0xf bank_mask:0xf
	v_mov_b32_dpp v7, v6 row_shr:2 row_mask:0xf bank_mask:0xf
	v_add_f32_e32 v6, v6, v7
	v_mov_b32_dpp v4, v40 row_shr:1 row_mask:0xf bank_mask:0xf
	v_add_f32_e32 v0, v44, v0
	v_mov_b32_dpp v7, v6 row_shr:4 row_mask:0xf bank_mask:0xe
	v_add_f32_e32 v6, v6, v7
	v_add_f32_e32 v2, v31, v2
	v_add_f32_e32 v4, v40, v4
	v_mov_b32_dpp v7, v6 row_shr:8 row_mask:0xf bank_mask:0xc
	v_add_f32_e32 v7, v6, v7
	v_mov_b32_dpp v6, v42 row_shr:1 row_mask:0xf bank_mask:0xf
	v_add_f32_e32 v6, v42, v6
	v_mov_b32_dpp v1, v0 row_shr:2 row_mask:0xf bank_mask:0xf
	v_mov_b32_dpp v3, v2 row_shr:2 row_mask:0xf bank_mask:0xf
	v_mov_b32_dpp v9, v6 row_shr:2 row_mask:0xf bank_mask:0xf
	v_add_f32_e32 v6, v6, v9
	v_mov_b32_dpp v5, v4 row_shr:2 row_mask:0xf bank_mask:0xf
	v_add_f32_e32 v0, v0, v1
	v_mov_b32_dpp v9, v6 row_shr:4 row_mask:0xf bank_mask:0xe
	v_add_f32_e32 v6, v6, v9
	v_add_f32_e32 v2, v2, v3
	v_add_f32_e32 v4, v4, v5
	v_mov_b32_dpp v9, v6 row_shr:8 row_mask:0xf bank_mask:0xc
	v_add_f32_e32 v9, v6, v9
	;; [unrolled: 14-line block ×4, first 2 shown]
	v_mov_b32_dpp v6, v13 row_shr:1 row_mask:0xf bank_mask:0xf
	v_add_f32_e32 v6, v13, v6
	v_mov_b32_dpp v1, v0 row_bcast:15 row_mask:0xa bank_mask:0xf
	v_mov_b32_dpp v3, v2 row_bcast:15 row_mask:0xa bank_mask:0xf
	v_mov_b32_dpp v12, v6 row_shr:2 row_mask:0xf bank_mask:0xf
	v_add_f32_e32 v6, v6, v12
	v_mov_b32_dpp v5, v4 row_bcast:15 row_mask:0xa bank_mask:0xf
	v_mov_b32_dpp v8, v7 row_bcast:15 row_mask:0xa bank_mask:0xf
	;; [unrolled: 4-line block ×3, first 2 shown]
	v_mov_b32_dpp v12, v6 row_shr:8 row_mask:0xf bank_mask:0xc
	v_add_f32_e32 v13, v6, v12
	v_mov_b32_dpp v17, v16 row_bcast:15 row_mask:0xa bank_mask:0xf
	v_cmp_eq_u32_e32 vcc, 31, v30
	v_mov_b32_dpp v18, v13 row_bcast:15 row_mask:0xa bank_mask:0xf
	s_and_b64 exec, exec, vcc
	s_cbranch_execz .LBB133_6
; %bb.36:
	s_load_dwordx2 s[0:1], s[0:1], 0x58
	v_cmp_eq_f32_e32 vcc, 0, v26
	s_xor_b64 s[2:3], s[6:7], -1
	v_add_f32_e32 v6, v0, v1
	v_add_f32_e32 v14, v2, v3
	;; [unrolled: 1-line block ×8, first 2 shown]
	s_and_b64 s[2:3], vcc, s[2:3]
	v_lshlrev_b64 v[16:17], 5, v[28:29]
	s_and_saveexec_b64 s[4:5], s[2:3]
	s_xor_b64 s[2:3], exec, s[4:5]
	s_cbranch_execz .LBB133_38
; %bb.37:
	v_xor_b32_e32 v18, 0x80000000, v25
	v_mov_b32_e32 v19, v24
	v_pk_mul_f32 v[14:15], v[14:15], v[18:19] op_sel_hi:[0,1]
	v_pk_fma_f32 v[14:15], v[24:25], v[6:7], v[14:15] op_sel_hi:[1,0,1]
	v_pk_mul_f32 v[6:7], v[12:13], v[18:19] op_sel_hi:[0,1]
	s_waitcnt lgkmcnt(0)
	v_lshl_add_u64 v[20:21], s[0:1], 0, v[16:17]
	v_pk_fma_f32 v[16:17], v[24:25], v[4:5], v[6:7] op_sel_hi:[1,0,1]
	v_pk_mul_f32 v[4:5], v[10:11], v[18:19] op_sel_hi:[0,1]
	v_pk_fma_f32 v[2:3], v[24:25], v[2:3], v[4:5] op_sel_hi:[1,0,1]
	v_pk_mul_f32 v[4:5], v[8:9], v[18:19] op_sel_hi:[0,1]
	v_pk_fma_f32 v[4:5], v[24:25], v[0:1], v[4:5] op_sel_hi:[1,0,1]
	global_store_dwordx4 v[20:21], v[14:17], off
	global_store_dwordx4 v[20:21], v[2:5], off offset:16
                                        ; implicit-def: $vgpr6
                                        ; implicit-def: $vgpr14
                                        ; implicit-def: $vgpr4
                                        ; implicit-def: $vgpr12
                                        ; implicit-def: $vgpr2
                                        ; implicit-def: $vgpr10
                                        ; implicit-def: $vgpr0
                                        ; implicit-def: $vgpr8
                                        ; implicit-def: $vgpr24_vgpr25
                                        ; implicit-def: $vgpr26_vgpr27
                                        ; implicit-def: $vgpr16_vgpr17
.LBB133_38:
	s_andn2_saveexec_b64 s[2:3], s[2:3]
	s_cbranch_execz .LBB133_6
; %bb.39:
	s_waitcnt lgkmcnt(0)
	v_lshl_add_u64 v[28:29], s[0:1], 0, v[16:17]
	global_load_dwordx4 v[16:19], v[28:29], off
	global_load_dwordx4 v[20:23], v[28:29], off offset:16
	v_xor_b32_e32 v30, 0x80000000, v25
	v_mov_b32_e32 v31, v24
	v_pk_mul_f32 v[14:15], v[14:15], v[30:31] op_sel_hi:[0,1]
	v_pk_mul_f32 v[12:13], v[12:13], v[30:31] op_sel_hi:[0,1]
	;; [unrolled: 1-line block ×4, first 2 shown]
	v_pk_fma_f32 v[6:7], v[24:25], v[6:7], v[14:15] op_sel_hi:[1,0,1]
	v_pk_fma_f32 v[4:5], v[24:25], v[4:5], v[12:13] op_sel_hi:[1,0,1]
	v_xor_b32_e32 v32, 0x80000000, v27
	v_mov_b32_e32 v33, v26
	v_pk_fma_f32 v[2:3], v[24:25], v[2:3], v[10:11] op_sel_hi:[1,0,1]
	v_pk_fma_f32 v[0:1], v[24:25], v[0:1], v[8:9] op_sel_hi:[1,0,1]
	s_waitcnt vmcnt(1)
	v_pk_fma_f32 v[6:7], v[26:27], v[16:17], v[6:7] op_sel_hi:[1,0,1]
	v_pk_fma_f32 v[4:5], v[26:27], v[18:19], v[4:5] op_sel_hi:[1,0,1]
	v_mov_b32_e32 v8, v19
	s_waitcnt vmcnt(0)
	v_pk_fma_f32 v[10:11], v[26:27], v[20:21], v[2:3] op_sel_hi:[1,0,1]
	v_pk_fma_f32 v[12:13], v[26:27], v[22:23], v[0:1] op_sel_hi:[1,0,1]
	v_mov_b32_e32 v14, v23
	v_pk_fma_f32 v[0:1], v[32:33], v[16:17], v[6:7] op_sel:[0,1,0]
	v_pk_fma_f32 v[2:3], v[32:33], v[8:9], v[4:5] op_sel_hi:[1,0,1]
	v_pk_fma_f32 v[4:5], v[32:33], v[20:21], v[10:11] op_sel:[0,1,0]
	v_pk_fma_f32 v[6:7], v[32:33], v[14:15], v[12:13] op_sel_hi:[1,0,1]
	global_store_dwordx4 v[28:29], v[0:3], off
	global_store_dwordx4 v[28:29], v[4:7], off offset:16
	s_endpgm
	.section	.rodata,"a",@progbits
	.p2align	6, 0x0
	.amdhsa_kernel _ZN9rocsparseL18bsrxmvn_4x4_kernelILj128ELj32E21rocsparse_complex_numIfEllfS2_S2_EEvT3_20rocsparse_direction_NS_24const_host_device_scalarIT1_EES3_PKS3_PKT2_SC_S9_PKT4_PKT5_S7_PT6_21rocsparse_index_base_b
		.amdhsa_group_segment_fixed_size 0
		.amdhsa_private_segment_fixed_size 0
		.amdhsa_kernarg_size 104
		.amdhsa_user_sgpr_count 2
		.amdhsa_user_sgpr_dispatch_ptr 0
		.amdhsa_user_sgpr_queue_ptr 0
		.amdhsa_user_sgpr_kernarg_segment_ptr 1
		.amdhsa_user_sgpr_dispatch_id 0
		.amdhsa_user_sgpr_kernarg_preload_length 0
		.amdhsa_user_sgpr_kernarg_preload_offset 0
		.amdhsa_user_sgpr_private_segment_size 0
		.amdhsa_uses_dynamic_stack 0
		.amdhsa_enable_private_segment 0
		.amdhsa_system_sgpr_workgroup_id_x 1
		.amdhsa_system_sgpr_workgroup_id_y 0
		.amdhsa_system_sgpr_workgroup_id_z 0
		.amdhsa_system_sgpr_workgroup_info 0
		.amdhsa_system_vgpr_workitem_id 0
		.amdhsa_next_free_vgpr 104
		.amdhsa_next_free_sgpr 22
		.amdhsa_accum_offset 104
		.amdhsa_reserve_vcc 1
		.amdhsa_float_round_mode_32 0
		.amdhsa_float_round_mode_16_64 0
		.amdhsa_float_denorm_mode_32 3
		.amdhsa_float_denorm_mode_16_64 3
		.amdhsa_dx10_clamp 1
		.amdhsa_ieee_mode 1
		.amdhsa_fp16_overflow 0
		.amdhsa_tg_split 0
		.amdhsa_exception_fp_ieee_invalid_op 0
		.amdhsa_exception_fp_denorm_src 0
		.amdhsa_exception_fp_ieee_div_zero 0
		.amdhsa_exception_fp_ieee_overflow 0
		.amdhsa_exception_fp_ieee_underflow 0
		.amdhsa_exception_fp_ieee_inexact 0
		.amdhsa_exception_int_div_zero 0
	.end_amdhsa_kernel
	.section	.text._ZN9rocsparseL18bsrxmvn_4x4_kernelILj128ELj32E21rocsparse_complex_numIfEllfS2_S2_EEvT3_20rocsparse_direction_NS_24const_host_device_scalarIT1_EES3_PKS3_PKT2_SC_S9_PKT4_PKT5_S7_PT6_21rocsparse_index_base_b,"axG",@progbits,_ZN9rocsparseL18bsrxmvn_4x4_kernelILj128ELj32E21rocsparse_complex_numIfEllfS2_S2_EEvT3_20rocsparse_direction_NS_24const_host_device_scalarIT1_EES3_PKS3_PKT2_SC_S9_PKT4_PKT5_S7_PT6_21rocsparse_index_base_b,comdat
.Lfunc_end133:
	.size	_ZN9rocsparseL18bsrxmvn_4x4_kernelILj128ELj32E21rocsparse_complex_numIfEllfS2_S2_EEvT3_20rocsparse_direction_NS_24const_host_device_scalarIT1_EES3_PKS3_PKT2_SC_S9_PKT4_PKT5_S7_PT6_21rocsparse_index_base_b, .Lfunc_end133-_ZN9rocsparseL18bsrxmvn_4x4_kernelILj128ELj32E21rocsparse_complex_numIfEllfS2_S2_EEvT3_20rocsparse_direction_NS_24const_host_device_scalarIT1_EES3_PKS3_PKT2_SC_S9_PKT4_PKT5_S7_PT6_21rocsparse_index_base_b
                                        ; -- End function
	.set _ZN9rocsparseL18bsrxmvn_4x4_kernelILj128ELj32E21rocsparse_complex_numIfEllfS2_S2_EEvT3_20rocsparse_direction_NS_24const_host_device_scalarIT1_EES3_PKS3_PKT2_SC_S9_PKT4_PKT5_S7_PT6_21rocsparse_index_base_b.num_vgpr, 104
	.set _ZN9rocsparseL18bsrxmvn_4x4_kernelILj128ELj32E21rocsparse_complex_numIfEllfS2_S2_EEvT3_20rocsparse_direction_NS_24const_host_device_scalarIT1_EES3_PKS3_PKT2_SC_S9_PKT4_PKT5_S7_PT6_21rocsparse_index_base_b.num_agpr, 0
	.set _ZN9rocsparseL18bsrxmvn_4x4_kernelILj128ELj32E21rocsparse_complex_numIfEllfS2_S2_EEvT3_20rocsparse_direction_NS_24const_host_device_scalarIT1_EES3_PKS3_PKT2_SC_S9_PKT4_PKT5_S7_PT6_21rocsparse_index_base_b.numbered_sgpr, 22
	.set _ZN9rocsparseL18bsrxmvn_4x4_kernelILj128ELj32E21rocsparse_complex_numIfEllfS2_S2_EEvT3_20rocsparse_direction_NS_24const_host_device_scalarIT1_EES3_PKS3_PKT2_SC_S9_PKT4_PKT5_S7_PT6_21rocsparse_index_base_b.num_named_barrier, 0
	.set _ZN9rocsparseL18bsrxmvn_4x4_kernelILj128ELj32E21rocsparse_complex_numIfEllfS2_S2_EEvT3_20rocsparse_direction_NS_24const_host_device_scalarIT1_EES3_PKS3_PKT2_SC_S9_PKT4_PKT5_S7_PT6_21rocsparse_index_base_b.private_seg_size, 0
	.set _ZN9rocsparseL18bsrxmvn_4x4_kernelILj128ELj32E21rocsparse_complex_numIfEllfS2_S2_EEvT3_20rocsparse_direction_NS_24const_host_device_scalarIT1_EES3_PKS3_PKT2_SC_S9_PKT4_PKT5_S7_PT6_21rocsparse_index_base_b.uses_vcc, 1
	.set _ZN9rocsparseL18bsrxmvn_4x4_kernelILj128ELj32E21rocsparse_complex_numIfEllfS2_S2_EEvT3_20rocsparse_direction_NS_24const_host_device_scalarIT1_EES3_PKS3_PKT2_SC_S9_PKT4_PKT5_S7_PT6_21rocsparse_index_base_b.uses_flat_scratch, 0
	.set _ZN9rocsparseL18bsrxmvn_4x4_kernelILj128ELj32E21rocsparse_complex_numIfEllfS2_S2_EEvT3_20rocsparse_direction_NS_24const_host_device_scalarIT1_EES3_PKS3_PKT2_SC_S9_PKT4_PKT5_S7_PT6_21rocsparse_index_base_b.has_dyn_sized_stack, 0
	.set _ZN9rocsparseL18bsrxmvn_4x4_kernelILj128ELj32E21rocsparse_complex_numIfEllfS2_S2_EEvT3_20rocsparse_direction_NS_24const_host_device_scalarIT1_EES3_PKS3_PKT2_SC_S9_PKT4_PKT5_S7_PT6_21rocsparse_index_base_b.has_recursion, 0
	.set _ZN9rocsparseL18bsrxmvn_4x4_kernelILj128ELj32E21rocsparse_complex_numIfEllfS2_S2_EEvT3_20rocsparse_direction_NS_24const_host_device_scalarIT1_EES3_PKS3_PKT2_SC_S9_PKT4_PKT5_S7_PT6_21rocsparse_index_base_b.has_indirect_call, 0
	.section	.AMDGPU.csdata,"",@progbits
; Kernel info:
; codeLenInByte = 7244
; TotalNumSgprs: 28
; NumVgprs: 104
; NumAgprs: 0
; TotalNumVgprs: 104
; ScratchSize: 0
; MemoryBound: 0
; FloatMode: 240
; IeeeMode: 1
; LDSByteSize: 0 bytes/workgroup (compile time only)
; SGPRBlocks: 3
; VGPRBlocks: 12
; NumSGPRsForWavesPerEU: 28
; NumVGPRsForWavesPerEU: 104
; AccumOffset: 104
; Occupancy: 4
; WaveLimiterHint : 1
; COMPUTE_PGM_RSRC2:SCRATCH_EN: 0
; COMPUTE_PGM_RSRC2:USER_SGPR: 2
; COMPUTE_PGM_RSRC2:TRAP_HANDLER: 0
; COMPUTE_PGM_RSRC2:TGID_X_EN: 1
; COMPUTE_PGM_RSRC2:TGID_Y_EN: 0
; COMPUTE_PGM_RSRC2:TGID_Z_EN: 0
; COMPUTE_PGM_RSRC2:TIDIG_COMP_CNT: 0
; COMPUTE_PGM_RSRC3_GFX90A:ACCUM_OFFSET: 25
; COMPUTE_PGM_RSRC3_GFX90A:TG_SPLIT: 0
	.section	.text._ZN9rocsparseL18bsrxmvn_4x4_kernelILj128ELj64E21rocsparse_complex_numIfEllfS2_S2_EEvT3_20rocsparse_direction_NS_24const_host_device_scalarIT1_EES3_PKS3_PKT2_SC_S9_PKT4_PKT5_S7_PT6_21rocsparse_index_base_b,"axG",@progbits,_ZN9rocsparseL18bsrxmvn_4x4_kernelILj128ELj64E21rocsparse_complex_numIfEllfS2_S2_EEvT3_20rocsparse_direction_NS_24const_host_device_scalarIT1_EES3_PKS3_PKT2_SC_S9_PKT4_PKT5_S7_PT6_21rocsparse_index_base_b,comdat
	.globl	_ZN9rocsparseL18bsrxmvn_4x4_kernelILj128ELj64E21rocsparse_complex_numIfEllfS2_S2_EEvT3_20rocsparse_direction_NS_24const_host_device_scalarIT1_EES3_PKS3_PKT2_SC_S9_PKT4_PKT5_S7_PT6_21rocsparse_index_base_b ; -- Begin function _ZN9rocsparseL18bsrxmvn_4x4_kernelILj128ELj64E21rocsparse_complex_numIfEllfS2_S2_EEvT3_20rocsparse_direction_NS_24const_host_device_scalarIT1_EES3_PKS3_PKT2_SC_S9_PKT4_PKT5_S7_PT6_21rocsparse_index_base_b
	.p2align	8
	.type	_ZN9rocsparseL18bsrxmvn_4x4_kernelILj128ELj64E21rocsparse_complex_numIfEllfS2_S2_EEvT3_20rocsparse_direction_NS_24const_host_device_scalarIT1_EES3_PKS3_PKT2_SC_S9_PKT4_PKT5_S7_PT6_21rocsparse_index_base_b,@function
_ZN9rocsparseL18bsrxmvn_4x4_kernelILj128ELj64E21rocsparse_complex_numIfEllfS2_S2_EEvT3_20rocsparse_direction_NS_24const_host_device_scalarIT1_EES3_PKS3_PKT2_SC_S9_PKT4_PKT5_S7_PT6_21rocsparse_index_base_b: ; @_ZN9rocsparseL18bsrxmvn_4x4_kernelILj128ELj64E21rocsparse_complex_numIfEllfS2_S2_EEvT3_20rocsparse_direction_NS_24const_host_device_scalarIT1_EES3_PKS3_PKT2_SC_S9_PKT4_PKT5_S7_PT6_21rocsparse_index_base_b
; %bb.0:
	s_load_dwordx4 s[8:11], s[0:1], 0x10
	s_load_dwordx2 s[12:13], s[0:1], 0x60
	s_add_u32 s3, s0, 16
	s_addc_u32 s6, s1, 0
	s_load_dwordx2 s[4:5], s[0:1], 0x50
	s_add_u32 s7, s0, 0x50
	s_addc_u32 s14, s1, 0
	s_waitcnt lgkmcnt(0)
	s_bitcmp1_b32 s13, 0
	s_cselect_b32 s3, s3, s8
	s_cselect_b32 s6, s6, s9
	v_mov_b32_e32 v2, s3
	s_cselect_b32 s3, s14, s5
	s_cselect_b32 s4, s7, s4
	v_mov_b32_e32 v3, s6
	v_mov_b32_e32 v4, s4
	;; [unrolled: 1-line block ×3, first 2 shown]
	flat_load_dwordx2 v[24:25], v[2:3]
	flat_load_dwordx2 v[26:27], v[4:5]
	s_waitcnt vmcnt(0) lgkmcnt(0)
	v_cmp_neq_f32_e32 vcc, 0, v24
	v_cmp_neq_f32_e64 s[4:5], 0, v25
	v_cmp_neq_f32_e64 s[8:9], 1.0, v26
	v_cmp_neq_f32_e64 s[6:7], 0, v27
	s_or_b64 s[4:5], vcc, s[4:5]
	s_or_b64 s[8:9], s[8:9], s[6:7]
	s_or_b64 s[4:5], s[4:5], s[8:9]
	s_and_saveexec_b64 s[8:9], s[4:5]
	s_cbranch_execz .LBB134_6
; %bb.1:
	s_load_dwordx2 s[4:5], s[0:1], 0x20
	v_lshrrev_b32_e32 v1, 6, v0
	v_lshl_or_b32 v2, s2, 1, v1
	v_mov_b32_e32 v3, 0
	s_mov_b64 s[2:3], 0
	s_waitcnt lgkmcnt(0)
	s_cmp_lg_u64 s[4:5], 0
	s_cbranch_scc0 .LBB134_7
; %bb.2:
	v_cmp_gt_i64_e32 vcc, s[10:11], v[2:3]
                                        ; implicit-def: $vgpr28_vgpr29
                                        ; implicit-def: $vgpr32_vgpr33
	s_and_saveexec_b64 s[8:9], vcc
	s_xor_b64 s[8:9], exec, s[8:9]
	s_cbranch_execz .LBB134_4
; %bb.3:
	v_lshl_add_u64 v[4:5], v[2:3], 3, s[4:5]
	global_load_dwordx2 v[4:5], v[4:5], off
	s_mov_b32 s13, 0
	s_mov_b64 s[2:3], exec
	v_mov_b64_e32 v[32:33], s[12:13]
	s_waitcnt vmcnt(0)
	v_subrev_co_u32_e32 v28, vcc, s12, v4
	s_nop 1
	v_subbrev_co_u32_e32 v29, vcc, 0, v5, vcc
.LBB134_4:
	s_or_b64 exec, exec, s[8:9]
.LBB134_5:
	s_and_b64 exec, exec, s[2:3]
	s_cbranch_execnz .LBB134_11
.LBB134_6:
	s_endpgm
.LBB134_7:
                                        ; implicit-def: $vgpr28_vgpr29
                                        ; implicit-def: $vgpr32_vgpr33
	s_cbranch_execz .LBB134_5
; %bb.8:
	s_load_dwordx2 s[4:5], s[0:1], 0x0
	s_waitcnt lgkmcnt(0)
	v_cmp_gt_i64_e32 vcc, s[4:5], v[2:3]
	s_and_saveexec_b64 s[4:5], vcc
; %bb.9:
	s_mov_b32 s13, 0
	s_or_b64 s[2:3], s[2:3], exec
; %bb.10:
	s_or_b64 exec, exec, s[4:5]
	v_mov_b64_e32 v[32:33], s[12:13]
	v_mov_b64_e32 v[28:29], v[2:3]
	s_and_b64 exec, exec, s[2:3]
	s_cbranch_execz .LBB134_6
.LBB134_11:
	s_load_dwordx8 s[8:15], s[0:1], 0x28
	v_lshlrev_b64 v[2:3], 3, v[28:29]
	v_and_b32_e32 v30, 63, v0
	v_mov_b32_e32 v31, 0
	s_waitcnt lgkmcnt(0)
	v_lshl_add_u64 v[4:5], s[8:9], 0, v[2:3]
	s_cmp_eq_u64 s[10:11], 0
	v_lshl_add_u64 v[2:3], s[10:11], 0, v[2:3]
	global_load_dwordx2 v[46:47], v[4:5], off
	v_lshl_add_u64 v[4:5], v[4:5], 0, 8
	s_cselect_b64 vcc, -1, 0
	v_cndmask_b32_e32 v3, v3, v5, vcc
	v_cndmask_b32_e32 v2, v2, v4, vcc
	global_load_dwordx2 v[2:3], v[2:3], off
	s_load_dword s4, s[0:1], 0x8
	s_load_dwordx2 s[2:3], s[0:1], 0x48
	s_waitcnt lgkmcnt(0)
	s_cmp_eq_u32 s4, 1
	s_waitcnt vmcnt(1)
	v_sub_co_u32_e32 v0, vcc, v46, v32
	s_nop 1
	v_subb_co_u32_e32 v1, vcc, v47, v33, vcc
	v_lshl_add_u64 v[34:35], v[0:1], 0, v[30:31]
	s_waitcnt vmcnt(0)
	v_sub_co_u32_e32 v36, vcc, v2, v32
	v_lshlrev_b64 v[0:1], 6, v[34:35]
	s_nop 0
	v_subb_co_u32_e32 v37, vcc, v3, v33, vcc
	v_lshl_add_u64 v[38:39], s[14:15], 0, v[0:1]
	v_cmp_lt_i64_e64 s[4:5], v[34:35], v[36:37]
	s_cbranch_scc1 .LBB134_23
; %bb.12:
	v_mov_b32_e32 v44, v31
	v_mov_b32_e32 v41, v31
	;; [unrolled: 1-line block ×7, first 2 shown]
	s_and_saveexec_b64 s[8:9], s[4:5]
	s_cbranch_execz .LBB134_22
; %bb.13:
	v_or_b32_e32 v0, 64, v30
	v_sub_co_u32_e32 v0, vcc, v0, v32
	v_not_b32_e32 v3, v47
	s_nop 0
	v_subb_co_u32_e32 v1, vcc, 0, v33, vcc
	v_lshl_add_u64 v[0:1], v[0:1], 0, v[46:47]
	v_cmp_gt_i64_e32 vcc, v[0:1], v[36:37]
	v_not_b32_e32 v2, v46
	v_mov_b32_e32 v13, 0
	v_cndmask_b32_e32 v1, v37, v1, vcc
	v_cndmask_b32_e32 v0, v36, v0, vcc
	v_sub_co_u32_e32 v4, vcc, v32, v30
	s_mov_b64 s[10:11], 0xc0
	s_nop 0
	v_subbrev_co_u32_e32 v5, vcc, 0, v33, vcc
	v_lshl_add_u64 v[2:3], v[4:5], 0, v[2:3]
	v_lshl_add_u64 v[0:1], v[2:3], 0, v[0:1]
	v_and_b32_e32 v12, 0xc0, v0
	v_cmp_ne_u64_e32 vcc, s[10:11], v[12:13]
	v_mov_b32_e32 v12, v13
	v_mov_b32_e32 v42, v13
	;; [unrolled: 1-line block ×7, first 2 shown]
	v_mov_b64_e32 v[48:49], v[38:39]
	v_mov_b64_e32 v[50:51], v[34:35]
	s_and_saveexec_b64 s[10:11], vcc
	s_cbranch_execz .LBB134_17
; %bb.14:
	v_lshrrev_b32_e32 v2, 6, v0
	v_add_u32_e32 v2, 1, v2
	v_and_b32_e32 v2, 3, v2
	v_sub_co_u32_e32 v6, vcc, 0, v2
	v_mov_b32_e32 v3, 0
	s_nop 0
	v_subb_co_u32_e64 v7, s[16:17], 0, 0, vcc
	v_lshl_add_u64 v[4:5], v[34:35], 3, s[12:13]
	s_mov_b64 s[14:15], 0
	s_mov_b64 s[16:17], 0x1000
	s_mov_b64 s[18:19], 0x200
	v_bfrev_b32_e32 v8, 1
	v_mov_b64_e32 v[50:51], v[34:35]
	v_mov_b64_e32 v[48:49], v[38:39]
	v_mov_b32_e32 v12, v3
	v_mov_b32_e32 v13, v3
	;; [unrolled: 1-line block ×8, first 2 shown]
.LBB134_15:                             ; =>This Inner Loop Header: Depth=1
	global_load_dwordx2 v[10:11], v[4:5], off
	global_load_dwordx4 v[54:57], v[48:49], off offset:16
	global_load_dwordx4 v[58:61], v[48:49], off
	v_lshl_add_u64 v[6:7], v[6:7], 0, 1
	v_lshl_add_u64 v[50:51], v[50:51], 0, 64
	;; [unrolled: 1-line block ×3, first 2 shown]
	s_waitcnt vmcnt(2)
	v_sub_co_u32_e32 v10, vcc, v10, v32
	s_nop 1
	v_subb_co_u32_e32 v11, vcc, v11, v33, vcc
	v_lshlrev_b64 v[10:11], 5, v[10:11]
	v_lshl_add_u64 v[10:11], s[2:3], 0, v[10:11]
	global_load_dwordx4 v[14:17], v[10:11], off
	global_load_dwordx4 v[18:21], v[10:11], off offset:16
	global_load_dwordx4 v[62:65], v[48:49], off offset:32
	;; [unrolled: 1-line block ×3, first 2 shown]
	s_waitcnt vmcnt(4)
	v_mov_b32_e32 v2, v58
	v_mov_b32_e32 v9, v58
	v_cmp_eq_u64_e32 vcc, 0, v[6:7]
	v_lshl_add_u64 v[48:49], v[48:49], 0, s[16:17]
	s_or_b64 s[14:15], vcc, s[14:15]
	s_waitcnt vmcnt(3)
	v_pk_fma_f32 v[10:11], v[14:15], v[2:3], v[44:45] op_sel_hi:[0,1,1]
	v_mov_b32_e32 v2, v59
	v_pk_fma_f32 v[10:11], v[14:15], v[8:9], v[10:11] op_sel:[1,0,0]
	v_mov_b32_e32 v22, v17
	v_mov_b32_e32 v9, v59
	v_pk_fma_f32 v[10:11], v[16:17], v[2:3], v[10:11] op_sel_hi:[0,1,1]
	v_mov_b32_e32 v2, v60
	v_pk_fma_f32 v[10:11], v[22:23], v[8:9], v[10:11] op_sel_hi:[0,1,1]
	v_mov_b32_e32 v9, v60
	s_waitcnt vmcnt(2)
	v_pk_fma_f32 v[10:11], v[18:19], v[2:3], v[10:11] op_sel_hi:[0,1,1]
	v_mov_b32_e32 v2, v61
	v_pk_fma_f32 v[10:11], v[18:19], v[8:9], v[10:11] op_sel:[1,0,0]
	v_mov_b32_e32 v52, v21
	v_mov_b32_e32 v9, v61
	v_pk_fma_f32 v[10:11], v[20:21], v[2:3], v[10:11] op_sel_hi:[0,1,1]
	v_mov_b32_e32 v2, v54
	v_pk_fma_f32 v[44:45], v[52:53], v[8:9], v[10:11] op_sel_hi:[0,1,1]
	v_pk_fma_f32 v[10:11], v[14:15], v[2:3], v[40:41] op_sel_hi:[0,1,1]
	v_mov_b32_e32 v9, v54
	v_mov_b32_e32 v2, v55
	v_pk_fma_f32 v[10:11], v[14:15], v[8:9], v[10:11] op_sel:[1,0,0]
	v_mov_b32_e32 v9, v55
	v_pk_fma_f32 v[10:11], v[16:17], v[2:3], v[10:11] op_sel_hi:[0,1,1]
	v_mov_b32_e32 v2, v56
	v_pk_fma_f32 v[10:11], v[22:23], v[8:9], v[10:11] op_sel_hi:[0,1,1]
	;; [unrolled: 2-line block ×3, first 2 shown]
	v_mov_b32_e32 v2, v57
	v_pk_fma_f32 v[10:11], v[18:19], v[8:9], v[10:11] op_sel:[1,0,0]
	v_mov_b32_e32 v9, v57
	v_pk_fma_f32 v[10:11], v[20:21], v[2:3], v[10:11] op_sel_hi:[0,1,1]
	s_waitcnt vmcnt(1)
	v_mov_b32_e32 v2, v62
	v_pk_fma_f32 v[40:41], v[52:53], v[8:9], v[10:11] op_sel_hi:[0,1,1]
	v_pk_fma_f32 v[10:11], v[14:15], v[2:3], v[42:43] op_sel_hi:[0,1,1]
	v_mov_b32_e32 v9, v62
	v_mov_b32_e32 v2, v63
	v_pk_fma_f32 v[10:11], v[14:15], v[8:9], v[10:11] op_sel:[1,0,0]
	v_mov_b32_e32 v9, v63
	v_pk_fma_f32 v[10:11], v[16:17], v[2:3], v[10:11] op_sel_hi:[0,1,1]
	v_mov_b32_e32 v2, v64
	v_pk_fma_f32 v[10:11], v[22:23], v[8:9], v[10:11] op_sel_hi:[0,1,1]
	;; [unrolled: 2-line block ×3, first 2 shown]
	v_mov_b32_e32 v2, v65
	v_pk_fma_f32 v[10:11], v[18:19], v[8:9], v[10:11] op_sel:[1,0,0]
	v_mov_b32_e32 v9, v65
	v_pk_fma_f32 v[10:11], v[20:21], v[2:3], v[10:11] op_sel_hi:[0,1,1]
	s_waitcnt vmcnt(0)
	v_mov_b32_e32 v2, v66
	v_pk_fma_f32 v[42:43], v[52:53], v[8:9], v[10:11] op_sel_hi:[0,1,1]
	v_pk_fma_f32 v[10:11], v[14:15], v[2:3], v[12:13] op_sel_hi:[0,1,1]
	v_mov_b32_e32 v9, v66
	v_mov_b32_e32 v2, v67
	v_pk_fma_f32 v[10:11], v[14:15], v[8:9], v[10:11] op_sel:[1,0,0]
	v_mov_b32_e32 v9, v67
	v_pk_fma_f32 v[10:11], v[16:17], v[2:3], v[10:11] op_sel_hi:[0,1,1]
	v_mov_b32_e32 v2, v68
	v_pk_fma_f32 v[10:11], v[22:23], v[8:9], v[10:11] op_sel_hi:[0,1,1]
	;; [unrolled: 2-line block ×3, first 2 shown]
	v_mov_b32_e32 v2, v69
	v_pk_fma_f32 v[10:11], v[18:19], v[8:9], v[10:11] op_sel:[1,0,0]
	v_mov_b32_e32 v9, v69
	v_pk_fma_f32 v[10:11], v[20:21], v[2:3], v[10:11] op_sel_hi:[0,1,1]
	v_pk_fma_f32 v[12:13], v[52:53], v[8:9], v[10:11] op_sel_hi:[0,1,1]
	s_andn2_b64 exec, exec, s[14:15]
	s_cbranch_execnz .LBB134_15
; %bb.16:
	s_or_b64 exec, exec, s[14:15]
.LBB134_17:
	s_or_b64 exec, exec, s[10:11]
	s_mov_b64 s[10:11], 0xbf
	v_cmp_lt_u64_e32 vcc, s[10:11], v[0:1]
	s_and_saveexec_b64 s[10:11], vcc
	s_cbranch_execz .LBB134_21
; %bb.18:
	v_lshl_add_u64 v[0:1], v[50:51], 3, s[12:13]
	s_mov_b64 s[14:15], 0x400
	v_lshl_add_u64 v[52:53], v[0:1], 0, s[14:15]
	s_mov_b64 s[14:15], 0
	s_mov_b64 s[16:17], 0x1000
	v_mov_b32_e32 v55, 0
	s_mov_b64 s[18:19], 0x2000
	s_mov_b64 s[20:21], 0x3000
	s_movk_i32 s28, 0x2000
	s_movk_i32 s29, 0x3000
	s_mov_b64 s[22:23], 0x4000
	s_mov_b64 s[24:25], 0x100
	;; [unrolled: 1-line block ×3, first 2 shown]
	v_bfrev_b32_e32 v56, 1
.LBB134_19:                             ; =>This Inner Loop Header: Depth=1
	global_load_dwordx2 v[0:1], v[52:53], off offset:-1024
	v_lshl_add_u64 v[76:77], v[48:49], 0, s[20:21]
	v_lshl_add_u64 v[50:51], v[50:51], 0, s[24:25]
	s_waitcnt vmcnt(0)
	v_sub_co_u32_e32 v0, vcc, v0, v32
	s_nop 1
	v_subb_co_u32_e32 v1, vcc, v1, v33, vcc
	v_lshlrev_b64 v[0:1], 5, v[0:1]
	v_lshl_add_u64 v[0:1], s[2:3], 0, v[0:1]
	global_load_dwordx4 v[8:11], v[0:1], off offset:16
	global_load_dwordx4 v[14:17], v[0:1], off
	global_load_dwordx2 v[2:3], v[52:53], off offset:-512
	v_lshl_add_u64 v[0:1], v[48:49], 0, s[16:17]
	s_waitcnt vmcnt(0)
	v_sub_co_u32_e32 v2, vcc, v2, v32
	s_nop 1
	v_subb_co_u32_e32 v3, vcc, v3, v33, vcc
	v_add_co_u32_e32 v58, vcc, s28, v48
	s_nop 1
	v_addc_co_u32_e32 v59, vcc, 0, v49, vcc
	global_load_dwordx4 v[78:81], v[58:59], off offset:-4096
	global_load_dwordx4 v[64:67], v[0:1], off offset:48
	global_load_dwordx4 v[68:71], v[0:1], off offset:32
	;; [unrolled: 1-line block ×3, first 2 shown]
	v_lshlrev_b64 v[0:1], 5, v[2:3]
	v_lshl_add_u64 v[18:19], s[2:3], 0, v[0:1]
	global_load_dwordx4 v[0:3], v[18:19], off offset:16
	global_load_dwordx4 v[4:7], v[18:19], off
	global_load_dwordx4 v[60:63], v[48:49], off offset:48
	global_load_dwordx4 v[82:85], v[48:49], off offset:32
	global_load_dwordx4 v[86:89], v[48:49], off offset:16
	global_load_dwordx4 v[20:23], v[48:49], off
	s_waitcnt vmcnt(0)
	v_mov_b32_e32 v54, v20
	v_pk_fma_f32 v[18:19], v[14:15], v[54:55], v[44:45] op_sel_hi:[0,1,1]
	v_mov_b32_e32 v57, v20
	v_pk_fma_f32 v[18:19], v[14:15], v[56:57], v[18:19] op_sel:[1,0,0]
	v_mov_b32_e32 v54, v21
	v_pk_fma_f32 v[18:19], v[16:17], v[54:55], v[18:19] op_sel_hi:[0,1,1]
	v_mov_b32_e32 v20, v17
	v_mov_b32_e32 v57, v21
	v_pk_fma_f32 v[18:19], v[20:21], v[56:57], v[18:19] op_sel_hi:[0,1,1]
	v_mov_b32_e32 v54, v22
	v_pk_fma_f32 v[18:19], v[8:9], v[54:55], v[18:19] op_sel_hi:[0,1,1]
	v_mov_b32_e32 v57, v22
	v_pk_fma_f32 v[18:19], v[8:9], v[56:57], v[18:19] op_sel:[1,0,0]
	v_mov_b32_e32 v54, v23
	v_pk_fma_f32 v[18:19], v[10:11], v[54:55], v[18:19] op_sel_hi:[0,1,1]
	v_mov_b32_e32 v22, v11
	v_mov_b32_e32 v57, v23
	v_pk_fma_f32 v[18:19], v[22:23], v[56:57], v[18:19] op_sel_hi:[0,1,1]
	v_mov_b32_e32 v54, v78
	v_pk_fma_f32 v[18:19], v[4:5], v[54:55], v[18:19] op_sel_hi:[0,1,1]
	v_mov_b32_e32 v57, v78
	v_mov_b32_e32 v54, v86
	v_pk_fma_f32 v[44:45], v[4:5], v[56:57], v[18:19] op_sel:[1,0,0]
	v_pk_fma_f32 v[18:19], v[14:15], v[54:55], v[40:41] op_sel_hi:[0,1,1]
	v_mov_b32_e32 v57, v86
	v_pk_fma_f32 v[18:19], v[14:15], v[56:57], v[18:19] op_sel:[1,0,0]
	v_mov_b32_e32 v54, v87
	v_pk_fma_f32 v[18:19], v[16:17], v[54:55], v[18:19] op_sel_hi:[0,1,1]
	v_mov_b32_e32 v57, v87
	v_pk_fma_f32 v[18:19], v[20:21], v[56:57], v[18:19] op_sel_hi:[0,1,1]
	v_mov_b32_e32 v54, v88
	v_pk_fma_f32 v[18:19], v[8:9], v[54:55], v[18:19] op_sel_hi:[0,1,1]
	v_mov_b32_e32 v57, v88
	v_pk_fma_f32 v[18:19], v[8:9], v[56:57], v[18:19] op_sel:[1,0,0]
	v_mov_b32_e32 v54, v89
	v_pk_fma_f32 v[18:19], v[10:11], v[54:55], v[18:19] op_sel_hi:[0,1,1]
	v_mov_b32_e32 v57, v89
	v_pk_fma_f32 v[18:19], v[22:23], v[56:57], v[18:19] op_sel_hi:[0,1,1]
	v_mov_b32_e32 v54, v72
	v_pk_fma_f32 v[18:19], v[4:5], v[54:55], v[18:19] op_sel_hi:[0,1,1]
	v_mov_b32_e32 v57, v72
	v_mov_b32_e32 v54, v82
	v_pk_fma_f32 v[40:41], v[4:5], v[56:57], v[18:19] op_sel:[1,0,0]
	v_pk_fma_f32 v[18:19], v[14:15], v[54:55], v[42:43] op_sel_hi:[0,1,1]
	v_mov_b32_e32 v57, v82
	v_pk_fma_f32 v[18:19], v[14:15], v[56:57], v[18:19] op_sel:[1,0,0]
	v_mov_b32_e32 v54, v83
	v_pk_fma_f32 v[18:19], v[16:17], v[54:55], v[18:19] op_sel_hi:[0,1,1]
	v_mov_b32_e32 v57, v83
	v_pk_fma_f32 v[18:19], v[20:21], v[56:57], v[18:19] op_sel_hi:[0,1,1]
	v_mov_b32_e32 v54, v84
	v_pk_fma_f32 v[18:19], v[8:9], v[54:55], v[18:19] op_sel_hi:[0,1,1]
	v_mov_b32_e32 v57, v84
	v_pk_fma_f32 v[18:19], v[8:9], v[56:57], v[18:19] op_sel:[1,0,0]
	v_mov_b32_e32 v54, v85
	v_pk_fma_f32 v[18:19], v[10:11], v[54:55], v[18:19] op_sel_hi:[0,1,1]
	;; [unrolled: 20-line block ×3, first 2 shown]
	v_mov_b32_e32 v57, v63
	v_pk_fma_f32 v[8:9], v[22:23], v[56:57], v[8:9] op_sel_hi:[0,1,1]
	v_mov_b32_e32 v54, v64
	v_pk_fma_f32 v[8:9], v[4:5], v[54:55], v[8:9] op_sel_hi:[0,1,1]
	v_mov_b32_e32 v57, v64
	v_pk_fma_f32 v[4:5], v[4:5], v[56:57], v[8:9] op_sel:[1,0,0]
	global_load_dwordx2 v[8:9], v[52:53], off
	v_lshl_add_u64 v[60:61], v[48:49], 0, s[18:19]
	v_mov_b32_e32 v54, v79
	v_pk_fma_f32 v[44:45], v[6:7], v[54:55], v[44:45] op_sel_hi:[0,1,1]
	v_mov_b32_e32 v57, v79
	v_mov_b32_e32 v54, v80
	s_waitcnt vmcnt(0)
	v_sub_co_u32_e32 v8, vcc, v8, v32
	s_nop 1
	v_subb_co_u32_e32 v9, vcc, v9, v33, vcc
	v_lshlrev_b64 v[8:9], 5, v[8:9]
	v_lshl_add_u64 v[16:17], s[2:3], 0, v[8:9]
	global_load_dwordx4 v[8:11], v[16:17], off offset:16
	global_load_dwordx4 v[12:15], v[16:17], off
	s_waitcnt vmcnt(1)
	v_mov_b32_e32 v64, v11
	global_load_dwordx2 v[16:17], v[52:53], off offset:512
	v_lshl_add_u64 v[52:53], v[52:53], 0, s[26:27]
	s_waitcnt vmcnt(0)
	v_sub_co_u32_e32 v16, vcc, v16, v32
	s_nop 1
	v_subb_co_u32_e32 v17, vcc, v17, v33, vcc
	v_lshlrev_b64 v[16:17], 5, v[16:17]
	v_lshl_add_u64 v[62:63], s[2:3], 0, v[16:17]
	global_load_dwordx4 v[16:19], v[62:63], off offset:16
	global_load_dwordx4 v[20:23], v[62:63], off
	global_load_dwordx4 v[82:85], v[58:59], off
	global_load_dwordx4 v[86:89], v[60:61], off offset:48
	global_load_dwordx4 v[90:93], v[60:61], off offset:32
	;; [unrolled: 1-line block ×3, first 2 shown]
	v_mov_b32_e32 v58, v7
	v_pk_fma_f32 v[44:45], v[58:59], v[56:57], v[44:45] op_sel_hi:[0,1,1]
	v_pk_fma_f32 v[44:45], v[0:1], v[54:55], v[44:45] op_sel_hi:[0,1,1]
	v_mov_b32_e32 v57, v80
	v_pk_fma_f32 v[44:45], v[0:1], v[56:57], v[44:45] op_sel:[1,0,0]
	v_mov_b32_e32 v54, v81
	v_pk_fma_f32 v[44:45], v[2:3], v[54:55], v[44:45] op_sel_hi:[0,1,1]
	v_mov_b32_e32 v60, v3
	v_mov_b32_e32 v57, v81
	v_pk_fma_f32 v[44:45], v[60:61], v[56:57], v[44:45] op_sel_hi:[0,1,1]
	v_add_co_u32_e32 v78, vcc, s29, v48
	v_mov_b32_e32 v62, v15
	s_nop 0
	v_addc_co_u32_e32 v79, vcc, 0, v49, vcc
	v_cmp_ge_i64_e32 vcc, v[50:51], v[36:37]
	v_lshl_add_u64 v[48:49], v[48:49], 0, s[22:23]
	s_or_b64 s[14:15], vcc, s[14:15]
	s_waitcnt vmcnt(5)
	v_mov_b32_e32 v72, v19
	s_waitcnt vmcnt(4)
	v_mov_b32_e32 v68, v23
	;; [unrolled: 2-line block ×3, first 2 shown]
	v_pk_fma_f32 v[44:45], v[12:13], v[54:55], v[44:45] op_sel_hi:[0,1,1]
	v_mov_b32_e32 v57, v82
	v_pk_fma_f32 v[44:45], v[12:13], v[56:57], v[44:45] op_sel:[1,0,0]
	v_mov_b32_e32 v54, v83
	v_mov_b32_e32 v57, v83
	global_load_dwordx4 v[80:83], v[78:79], off
	global_load_dwordx4 v[98:101], v[76:77], off offset:48
	global_load_dwordx4 v[102:105], v[76:77], off offset:32
	;; [unrolled: 1-line block ×3, first 2 shown]
	v_pk_fma_f32 v[44:45], v[14:15], v[54:55], v[44:45] op_sel_hi:[0,1,1]
	v_pk_fma_f32 v[44:45], v[62:63], v[56:57], v[44:45] op_sel_hi:[0,1,1]
	v_mov_b32_e32 v54, v84
	v_pk_fma_f32 v[44:45], v[54:55], v[8:9], v[44:45] op_sel_hi:[1,0,1]
	v_mov_b32_e32 v57, v84
	v_pk_fma_f32 v[44:45], v[8:9], v[56:57], v[44:45] op_sel:[1,0,0]
	v_mov_b32_e32 v54, v85
	v_pk_fma_f32 v[44:45], v[10:11], v[54:55], v[44:45] op_sel_hi:[0,1,1]
	v_mov_b32_e32 v57, v85
	v_pk_fma_f32 v[44:45], v[64:65], v[56:57], v[44:45] op_sel_hi:[0,1,1]
	s_waitcnt vmcnt(3)
	v_mov_b32_e32 v54, v80
	v_pk_fma_f32 v[44:45], v[20:21], v[54:55], v[44:45] op_sel_hi:[0,1,1]
	v_mov_b32_e32 v57, v80
	v_pk_fma_f32 v[44:45], v[20:21], v[56:57], v[44:45] op_sel:[1,0,0]
	v_mov_b32_e32 v54, v81
	v_pk_fma_f32 v[44:45], v[22:23], v[54:55], v[44:45] op_sel_hi:[0,1,1]
	v_mov_b32_e32 v57, v81
	v_pk_fma_f32 v[44:45], v[68:69], v[56:57], v[44:45] op_sel_hi:[0,1,1]
	;; [unrolled: 2-line block ×3, first 2 shown]
	v_mov_b32_e32 v57, v82
	v_pk_fma_f32 v[44:45], v[16:17], v[56:57], v[44:45] op_sel:[1,0,0]
	v_mov_b32_e32 v54, v83
	v_pk_fma_f32 v[44:45], v[18:19], v[54:55], v[44:45] op_sel_hi:[0,1,1]
	v_mov_b32_e32 v57, v83
	v_mov_b32_e32 v54, v73
	v_pk_fma_f32 v[44:45], v[72:73], v[56:57], v[44:45] op_sel_hi:[0,1,1]
	v_pk_fma_f32 v[40:41], v[6:7], v[54:55], v[40:41] op_sel_hi:[0,1,1]
	v_mov_b32_e32 v57, v73
	v_pk_fma_f32 v[40:41], v[58:59], v[56:57], v[40:41] op_sel_hi:[0,1,1]
	v_mov_b32_e32 v54, v74
	v_pk_fma_f32 v[40:41], v[0:1], v[54:55], v[40:41] op_sel_hi:[0,1,1]
	v_mov_b32_e32 v57, v74
	v_pk_fma_f32 v[40:41], v[0:1], v[56:57], v[40:41] op_sel:[1,0,0]
	v_mov_b32_e32 v54, v75
	v_pk_fma_f32 v[40:41], v[2:3], v[54:55], v[40:41] op_sel_hi:[0,1,1]
	v_mov_b32_e32 v57, v75
	v_pk_fma_f32 v[40:41], v[60:61], v[56:57], v[40:41] op_sel_hi:[0,1,1]
	v_mov_b32_e32 v54, v94
	v_pk_fma_f32 v[40:41], v[12:13], v[54:55], v[40:41] op_sel_hi:[0,1,1]
	v_mov_b32_e32 v57, v94
	v_pk_fma_f32 v[40:41], v[12:13], v[56:57], v[40:41] op_sel:[1,0,0]
	v_mov_b32_e32 v54, v95
	;; [unrolled: 8-line block ×3, first 2 shown]
	v_pk_fma_f32 v[40:41], v[10:11], v[54:55], v[40:41] op_sel_hi:[0,1,1]
	v_mov_b32_e32 v57, v97
	v_pk_fma_f32 v[40:41], v[64:65], v[56:57], v[40:41] op_sel_hi:[0,1,1]
	s_waitcnt vmcnt(0)
	v_mov_b32_e32 v54, v106
	v_pk_fma_f32 v[40:41], v[20:21], v[54:55], v[40:41] op_sel_hi:[0,1,1]
	v_mov_b32_e32 v57, v106
	v_pk_fma_f32 v[40:41], v[20:21], v[56:57], v[40:41] op_sel:[1,0,0]
	v_mov_b32_e32 v54, v107
	v_pk_fma_f32 v[40:41], v[22:23], v[54:55], v[40:41] op_sel_hi:[0,1,1]
	v_mov_b32_e32 v57, v107
	v_pk_fma_f32 v[40:41], v[68:69], v[56:57], v[40:41] op_sel_hi:[0,1,1]
	v_mov_b32_e32 v54, v108
	v_pk_fma_f32 v[40:41], v[16:17], v[54:55], v[40:41] op_sel_hi:[0,1,1]
	v_mov_b32_e32 v57, v108
	v_pk_fma_f32 v[40:41], v[16:17], v[56:57], v[40:41] op_sel:[1,0,0]
	v_mov_b32_e32 v54, v109
	v_pk_fma_f32 v[40:41], v[18:19], v[54:55], v[40:41] op_sel_hi:[0,1,1]
	v_mov_b32_e32 v57, v109
	v_mov_b32_e32 v54, v69
	v_pk_fma_f32 v[40:41], v[72:73], v[56:57], v[40:41] op_sel_hi:[0,1,1]
	v_pk_fma_f32 v[42:43], v[6:7], v[54:55], v[42:43] op_sel_hi:[0,1,1]
	v_mov_b32_e32 v57, v69
	v_pk_fma_f32 v[42:43], v[58:59], v[56:57], v[42:43] op_sel_hi:[0,1,1]
	v_mov_b32_e32 v54, v70
	v_pk_fma_f32 v[42:43], v[0:1], v[54:55], v[42:43] op_sel_hi:[0,1,1]
	v_mov_b32_e32 v57, v70
	v_pk_fma_f32 v[42:43], v[0:1], v[56:57], v[42:43] op_sel:[1,0,0]
	v_mov_b32_e32 v54, v71
	v_pk_fma_f32 v[42:43], v[2:3], v[54:55], v[42:43] op_sel_hi:[0,1,1]
	v_mov_b32_e32 v57, v71
	v_pk_fma_f32 v[42:43], v[60:61], v[56:57], v[42:43] op_sel_hi:[0,1,1]
	v_mov_b32_e32 v54, v90
	v_pk_fma_f32 v[42:43], v[12:13], v[54:55], v[42:43] op_sel_hi:[0,1,1]
	v_mov_b32_e32 v57, v90
	v_pk_fma_f32 v[42:43], v[12:13], v[56:57], v[42:43] op_sel:[1,0,0]
	v_mov_b32_e32 v54, v91
	;; [unrolled: 8-line block ×5, first 2 shown]
	v_pk_fma_f32 v[42:43], v[18:19], v[54:55], v[42:43] op_sel_hi:[0,1,1]
	v_mov_b32_e32 v57, v105
	v_mov_b32_e32 v54, v65
	v_pk_fma_f32 v[42:43], v[72:73], v[56:57], v[42:43] op_sel_hi:[0,1,1]
	v_pk_fma_f32 v[4:5], v[6:7], v[54:55], v[4:5] op_sel_hi:[0,1,1]
	v_mov_b32_e32 v57, v65
	v_pk_fma_f32 v[4:5], v[58:59], v[56:57], v[4:5] op_sel_hi:[0,1,1]
	v_mov_b32_e32 v54, v66
	v_pk_fma_f32 v[4:5], v[0:1], v[54:55], v[4:5] op_sel_hi:[0,1,1]
	v_mov_b32_e32 v57, v66
	v_pk_fma_f32 v[0:1], v[0:1], v[56:57], v[4:5] op_sel:[1,0,0]
	v_mov_b32_e32 v54, v67
	v_pk_fma_f32 v[0:1], v[2:3], v[54:55], v[0:1] op_sel_hi:[0,1,1]
	v_mov_b32_e32 v57, v67
	v_pk_fma_f32 v[0:1], v[60:61], v[56:57], v[0:1] op_sel_hi:[0,1,1]
	v_mov_b32_e32 v54, v86
	v_pk_fma_f32 v[0:1], v[12:13], v[54:55], v[0:1] op_sel_hi:[0,1,1]
	v_mov_b32_e32 v57, v86
	v_pk_fma_f32 v[0:1], v[12:13], v[56:57], v[0:1] op_sel:[1,0,0]
	v_mov_b32_e32 v54, v87
	;; [unrolled: 8-line block ×5, first 2 shown]
	v_pk_fma_f32 v[0:1], v[18:19], v[54:55], v[0:1] op_sel_hi:[0,1,1]
	v_mov_b32_e32 v57, v101
	v_pk_fma_f32 v[12:13], v[72:73], v[56:57], v[0:1] op_sel_hi:[0,1,1]
	s_andn2_b64 exec, exec, s[14:15]
	s_cbranch_execnz .LBB134_19
; %bb.20:
	s_or_b64 exec, exec, s[14:15]
.LBB134_21:
	s_or_b64 exec, exec, s[10:11]
	v_mov_b32_e32 v31, v45
.LBB134_22:
	s_or_b64 exec, exec, s[8:9]
	s_cbranch_execz .LBB134_24
	s_branch .LBB134_35
.LBB134_23:
                                        ; implicit-def: $vgpr44
                                        ; implicit-def: $vgpr41
                                        ; implicit-def: $vgpr43
                                        ; implicit-def: $vgpr13
.LBB134_24:
	v_mov_b32_e32 v31, 0
	v_mov_b32_e32 v44, 0
	;; [unrolled: 1-line block ×8, first 2 shown]
	s_and_saveexec_b64 s[8:9], s[4:5]
	s_cbranch_execz .LBB134_34
; %bb.25:
	v_or_b32_e32 v0, 64, v30
	v_sub_co_u32_e32 v0, vcc, v0, v32
	v_not_b32_e32 v3, v47
	s_nop 0
	v_subb_co_u32_e32 v1, vcc, 0, v33, vcc
	v_lshl_add_u64 v[0:1], v[0:1], 0, v[46:47]
	v_cmp_gt_i64_e32 vcc, v[0:1], v[36:37]
	v_not_b32_e32 v2, v46
	v_mov_b32_e32 v13, 0
	v_cndmask_b32_e32 v1, v37, v1, vcc
	v_cndmask_b32_e32 v0, v36, v0, vcc
	v_sub_co_u32_e32 v4, vcc, v32, v30
	s_mov_b64 s[4:5], 0xc0
	s_nop 0
	v_subbrev_co_u32_e32 v5, vcc, 0, v33, vcc
	v_lshl_add_u64 v[2:3], v[4:5], 0, v[2:3]
	v_lshl_add_u64 v[0:1], v[2:3], 0, v[0:1]
	v_and_b32_e32 v12, 0xc0, v0
	v_cmp_ne_u64_e32 vcc, s[4:5], v[12:13]
	v_mov_b32_e32 v12, v13
	v_mov_b32_e32 v42, v13
	;; [unrolled: 1-line block ×7, first 2 shown]
	s_and_saveexec_b64 s[4:5], vcc
	s_cbranch_execz .LBB134_29
; %bb.26:
	v_lshrrev_b32_e32 v2, 6, v0
	v_add_u32_e32 v2, 1, v2
	v_and_b32_e32 v2, 3, v2
	v_sub_co_u32_e32 v6, vcc, 0, v2
	v_mov_b32_e32 v3, 0
	s_nop 0
	v_subb_co_u32_e64 v7, s[14:15], 0, 0, vcc
	v_lshl_add_u64 v[4:5], v[34:35], 3, s[12:13]
	s_mov_b64 s[10:11], 0
	s_mov_b64 s[14:15], 0x1000
	s_mov_b64 s[16:17], 0x200
	v_bfrev_b32_e32 v8, 1
	v_mov_b32_e32 v12, v3
	v_mov_b32_e32 v13, v3
	v_mov_b32_e32 v42, v3
	v_mov_b32_e32 v43, v3
	v_mov_b32_e32 v40, v3
	v_mov_b32_e32 v41, v3
	v_mov_b32_e32 v44, v3
	v_mov_b32_e32 v45, v3
.LBB134_27:                             ; =>This Inner Loop Header: Depth=1
	global_load_dwordx2 v[10:11], v[4:5], off
	global_load_dwordx4 v[48:51], v[38:39], off offset:32
	global_load_dwordx4 v[52:55], v[38:39], off offset:16
	global_load_dwordx4 v[56:59], v[38:39], off
	v_lshl_add_u64 v[6:7], v[6:7], 0, 1
	v_lshl_add_u64 v[34:35], v[34:35], 0, 64
	;; [unrolled: 1-line block ×3, first 2 shown]
	s_waitcnt vmcnt(3)
	v_sub_co_u32_e32 v10, vcc, v10, v32
	s_nop 1
	v_subb_co_u32_e32 v11, vcc, v11, v33, vcc
	v_lshlrev_b64 v[10:11], 5, v[10:11]
	v_lshl_add_u64 v[10:11], s[2:3], 0, v[10:11]
	global_load_dwordx4 v[14:17], v[10:11], off
	global_load_dwordx4 v[18:21], v[10:11], off offset:16
	global_load_dwordx4 v[60:63], v[38:39], off offset:48
	s_waitcnt vmcnt(3)
	v_mov_b32_e32 v2, v56
	v_mov_b32_e32 v9, v56
	v_cmp_eq_u64_e32 vcc, 0, v[6:7]
	v_lshl_add_u64 v[38:39], v[38:39], 0, s[14:15]
	s_or_b64 s[10:11], vcc, s[10:11]
	s_waitcnt vmcnt(2)
	v_pk_fma_f32 v[10:11], v[14:15], v[2:3], v[44:45] op_sel_hi:[0,1,1]
	v_mov_b32_e32 v2, v52
	v_pk_fma_f32 v[10:11], v[14:15], v[8:9], v[10:11] op_sel:[1,0,0]
	v_mov_b32_e32 v22, v17
	v_mov_b32_e32 v9, v52
	v_pk_fma_f32 v[10:11], v[16:17], v[2:3], v[10:11] op_sel_hi:[0,1,1]
	v_mov_b32_e32 v2, v48
	v_pk_fma_f32 v[10:11], v[22:23], v[8:9], v[10:11] op_sel_hi:[0,1,1]
	v_mov_b32_e32 v9, v48
	s_waitcnt vmcnt(1)
	v_pk_fma_f32 v[10:11], v[18:19], v[2:3], v[10:11] op_sel_hi:[0,1,1]
	s_waitcnt vmcnt(0)
	v_mov_b32_e32 v2, v60
	v_pk_fma_f32 v[10:11], v[18:19], v[8:9], v[10:11] op_sel:[1,0,0]
	v_mov_b32_e32 v46, v21
	v_mov_b32_e32 v9, v60
	v_pk_fma_f32 v[10:11], v[20:21], v[2:3], v[10:11] op_sel_hi:[0,1,1]
	v_mov_b32_e32 v2, v57
	v_pk_fma_f32 v[44:45], v[46:47], v[8:9], v[10:11] op_sel_hi:[0,1,1]
	v_pk_fma_f32 v[10:11], v[14:15], v[2:3], v[40:41] op_sel_hi:[0,1,1]
	v_mov_b32_e32 v9, v57
	v_mov_b32_e32 v2, v53
	v_pk_fma_f32 v[10:11], v[14:15], v[8:9], v[10:11] op_sel:[1,0,0]
	v_mov_b32_e32 v9, v53
	v_pk_fma_f32 v[10:11], v[16:17], v[2:3], v[10:11] op_sel_hi:[0,1,1]
	v_mov_b32_e32 v2, v49
	v_pk_fma_f32 v[10:11], v[22:23], v[8:9], v[10:11] op_sel_hi:[0,1,1]
	v_mov_b32_e32 v9, v49
	v_pk_fma_f32 v[10:11], v[18:19], v[2:3], v[10:11] op_sel_hi:[0,1,1]
	v_mov_b32_e32 v2, v61
	v_pk_fma_f32 v[10:11], v[18:19], v[8:9], v[10:11] op_sel:[1,0,0]
	v_mov_b32_e32 v9, v61
	v_pk_fma_f32 v[10:11], v[20:21], v[2:3], v[10:11] op_sel_hi:[0,1,1]
	v_mov_b32_e32 v2, v58
	v_pk_fma_f32 v[40:41], v[46:47], v[8:9], v[10:11] op_sel_hi:[0,1,1]
	v_pk_fma_f32 v[10:11], v[14:15], v[2:3], v[42:43] op_sel_hi:[0,1,1]
	v_mov_b32_e32 v9, v58
	v_mov_b32_e32 v2, v54
	v_pk_fma_f32 v[10:11], v[14:15], v[8:9], v[10:11] op_sel:[1,0,0]
	v_mov_b32_e32 v9, v54
	v_pk_fma_f32 v[10:11], v[16:17], v[2:3], v[10:11] op_sel_hi:[0,1,1]
	v_mov_b32_e32 v2, v50
	v_pk_fma_f32 v[10:11], v[22:23], v[8:9], v[10:11] op_sel_hi:[0,1,1]
	v_mov_b32_e32 v9, v50
	v_pk_fma_f32 v[10:11], v[18:19], v[2:3], v[10:11] op_sel_hi:[0,1,1]
	v_mov_b32_e32 v2, v62
	v_pk_fma_f32 v[10:11], v[18:19], v[8:9], v[10:11] op_sel:[1,0,0]
	;; [unrolled: 16-line block ×3, first 2 shown]
	v_mov_b32_e32 v9, v63
	v_pk_fma_f32 v[10:11], v[20:21], v[2:3], v[10:11] op_sel_hi:[0,1,1]
	v_pk_fma_f32 v[12:13], v[46:47], v[8:9], v[10:11] op_sel_hi:[0,1,1]
	s_andn2_b64 exec, exec, s[10:11]
	s_cbranch_execnz .LBB134_27
; %bb.28:
	s_or_b64 exec, exec, s[10:11]
.LBB134_29:
	s_or_b64 exec, exec, s[4:5]
	s_mov_b64 s[4:5], 0xbf
	v_cmp_lt_u64_e32 vcc, s[4:5], v[0:1]
	s_and_saveexec_b64 s[4:5], vcc
	s_cbranch_execz .LBB134_33
; %bb.30:
	v_lshl_add_u64 v[0:1], v[34:35], 3, s[12:13]
	s_mov_b64 s[10:11], 0x400
	v_lshl_add_u64 v[14:15], v[0:1], 0, s[10:11]
	s_mov_b64 s[10:11], 0
	s_mov_b64 s[12:13], 0x1000
	v_mov_b32_e32 v17, 0
	s_mov_b64 s[14:15], 0x2000
	s_movk_i32 s24, 0x2000
	s_mov_b64 s[16:17], 0x3000
	s_movk_i32 s25, 0x3000
	s_mov_b64 s[18:19], 0x100
	s_mov_b64 s[20:21], 0x800
	;; [unrolled: 1-line block ×3, first 2 shown]
	v_bfrev_b32_e32 v18, 1
.LBB134_31:                             ; =>This Inner Loop Header: Depth=1
	global_load_dwordx2 v[0:1], v[14:15], off offset:-1024
	global_load_dwordx4 v[56:59], v[38:39], off offset:48
	global_load_dwordx4 v[60:63], v[38:39], off offset:32
	;; [unrolled: 1-line block ×3, first 2 shown]
	global_load_dwordx4 v[68:71], v[38:39], off
	v_lshl_add_u64 v[2:3], v[38:39], 0, s[12:13]
	v_lshl_add_u64 v[34:35], v[34:35], 0, s[18:19]
	s_waitcnt vmcnt(4)
	v_sub_co_u32_e32 v0, vcc, v0, v32
	s_nop 1
	v_subb_co_u32_e32 v1, vcc, v1, v33, vcc
	v_lshlrev_b64 v[0:1], 5, v[0:1]
	v_lshl_add_u64 v[0:1], s[2:3], 0, v[0:1]
	global_load_dwordx4 v[46:49], v[0:1], off offset:16
	global_load_dwordx4 v[50:53], v[0:1], off
	s_waitcnt vmcnt(2)
	v_mov_b32_e32 v16, v68
	global_load_dwordx2 v[0:1], v[14:15], off offset:-512
	v_mov_b32_e32 v19, v68
	s_waitcnt vmcnt(2)
	v_mov_b32_e32 v54, v49
	s_waitcnt vmcnt(1)
	;; [unrolled: 2-line block ×3, first 2 shown]
	v_sub_co_u32_e32 v4, vcc, v0, v32
	s_nop 1
	v_subb_co_u32_e32 v5, vcc, v1, v33, vcc
	v_add_co_u32_e32 v0, vcc, s24, v38
	s_nop 1
	v_addc_co_u32_e32 v1, vcc, 0, v39, vcc
	global_load_dwordx4 v[72:75], v[0:1], off offset:-4096
	global_load_dwordx4 v[76:79], v[2:3], off offset:48
	global_load_dwordx4 v[80:83], v[2:3], off offset:32
	;; [unrolled: 1-line block ×3, first 2 shown]
	v_lshlrev_b64 v[2:3], 5, v[4:5]
	v_lshl_add_u64 v[2:3], s[2:3], 0, v[2:3]
	global_load_dwordx4 v[4:7], v[2:3], off offset:16
	global_load_dwordx4 v[8:11], v[2:3], off
	v_pk_fma_f32 v[2:3], v[50:51], v[16:17], v[44:45] op_sel_hi:[0,1,1]
	v_pk_fma_f32 v[2:3], v[50:51], v[18:19], v[2:3] op_sel:[1,0,0]
	v_mov_b32_e32 v16, v64
	v_pk_fma_f32 v[2:3], v[52:53], v[16:17], v[2:3] op_sel_hi:[0,1,1]
	v_mov_b32_e32 v19, v64
	v_pk_fma_f32 v[2:3], v[22:23], v[18:19], v[2:3] op_sel_hi:[0,1,1]
	;; [unrolled: 2-line block ×3, first 2 shown]
	v_mov_b32_e32 v19, v60
	v_pk_fma_f32 v[2:3], v[46:47], v[18:19], v[2:3] op_sel:[1,0,0]
	v_mov_b32_e32 v16, v56
	v_pk_fma_f32 v[2:3], v[48:49], v[16:17], v[2:3] op_sel_hi:[0,1,1]
	v_mov_b32_e32 v19, v56
	v_pk_fma_f32 v[2:3], v[54:55], v[18:19], v[2:3] op_sel_hi:[0,1,1]
	s_waitcnt vmcnt(5)
	v_mov_b32_e32 v16, v72
	v_mov_b32_e32 v19, v72
	s_waitcnt vmcnt(0)
	v_pk_fma_f32 v[2:3], v[8:9], v[16:17], v[2:3] op_sel_hi:[0,1,1]
	v_mov_b32_e32 v16, v69
	v_pk_fma_f32 v[20:21], v[8:9], v[18:19], v[2:3] op_sel:[1,0,0]
	v_pk_fma_f32 v[2:3], v[50:51], v[16:17], v[40:41] op_sel_hi:[0,1,1]
	v_mov_b32_e32 v19, v69
	v_pk_fma_f32 v[2:3], v[50:51], v[18:19], v[2:3] op_sel:[1,0,0]
	v_mov_b32_e32 v16, v65
	v_pk_fma_f32 v[2:3], v[52:53], v[16:17], v[2:3] op_sel_hi:[0,1,1]
	v_mov_b32_e32 v19, v65
	v_pk_fma_f32 v[2:3], v[22:23], v[18:19], v[2:3] op_sel_hi:[0,1,1]
	v_mov_b32_e32 v16, v61
	v_pk_fma_f32 v[2:3], v[46:47], v[16:17], v[2:3] op_sel_hi:[0,1,1]
	v_mov_b32_e32 v19, v61
	v_pk_fma_f32 v[2:3], v[46:47], v[18:19], v[2:3] op_sel:[1,0,0]
	v_mov_b32_e32 v16, v57
	v_pk_fma_f32 v[2:3], v[48:49], v[16:17], v[2:3] op_sel_hi:[0,1,1]
	v_mov_b32_e32 v19, v57
	v_pk_fma_f32 v[2:3], v[54:55], v[18:19], v[2:3] op_sel_hi:[0,1,1]
	v_mov_b32_e32 v16, v73
	v_pk_fma_f32 v[2:3], v[8:9], v[16:17], v[2:3] op_sel_hi:[0,1,1]
	v_mov_b32_e32 v19, v73
	v_mov_b32_e32 v16, v70
	v_pk_fma_f32 v[44:45], v[8:9], v[18:19], v[2:3] op_sel:[1,0,0]
	v_pk_fma_f32 v[2:3], v[50:51], v[16:17], v[42:43] op_sel_hi:[0,1,1]
	v_mov_b32_e32 v19, v70
	v_pk_fma_f32 v[2:3], v[50:51], v[18:19], v[2:3] op_sel:[1,0,0]
	v_mov_b32_e32 v16, v66
	v_pk_fma_f32 v[2:3], v[52:53], v[16:17], v[2:3] op_sel_hi:[0,1,1]
	v_mov_b32_e32 v19, v66
	v_pk_fma_f32 v[2:3], v[22:23], v[18:19], v[2:3] op_sel_hi:[0,1,1]
	v_mov_b32_e32 v16, v62
	v_pk_fma_f32 v[2:3], v[46:47], v[16:17], v[2:3] op_sel_hi:[0,1,1]
	v_mov_b32_e32 v19, v62
	v_pk_fma_f32 v[2:3], v[46:47], v[18:19], v[2:3] op_sel:[1,0,0]
	v_mov_b32_e32 v16, v58
	v_pk_fma_f32 v[2:3], v[48:49], v[16:17], v[2:3] op_sel_hi:[0,1,1]
	v_mov_b32_e32 v19, v58
	v_pk_fma_f32 v[2:3], v[54:55], v[18:19], v[2:3] op_sel_hi:[0,1,1]
	v_mov_b32_e32 v16, v74
	v_pk_fma_f32 v[2:3], v[8:9], v[16:17], v[2:3] op_sel_hi:[0,1,1]
	v_mov_b32_e32 v19, v74
	;; [unrolled: 20-line block ×3, first 2 shown]
	v_pk_fma_f32 v[22:23], v[8:9], v[18:19], v[2:3] op_sel:[1,0,0]
	global_load_dwordx2 v[2:3], v[14:15], off
	v_lshl_add_u64 v[8:9], v[38:39], 0, s[14:15]
	global_load_dwordx4 v[52:55], v[0:1], off
	global_load_dwordx4 v[56:59], v[8:9], off offset:48
	global_load_dwordx4 v[60:63], v[8:9], off offset:32
	;; [unrolled: 1-line block ×3, first 2 shown]
	v_mov_b32_e32 v16, v84
	v_mov_b32_e32 v42, v11
	;; [unrolled: 1-line block ×4, first 2 shown]
	s_waitcnt vmcnt(4)
	v_sub_co_u32_e32 v2, vcc, v2, v32
	s_nop 1
	v_subb_co_u32_e32 v3, vcc, v3, v33, vcc
	v_lshlrev_b64 v[0:1], 5, v[2:3]
	v_lshl_add_u64 v[8:9], s[2:3], 0, v[0:1]
	global_load_dwordx4 v[0:3], v[8:9], off offset:16
	global_load_dwordx4 v[46:49], v[8:9], off
	v_pk_fma_f32 v[8:9], v[10:11], v[16:17], v[20:21] op_sel_hi:[0,1,1]
	v_pk_fma_f32 v[8:9], v[42:43], v[18:19], v[8:9] op_sel_hi:[0,1,1]
	v_mov_b32_e32 v16, v80
	v_pk_fma_f32 v[8:9], v[4:5], v[16:17], v[8:9] op_sel_hi:[0,1,1]
	v_mov_b32_e32 v19, v80
	v_pk_fma_f32 v[8:9], v[4:5], v[18:19], v[8:9] op_sel:[1,0,0]
	v_mov_b32_e32 v16, v76
	v_pk_fma_f32 v[8:9], v[6:7], v[16:17], v[8:9] op_sel_hi:[0,1,1]
	v_mov_b32_e32 v19, v76
	v_pk_fma_f32 v[8:9], v[50:51], v[18:19], v[8:9] op_sel_hi:[0,1,1]
	s_waitcnt vmcnt(5)
	v_mov_b32_e32 v16, v52
	v_mov_b32_e32 v19, v52
	s_waitcnt vmcnt(0)
	v_pk_fma_f32 v[8:9], v[46:47], v[16:17], v[8:9] op_sel_hi:[0,1,1]
	v_pk_fma_f32 v[8:9], v[46:47], v[18:19], v[8:9] op_sel:[1,0,0]
	v_mov_b32_e32 v16, v64
	v_pk_fma_f32 v[8:9], v[48:49], v[16:17], v[8:9] op_sel_hi:[0,1,1]
	v_mov_b32_e32 v52, v49
	v_mov_b32_e32 v19, v64
	v_pk_fma_f32 v[8:9], v[52:53], v[18:19], v[8:9] op_sel_hi:[0,1,1]
	v_mov_b32_e32 v16, v60
	v_pk_fma_f32 v[20:21], v[0:1], v[16:17], v[8:9] op_sel_hi:[0,1,1]
	;; [unrolled: 2-line block ×5, first 2 shown]
	v_mov_b32_e32 v19, v81
	v_pk_fma_f32 v[8:9], v[4:5], v[18:19], v[8:9] op_sel:[1,0,0]
	v_mov_b32_e32 v16, v77
	v_pk_fma_f32 v[8:9], v[6:7], v[16:17], v[8:9] op_sel_hi:[0,1,1]
	v_mov_b32_e32 v19, v77
	v_pk_fma_f32 v[8:9], v[50:51], v[18:19], v[8:9] op_sel_hi:[0,1,1]
	;; [unrolled: 2-line block ×3, first 2 shown]
	v_mov_b32_e32 v19, v53
	v_pk_fma_f32 v[8:9], v[46:47], v[18:19], v[8:9] op_sel:[1,0,0]
	v_mov_b32_e32 v16, v65
	v_pk_fma_f32 v[8:9], v[48:49], v[16:17], v[8:9] op_sel_hi:[0,1,1]
	v_mov_b32_e32 v19, v65
	v_pk_fma_f32 v[8:9], v[52:53], v[18:19], v[8:9] op_sel_hi:[0,1,1]
	;; [unrolled: 2-line block ×6, first 2 shown]
	v_mov_b32_e32 v19, v82
	v_pk_fma_f32 v[12:13], v[4:5], v[18:19], v[12:13] op_sel:[1,0,0]
	v_mov_b32_e32 v16, v78
	v_pk_fma_f32 v[12:13], v[6:7], v[16:17], v[12:13] op_sel_hi:[0,1,1]
	v_mov_b32_e32 v19, v78
	v_pk_fma_f32 v[12:13], v[50:51], v[18:19], v[12:13] op_sel_hi:[0,1,1]
	;; [unrolled: 2-line block ×3, first 2 shown]
	v_mov_b32_e32 v19, v54
	v_pk_fma_f32 v[12:13], v[46:47], v[18:19], v[12:13] op_sel:[1,0,0]
	v_mov_b32_e32 v16, v66
	v_pk_fma_f32 v[12:13], v[48:49], v[16:17], v[12:13] op_sel_hi:[0,1,1]
	v_mov_b32_e32 v19, v66
	v_pk_fma_f32 v[12:13], v[52:53], v[18:19], v[12:13] op_sel_hi:[0,1,1]
	;; [unrolled: 2-line block ×6, first 2 shown]
	v_mov_b32_e32 v19, v83
	v_pk_fma_f32 v[4:5], v[4:5], v[18:19], v[10:11] op_sel:[1,0,0]
	v_mov_b32_e32 v16, v79
	v_pk_fma_f32 v[4:5], v[6:7], v[16:17], v[4:5] op_sel_hi:[0,1,1]
	global_load_dwordx2 v[6:7], v[14:15], off offset:512
	v_mov_b32_e32 v19, v79
	v_pk_fma_f32 v[4:5], v[50:51], v[18:19], v[4:5] op_sel_hi:[0,1,1]
	v_mov_b32_e32 v16, v55
	v_pk_fma_f32 v[4:5], v[46:47], v[16:17], v[4:5] op_sel_hi:[0,1,1]
	v_mov_b32_e32 v19, v55
	v_pk_fma_f32 v[4:5], v[46:47], v[18:19], v[4:5] op_sel:[1,0,0]
	v_mov_b32_e32 v16, v67
	v_pk_fma_f32 v[4:5], v[48:49], v[16:17], v[4:5] op_sel_hi:[0,1,1]
	v_mov_b32_e32 v19, v67
	v_pk_fma_f32 v[4:5], v[52:53], v[18:19], v[4:5] op_sel_hi:[0,1,1]
	v_lshl_add_u64 v[10:11], v[38:39], 0, s[16:17]
	v_mov_b32_e32 v16, v63
	v_mov_b32_e32 v19, v60
	v_pk_fma_f32 v[4:5], v[0:1], v[16:17], v[4:5] op_sel_hi:[0,1,1]
	v_mov_b32_e32 v16, v56
	v_lshl_add_u64 v[14:15], v[14:15], 0, s[20:21]
	s_waitcnt vmcnt(0)
	v_sub_co_u32_e32 v6, vcc, v6, v32
	s_nop 1
	v_subb_co_u32_e32 v7, vcc, v7, v33, vcc
	v_add_co_u32_e32 v22, vcc, s25, v38
	v_lshlrev_b64 v[6:7], 5, v[6:7]
	s_nop 0
	v_addc_co_u32_e32 v23, vcc, 0, v39, vcc
	v_lshl_add_u64 v[6:7], s[2:3], 0, v[6:7]
	global_load_dwordx4 v[64:67], v[22:23], off
	global_load_dwordx4 v[68:71], v[10:11], off offset:48
	global_load_dwordx4 v[72:75], v[10:11], off offset:32
	;; [unrolled: 1-line block ×4, first 2 shown]
	global_load_dwordx4 v[50:53], v[6:7], off
	v_pk_fma_f32 v[6:7], v[0:1], v[18:19], v[20:21] op_sel:[1,0,0]
	v_mov_b32_e32 v10, v3
	v_pk_fma_f32 v[6:7], v[2:3], v[16:17], v[6:7] op_sel_hi:[0,1,1]
	v_mov_b32_e32 v19, v56
	v_pk_fma_f32 v[6:7], v[10:11], v[18:19], v[6:7] op_sel_hi:[0,1,1]
	v_cmp_ge_i64_e32 vcc, v[34:35], v[36:37]
	v_lshl_add_u64 v[38:39], v[38:39], 0, s[22:23]
	s_or_b64 s[10:11], vcc, s[10:11]
	s_waitcnt vmcnt(5)
	v_mov_b32_e32 v16, v64
	v_mov_b32_e32 v19, v64
	s_waitcnt vmcnt(1)
	v_mov_b32_e32 v22, v49
	s_waitcnt vmcnt(0)
	v_pk_fma_f32 v[6:7], v[50:51], v[16:17], v[6:7] op_sel_hi:[0,1,1]
	v_pk_fma_f32 v[6:7], v[50:51], v[18:19], v[6:7] op_sel:[1,0,0]
	v_mov_b32_e32 v16, v76
	v_pk_fma_f32 v[6:7], v[52:53], v[16:17], v[6:7] op_sel_hi:[0,1,1]
	v_mov_b32_e32 v20, v53
	v_mov_b32_e32 v19, v76
	v_pk_fma_f32 v[6:7], v[20:21], v[18:19], v[6:7] op_sel_hi:[0,1,1]
	v_mov_b32_e32 v16, v72
	v_pk_fma_f32 v[6:7], v[46:47], v[16:17], v[6:7] op_sel_hi:[0,1,1]
	v_mov_b32_e32 v19, v72
	v_pk_fma_f32 v[6:7], v[46:47], v[18:19], v[6:7] op_sel:[1,0,0]
	v_mov_b32_e32 v16, v68
	v_pk_fma_f32 v[6:7], v[48:49], v[16:17], v[6:7] op_sel_hi:[0,1,1]
	v_mov_b32_e32 v19, v68
	v_pk_fma_f32 v[44:45], v[22:23], v[18:19], v[6:7] op_sel_hi:[0,1,1]
	v_mov_b32_e32 v19, v61
	v_pk_fma_f32 v[6:7], v[0:1], v[18:19], v[8:9] op_sel:[1,0,0]
	v_mov_b32_e32 v16, v57
	v_pk_fma_f32 v[6:7], v[2:3], v[16:17], v[6:7] op_sel_hi:[0,1,1]
	v_mov_b32_e32 v19, v57
	v_pk_fma_f32 v[6:7], v[10:11], v[18:19], v[6:7] op_sel_hi:[0,1,1]
	v_mov_b32_e32 v16, v65
	v_pk_fma_f32 v[6:7], v[50:51], v[16:17], v[6:7] op_sel_hi:[0,1,1]
	v_mov_b32_e32 v19, v65
	v_pk_fma_f32 v[6:7], v[50:51], v[18:19], v[6:7] op_sel:[1,0,0]
	v_mov_b32_e32 v16, v77
	v_pk_fma_f32 v[6:7], v[52:53], v[16:17], v[6:7] op_sel_hi:[0,1,1]
	v_mov_b32_e32 v19, v77
	v_pk_fma_f32 v[6:7], v[20:21], v[18:19], v[6:7] op_sel_hi:[0,1,1]
	v_mov_b32_e32 v16, v73
	v_pk_fma_f32 v[6:7], v[46:47], v[16:17], v[6:7] op_sel_hi:[0,1,1]
	v_mov_b32_e32 v19, v73
	v_pk_fma_f32 v[6:7], v[46:47], v[18:19], v[6:7] op_sel:[1,0,0]
	v_mov_b32_e32 v16, v69
	v_pk_fma_f32 v[6:7], v[48:49], v[16:17], v[6:7] op_sel_hi:[0,1,1]
	v_mov_b32_e32 v19, v69
	v_pk_fma_f32 v[40:41], v[22:23], v[18:19], v[6:7] op_sel_hi:[0,1,1]
	v_mov_b32_e32 v19, v62
	v_pk_fma_f32 v[6:7], v[0:1], v[18:19], v[12:13] op_sel:[1,0,0]
	v_mov_b32_e32 v16, v58
	v_pk_fma_f32 v[6:7], v[2:3], v[16:17], v[6:7] op_sel_hi:[0,1,1]
	v_mov_b32_e32 v19, v58
	v_pk_fma_f32 v[6:7], v[10:11], v[18:19], v[6:7] op_sel_hi:[0,1,1]
	v_mov_b32_e32 v16, v66
	v_pk_fma_f32 v[6:7], v[50:51], v[16:17], v[6:7] op_sel_hi:[0,1,1]
	v_mov_b32_e32 v19, v66
	v_pk_fma_f32 v[6:7], v[50:51], v[18:19], v[6:7] op_sel:[1,0,0]
	v_mov_b32_e32 v16, v78
	v_pk_fma_f32 v[6:7], v[52:53], v[16:17], v[6:7] op_sel_hi:[0,1,1]
	;; [unrolled: 22-line block ×3, first 2 shown]
	v_mov_b32_e32 v19, v79
	v_pk_fma_f32 v[0:1], v[20:21], v[18:19], v[0:1] op_sel_hi:[0,1,1]
	v_mov_b32_e32 v16, v75
	v_pk_fma_f32 v[0:1], v[46:47], v[16:17], v[0:1] op_sel_hi:[0,1,1]
	v_mov_b32_e32 v19, v75
	v_pk_fma_f32 v[0:1], v[46:47], v[18:19], v[0:1] op_sel:[1,0,0]
	v_mov_b32_e32 v16, v71
	v_pk_fma_f32 v[0:1], v[48:49], v[16:17], v[0:1] op_sel_hi:[0,1,1]
	v_mov_b32_e32 v19, v71
	v_pk_fma_f32 v[12:13], v[22:23], v[18:19], v[0:1] op_sel_hi:[0,1,1]
	s_andn2_b64 exec, exec, s[10:11]
	s_cbranch_execnz .LBB134_31
; %bb.32:
	s_or_b64 exec, exec, s[10:11]
.LBB134_33:
	s_or_b64 exec, exec, s[4:5]
	v_mov_b32_e32 v31, v45
.LBB134_34:
	s_or_b64 exec, exec, s[8:9]
.LBB134_35:
	v_mov_b32_dpp v6, v41 row_shr:1 row_mask:0xf bank_mask:0xf
	v_add_f32_e32 v6, v41, v6
	v_mov_b32_dpp v0, v44 row_shr:1 row_mask:0xf bank_mask:0xf
	v_mov_b32_dpp v2, v31 row_shr:1 row_mask:0xf bank_mask:0xf
	;; [unrolled: 1-line block ×3, first 2 shown]
	v_add_f32_e32 v6, v6, v7
	v_mov_b32_dpp v4, v40 row_shr:1 row_mask:0xf bank_mask:0xf
	v_add_f32_e32 v0, v44, v0
	v_mov_b32_dpp v7, v6 row_shr:4 row_mask:0xf bank_mask:0xe
	v_add_f32_e32 v6, v6, v7
	v_add_f32_e32 v2, v31, v2
	;; [unrolled: 1-line block ×3, first 2 shown]
	v_mov_b32_dpp v7, v6 row_shr:8 row_mask:0xf bank_mask:0xc
	v_add_f32_e32 v6, v6, v7
	v_mov_b32_dpp v1, v0 row_shr:2 row_mask:0xf bank_mask:0xf
	v_mov_b32_dpp v3, v2 row_shr:2 row_mask:0xf bank_mask:0xf
	v_mov_b32_dpp v7, v6 row_bcast:15 row_mask:0xa bank_mask:0xf
	v_add_f32_e32 v7, v6, v7
	v_mov_b32_dpp v6, v42 row_shr:1 row_mask:0xf bank_mask:0xf
	v_add_f32_e32 v6, v42, v6
	v_mov_b32_dpp v5, v4 row_shr:2 row_mask:0xf bank_mask:0xf
	;; [unrolled: 2-line block ×3, first 2 shown]
	v_add_f32_e32 v6, v6, v9
	v_add_f32_e32 v2, v2, v3
	;; [unrolled: 1-line block ×3, first 2 shown]
	v_mov_b32_dpp v9, v6 row_shr:4 row_mask:0xf bank_mask:0xe
	v_add_f32_e32 v6, v6, v9
	v_mov_b32_dpp v1, v0 row_shr:4 row_mask:0xf bank_mask:0xe
	v_mov_b32_dpp v3, v2 row_shr:4 row_mask:0xf bank_mask:0xe
	;; [unrolled: 1-line block ×3, first 2 shown]
	v_add_f32_e32 v6, v6, v9
	v_mov_b32_dpp v5, v4 row_shr:4 row_mask:0xf bank_mask:0xe
	v_add_f32_e32 v0, v0, v1
	v_mov_b32_dpp v9, v6 row_bcast:15 row_mask:0xa bank_mask:0xf
	v_add_f32_e32 v9, v6, v9
	v_mov_b32_dpp v6, v43 row_shr:1 row_mask:0xf bank_mask:0xf
	v_add_f32_e32 v6, v43, v6
	v_add_f32_e32 v2, v2, v3
	;; [unrolled: 1-line block ×3, first 2 shown]
	v_mov_b32_dpp v11, v6 row_shr:2 row_mask:0xf bank_mask:0xf
	v_add_f32_e32 v6, v6, v11
	v_mov_b32_dpp v1, v0 row_shr:8 row_mask:0xf bank_mask:0xc
	v_mov_b32_dpp v3, v2 row_shr:8 row_mask:0xf bank_mask:0xc
	;; [unrolled: 1-line block ×3, first 2 shown]
	v_add_f32_e32 v6, v6, v11
	v_mov_b32_dpp v5, v4 row_shr:8 row_mask:0xf bank_mask:0xc
	v_add_f32_e32 v0, v0, v1
	v_mov_b32_dpp v11, v6 row_shr:8 row_mask:0xf bank_mask:0xc
	v_add_f32_e32 v6, v6, v11
	v_add_f32_e32 v2, v2, v3
	;; [unrolled: 1-line block ×3, first 2 shown]
	v_mov_b32_dpp v11, v6 row_bcast:15 row_mask:0xa bank_mask:0xf
	v_add_f32_e32 v11, v6, v11
	v_mov_b32_dpp v6, v12 row_shr:1 row_mask:0xf bank_mask:0xf
	v_add_f32_e32 v6, v12, v6
	v_mov_b32_dpp v1, v0 row_bcast:15 row_mask:0xa bank_mask:0xf
	v_mov_b32_dpp v3, v2 row_bcast:15 row_mask:0xa bank_mask:0xf
	v_mov_b32_dpp v12, v6 row_shr:2 row_mask:0xf bank_mask:0xf
	v_add_f32_e32 v6, v6, v12
	v_mov_b32_dpp v5, v4 row_bcast:15 row_mask:0xa bank_mask:0xf
	v_add_f32_e32 v0, v0, v1
	v_mov_b32_dpp v12, v6 row_shr:4 row_mask:0xf bank_mask:0xe
	v_add_f32_e32 v6, v6, v12
	v_add_f32_e32 v2, v2, v3
	;; [unrolled: 1-line block ×3, first 2 shown]
	v_mov_b32_dpp v12, v6 row_shr:8 row_mask:0xf bank_mask:0xc
	v_add_f32_e32 v6, v6, v12
	v_mov_b32_dpp v1, v0 row_bcast:31 row_mask:0xc bank_mask:0xf
	v_mov_b32_dpp v3, v2 row_bcast:31 row_mask:0xc bank_mask:0xf
	;; [unrolled: 1-line block ×3, first 2 shown]
	v_add_f32_e32 v16, v6, v12
	v_mov_b32_dpp v6, v13 row_shr:1 row_mask:0xf bank_mask:0xf
	v_add_f32_e32 v6, v13, v6
	v_mov_b32_dpp v5, v4 row_bcast:31 row_mask:0xc bank_mask:0xf
	v_mov_b32_dpp v8, v7 row_bcast:31 row_mask:0xc bank_mask:0xf
	v_mov_b32_dpp v12, v6 row_shr:2 row_mask:0xf bank_mask:0xf
	v_add_f32_e32 v6, v6, v12
	v_mov_b32_dpp v10, v9 row_bcast:31 row_mask:0xc bank_mask:0xf
	v_mov_b32_dpp v15, v11 row_bcast:31 row_mask:0xc bank_mask:0xf
	v_mov_b32_dpp v12, v6 row_shr:4 row_mask:0xf bank_mask:0xe
	v_add_f32_e32 v6, v6, v12
	v_mov_b32_dpp v17, v16 row_bcast:31 row_mask:0xc bank_mask:0xf
	v_cmp_eq_u32_e32 vcc, 63, v30
	v_mov_b32_dpp v12, v6 row_shr:8 row_mask:0xf bank_mask:0xc
	v_add_f32_e32 v6, v6, v12
	s_nop 1
	v_mov_b32_dpp v12, v6 row_bcast:15 row_mask:0xa bank_mask:0xf
	v_add_f32_e32 v13, v6, v12
	s_nop 1
	v_mov_b32_dpp v18, v13 row_bcast:31 row_mask:0xc bank_mask:0xf
	s_and_b64 exec, exec, vcc
	s_cbranch_execz .LBB134_6
; %bb.36:
	s_load_dwordx2 s[0:1], s[0:1], 0x58
	v_cmp_eq_f32_e32 vcc, 0, v26
	s_xor_b64 s[2:3], s[6:7], -1
	v_add_f32_e32 v6, v0, v1
	v_add_f32_e32 v14, v2, v3
	;; [unrolled: 1-line block ×8, first 2 shown]
	s_and_b64 s[2:3], vcc, s[2:3]
	v_lshlrev_b64 v[16:17], 5, v[28:29]
	s_and_saveexec_b64 s[4:5], s[2:3]
	s_xor_b64 s[2:3], exec, s[4:5]
	s_cbranch_execz .LBB134_38
; %bb.37:
	v_xor_b32_e32 v18, 0x80000000, v25
	v_mov_b32_e32 v19, v24
	v_pk_mul_f32 v[14:15], v[14:15], v[18:19] op_sel_hi:[0,1]
	v_pk_fma_f32 v[14:15], v[24:25], v[6:7], v[14:15] op_sel_hi:[1,0,1]
	v_pk_mul_f32 v[6:7], v[12:13], v[18:19] op_sel_hi:[0,1]
	s_waitcnt lgkmcnt(0)
	v_lshl_add_u64 v[20:21], s[0:1], 0, v[16:17]
	v_pk_fma_f32 v[16:17], v[24:25], v[4:5], v[6:7] op_sel_hi:[1,0,1]
	v_pk_mul_f32 v[4:5], v[10:11], v[18:19] op_sel_hi:[0,1]
	v_pk_fma_f32 v[2:3], v[24:25], v[2:3], v[4:5] op_sel_hi:[1,0,1]
	v_pk_mul_f32 v[4:5], v[8:9], v[18:19] op_sel_hi:[0,1]
	v_pk_fma_f32 v[4:5], v[24:25], v[0:1], v[4:5] op_sel_hi:[1,0,1]
	global_store_dwordx4 v[20:21], v[14:17], off
	global_store_dwordx4 v[20:21], v[2:5], off offset:16
                                        ; implicit-def: $vgpr6
                                        ; implicit-def: $vgpr14
                                        ; implicit-def: $vgpr4
                                        ; implicit-def: $vgpr12
                                        ; implicit-def: $vgpr2
                                        ; implicit-def: $vgpr10
                                        ; implicit-def: $vgpr0
                                        ; implicit-def: $vgpr8
                                        ; implicit-def: $vgpr24_vgpr25
                                        ; implicit-def: $vgpr26_vgpr27
                                        ; implicit-def: $vgpr16_vgpr17
.LBB134_38:
	s_andn2_saveexec_b64 s[2:3], s[2:3]
	s_cbranch_execz .LBB134_6
; %bb.39:
	s_waitcnt lgkmcnt(0)
	v_lshl_add_u64 v[28:29], s[0:1], 0, v[16:17]
	global_load_dwordx4 v[16:19], v[28:29], off
	global_load_dwordx4 v[20:23], v[28:29], off offset:16
	v_xor_b32_e32 v30, 0x80000000, v25
	v_mov_b32_e32 v31, v24
	v_pk_mul_f32 v[14:15], v[14:15], v[30:31] op_sel_hi:[0,1]
	v_pk_mul_f32 v[12:13], v[12:13], v[30:31] op_sel_hi:[0,1]
	;; [unrolled: 1-line block ×4, first 2 shown]
	v_pk_fma_f32 v[6:7], v[24:25], v[6:7], v[14:15] op_sel_hi:[1,0,1]
	v_pk_fma_f32 v[4:5], v[24:25], v[4:5], v[12:13] op_sel_hi:[1,0,1]
	v_xor_b32_e32 v32, 0x80000000, v27
	v_mov_b32_e32 v33, v26
	v_pk_fma_f32 v[2:3], v[24:25], v[2:3], v[10:11] op_sel_hi:[1,0,1]
	v_pk_fma_f32 v[0:1], v[24:25], v[0:1], v[8:9] op_sel_hi:[1,0,1]
	s_waitcnt vmcnt(1)
	v_pk_fma_f32 v[6:7], v[26:27], v[16:17], v[6:7] op_sel_hi:[1,0,1]
	v_pk_fma_f32 v[4:5], v[26:27], v[18:19], v[4:5] op_sel_hi:[1,0,1]
	v_mov_b32_e32 v8, v19
	s_waitcnt vmcnt(0)
	v_pk_fma_f32 v[10:11], v[26:27], v[20:21], v[2:3] op_sel_hi:[1,0,1]
	v_pk_fma_f32 v[12:13], v[26:27], v[22:23], v[0:1] op_sel_hi:[1,0,1]
	v_mov_b32_e32 v14, v23
	v_pk_fma_f32 v[0:1], v[32:33], v[16:17], v[6:7] op_sel:[0,1,0]
	v_pk_fma_f32 v[2:3], v[32:33], v[8:9], v[4:5] op_sel_hi:[1,0,1]
	v_pk_fma_f32 v[4:5], v[32:33], v[20:21], v[10:11] op_sel:[0,1,0]
	v_pk_fma_f32 v[6:7], v[32:33], v[14:15], v[12:13] op_sel_hi:[1,0,1]
	global_store_dwordx4 v[28:29], v[0:3], off
	global_store_dwordx4 v[28:29], v[4:7], off offset:16
	s_endpgm
	.section	.rodata,"a",@progbits
	.p2align	6, 0x0
	.amdhsa_kernel _ZN9rocsparseL18bsrxmvn_4x4_kernelILj128ELj64E21rocsparse_complex_numIfEllfS2_S2_EEvT3_20rocsparse_direction_NS_24const_host_device_scalarIT1_EES3_PKS3_PKT2_SC_S9_PKT4_PKT5_S7_PT6_21rocsparse_index_base_b
		.amdhsa_group_segment_fixed_size 0
		.amdhsa_private_segment_fixed_size 0
		.amdhsa_kernarg_size 104
		.amdhsa_user_sgpr_count 2
		.amdhsa_user_sgpr_dispatch_ptr 0
		.amdhsa_user_sgpr_queue_ptr 0
		.amdhsa_user_sgpr_kernarg_segment_ptr 1
		.amdhsa_user_sgpr_dispatch_id 0
		.amdhsa_user_sgpr_kernarg_preload_length 0
		.amdhsa_user_sgpr_kernarg_preload_offset 0
		.amdhsa_user_sgpr_private_segment_size 0
		.amdhsa_uses_dynamic_stack 0
		.amdhsa_enable_private_segment 0
		.amdhsa_system_sgpr_workgroup_id_x 1
		.amdhsa_system_sgpr_workgroup_id_y 0
		.amdhsa_system_sgpr_workgroup_id_z 0
		.amdhsa_system_sgpr_workgroup_info 0
		.amdhsa_system_vgpr_workitem_id 0
		.amdhsa_next_free_vgpr 110
		.amdhsa_next_free_sgpr 30
		.amdhsa_accum_offset 112
		.amdhsa_reserve_vcc 1
		.amdhsa_float_round_mode_32 0
		.amdhsa_float_round_mode_16_64 0
		.amdhsa_float_denorm_mode_32 3
		.amdhsa_float_denorm_mode_16_64 3
		.amdhsa_dx10_clamp 1
		.amdhsa_ieee_mode 1
		.amdhsa_fp16_overflow 0
		.amdhsa_tg_split 0
		.amdhsa_exception_fp_ieee_invalid_op 0
		.amdhsa_exception_fp_denorm_src 0
		.amdhsa_exception_fp_ieee_div_zero 0
		.amdhsa_exception_fp_ieee_overflow 0
		.amdhsa_exception_fp_ieee_underflow 0
		.amdhsa_exception_fp_ieee_inexact 0
		.amdhsa_exception_int_div_zero 0
	.end_amdhsa_kernel
	.section	.text._ZN9rocsparseL18bsrxmvn_4x4_kernelILj128ELj64E21rocsparse_complex_numIfEllfS2_S2_EEvT3_20rocsparse_direction_NS_24const_host_device_scalarIT1_EES3_PKS3_PKT2_SC_S9_PKT4_PKT5_S7_PT6_21rocsparse_index_base_b,"axG",@progbits,_ZN9rocsparseL18bsrxmvn_4x4_kernelILj128ELj64E21rocsparse_complex_numIfEllfS2_S2_EEvT3_20rocsparse_direction_NS_24const_host_device_scalarIT1_EES3_PKS3_PKT2_SC_S9_PKT4_PKT5_S7_PT6_21rocsparse_index_base_b,comdat
.Lfunc_end134:
	.size	_ZN9rocsparseL18bsrxmvn_4x4_kernelILj128ELj64E21rocsparse_complex_numIfEllfS2_S2_EEvT3_20rocsparse_direction_NS_24const_host_device_scalarIT1_EES3_PKS3_PKT2_SC_S9_PKT4_PKT5_S7_PT6_21rocsparse_index_base_b, .Lfunc_end134-_ZN9rocsparseL18bsrxmvn_4x4_kernelILj128ELj64E21rocsparse_complex_numIfEllfS2_S2_EEvT3_20rocsparse_direction_NS_24const_host_device_scalarIT1_EES3_PKS3_PKT2_SC_S9_PKT4_PKT5_S7_PT6_21rocsparse_index_base_b
                                        ; -- End function
	.set _ZN9rocsparseL18bsrxmvn_4x4_kernelILj128ELj64E21rocsparse_complex_numIfEllfS2_S2_EEvT3_20rocsparse_direction_NS_24const_host_device_scalarIT1_EES3_PKS3_PKT2_SC_S9_PKT4_PKT5_S7_PT6_21rocsparse_index_base_b.num_vgpr, 110
	.set _ZN9rocsparseL18bsrxmvn_4x4_kernelILj128ELj64E21rocsparse_complex_numIfEllfS2_S2_EEvT3_20rocsparse_direction_NS_24const_host_device_scalarIT1_EES3_PKS3_PKT2_SC_S9_PKT4_PKT5_S7_PT6_21rocsparse_index_base_b.num_agpr, 0
	.set _ZN9rocsparseL18bsrxmvn_4x4_kernelILj128ELj64E21rocsparse_complex_numIfEllfS2_S2_EEvT3_20rocsparse_direction_NS_24const_host_device_scalarIT1_EES3_PKS3_PKT2_SC_S9_PKT4_PKT5_S7_PT6_21rocsparse_index_base_b.numbered_sgpr, 30
	.set _ZN9rocsparseL18bsrxmvn_4x4_kernelILj128ELj64E21rocsparse_complex_numIfEllfS2_S2_EEvT3_20rocsparse_direction_NS_24const_host_device_scalarIT1_EES3_PKS3_PKT2_SC_S9_PKT4_PKT5_S7_PT6_21rocsparse_index_base_b.num_named_barrier, 0
	.set _ZN9rocsparseL18bsrxmvn_4x4_kernelILj128ELj64E21rocsparse_complex_numIfEllfS2_S2_EEvT3_20rocsparse_direction_NS_24const_host_device_scalarIT1_EES3_PKS3_PKT2_SC_S9_PKT4_PKT5_S7_PT6_21rocsparse_index_base_b.private_seg_size, 0
	.set _ZN9rocsparseL18bsrxmvn_4x4_kernelILj128ELj64E21rocsparse_complex_numIfEllfS2_S2_EEvT3_20rocsparse_direction_NS_24const_host_device_scalarIT1_EES3_PKS3_PKT2_SC_S9_PKT4_PKT5_S7_PT6_21rocsparse_index_base_b.uses_vcc, 1
	.set _ZN9rocsparseL18bsrxmvn_4x4_kernelILj128ELj64E21rocsparse_complex_numIfEllfS2_S2_EEvT3_20rocsparse_direction_NS_24const_host_device_scalarIT1_EES3_PKS3_PKT2_SC_S9_PKT4_PKT5_S7_PT6_21rocsparse_index_base_b.uses_flat_scratch, 0
	.set _ZN9rocsparseL18bsrxmvn_4x4_kernelILj128ELj64E21rocsparse_complex_numIfEllfS2_S2_EEvT3_20rocsparse_direction_NS_24const_host_device_scalarIT1_EES3_PKS3_PKT2_SC_S9_PKT4_PKT5_S7_PT6_21rocsparse_index_base_b.has_dyn_sized_stack, 0
	.set _ZN9rocsparseL18bsrxmvn_4x4_kernelILj128ELj64E21rocsparse_complex_numIfEllfS2_S2_EEvT3_20rocsparse_direction_NS_24const_host_device_scalarIT1_EES3_PKS3_PKT2_SC_S9_PKT4_PKT5_S7_PT6_21rocsparse_index_base_b.has_recursion, 0
	.set _ZN9rocsparseL18bsrxmvn_4x4_kernelILj128ELj64E21rocsparse_complex_numIfEllfS2_S2_EEvT3_20rocsparse_direction_NS_24const_host_device_scalarIT1_EES3_PKS3_PKT2_SC_S9_PKT4_PKT5_S7_PT6_21rocsparse_index_base_b.has_indirect_call, 0
	.section	.AMDGPU.csdata,"",@progbits
; Kernel info:
; codeLenInByte = 7464
; TotalNumSgprs: 36
; NumVgprs: 110
; NumAgprs: 0
; TotalNumVgprs: 110
; ScratchSize: 0
; MemoryBound: 0
; FloatMode: 240
; IeeeMode: 1
; LDSByteSize: 0 bytes/workgroup (compile time only)
; SGPRBlocks: 4
; VGPRBlocks: 13
; NumSGPRsForWavesPerEU: 36
; NumVGPRsForWavesPerEU: 110
; AccumOffset: 112
; Occupancy: 4
; WaveLimiterHint : 1
; COMPUTE_PGM_RSRC2:SCRATCH_EN: 0
; COMPUTE_PGM_RSRC2:USER_SGPR: 2
; COMPUTE_PGM_RSRC2:TRAP_HANDLER: 0
; COMPUTE_PGM_RSRC2:TGID_X_EN: 1
; COMPUTE_PGM_RSRC2:TGID_Y_EN: 0
; COMPUTE_PGM_RSRC2:TGID_Z_EN: 0
; COMPUTE_PGM_RSRC2:TIDIG_COMP_CNT: 0
; COMPUTE_PGM_RSRC3_GFX90A:ACCUM_OFFSET: 27
; COMPUTE_PGM_RSRC3_GFX90A:TG_SPLIT: 0
	.section	.text._ZN9rocsparseL18bsrxmvn_4x4_kernelILj128ELj4E21rocsparse_complex_numIdEiidS2_S2_EEvT3_20rocsparse_direction_NS_24const_host_device_scalarIT1_EES3_PKS3_PKT2_SC_S9_PKT4_PKT5_S7_PT6_21rocsparse_index_base_b,"axG",@progbits,_ZN9rocsparseL18bsrxmvn_4x4_kernelILj128ELj4E21rocsparse_complex_numIdEiidS2_S2_EEvT3_20rocsparse_direction_NS_24const_host_device_scalarIT1_EES3_PKS3_PKT2_SC_S9_PKT4_PKT5_S7_PT6_21rocsparse_index_base_b,comdat
	.globl	_ZN9rocsparseL18bsrxmvn_4x4_kernelILj128ELj4E21rocsparse_complex_numIdEiidS2_S2_EEvT3_20rocsparse_direction_NS_24const_host_device_scalarIT1_EES3_PKS3_PKT2_SC_S9_PKT4_PKT5_S7_PT6_21rocsparse_index_base_b ; -- Begin function _ZN9rocsparseL18bsrxmvn_4x4_kernelILj128ELj4E21rocsparse_complex_numIdEiidS2_S2_EEvT3_20rocsparse_direction_NS_24const_host_device_scalarIT1_EES3_PKS3_PKT2_SC_S9_PKT4_PKT5_S7_PT6_21rocsparse_index_base_b
	.p2align	8
	.type	_ZN9rocsparseL18bsrxmvn_4x4_kernelILj128ELj4E21rocsparse_complex_numIdEiidS2_S2_EEvT3_20rocsparse_direction_NS_24const_host_device_scalarIT1_EES3_PKS3_PKT2_SC_S9_PKT4_PKT5_S7_PT6_21rocsparse_index_base_b,@function
_ZN9rocsparseL18bsrxmvn_4x4_kernelILj128ELj4E21rocsparse_complex_numIdEiidS2_S2_EEvT3_20rocsparse_direction_NS_24const_host_device_scalarIT1_EES3_PKS3_PKT2_SC_S9_PKT4_PKT5_S7_PT6_21rocsparse_index_base_b: ; @_ZN9rocsparseL18bsrxmvn_4x4_kernelILj128ELj4E21rocsparse_complex_numIdEiidS2_S2_EEvT3_20rocsparse_direction_NS_24const_host_device_scalarIT1_EES3_PKS3_PKT2_SC_S9_PKT4_PKT5_S7_PT6_21rocsparse_index_base_b
; %bb.0:
	s_load_dwordx2 s[4:5], s[0:1], 0x8
	s_load_dwordx2 s[12:13], s[0:1], 0x68
	s_add_u32 s3, s0, 8
	s_addc_u32 s8, s1, 0
	s_add_u32 s9, s0, 0x50
	s_load_dwordx2 s[6:7], s[0:1], 0x50
	s_addc_u32 s10, s1, 0
	s_waitcnt lgkmcnt(0)
	s_bitcmp1_b32 s13, 0
	s_cselect_b32 s5, s8, s5
	s_cselect_b32 s3, s3, s4
	v_mov_b32_e32 v2, s3
	v_mov_b32_e32 v3, s5
	flat_load_dwordx4 v[6:9], v[2:3]
	s_cselect_b32 s3, s10, s7
	s_cselect_b32 s4, s9, s6
	v_mov_b32_e32 v2, s4
	v_mov_b32_e32 v3, s3
	flat_load_dwordx4 v[2:5], v[2:3]
	s_waitcnt vmcnt(0) lgkmcnt(0)
	v_cmp_eq_f64_e32 vcc, 0, v[6:7]
	v_cmp_eq_f64_e64 s[4:5], 0, v[8:9]
	s_and_b64 s[8:9], vcc, s[4:5]
	s_mov_b64 s[4:5], -1
	s_and_saveexec_b64 s[6:7], s[8:9]
; %bb.1:
	v_cmp_neq_f64_e32 vcc, 1.0, v[2:3]
	v_cmp_neq_f64_e64 s[4:5], 0, v[4:5]
	s_or_b64 s[4:5], vcc, s[4:5]
	s_orn2_b64 s[4:5], s[4:5], exec
; %bb.2:
	s_or_b64 exec, exec, s[6:7]
	s_and_saveexec_b64 s[6:7], s[4:5]
	s_cbranch_execz .LBB135_8
; %bb.3:
	s_load_dwordx2 s[4:5], s[0:1], 0x20
	s_load_dwordx2 s[14:15], s[0:1], 0x0
	v_lshrrev_b32_e32 v1, 2, v0
	v_lshl_or_b32 v74, s2, 5, v1
	s_mov_b64 s[2:3], 0
	s_waitcnt lgkmcnt(0)
	s_cmp_lg_u64 s[4:5], 0
	s_cbranch_scc0 .LBB135_9
; %bb.4:
	s_load_dword s6, s[0:1], 0x18
                                        ; implicit-def: $vgpr1
	s_waitcnt lgkmcnt(0)
	v_cmp_gt_i32_e32 vcc, s6, v74
	s_and_saveexec_b64 s[6:7], vcc
	s_xor_b64 s[6:7], exec, s[6:7]
	s_cbranch_execz .LBB135_6
; %bb.5:
	v_ashrrev_i32_e32 v75, 31, v74
	v_lshl_add_u64 v[10:11], v[74:75], 2, s[4:5]
	global_load_dword v1, v[10:11], off
	s_mov_b64 s[2:3], exec
	s_waitcnt vmcnt(0)
	v_subrev_u32_e32 v1, s12, v1
.LBB135_6:
	s_or_b64 exec, exec, s[6:7]
	s_branch .LBB135_10
.LBB135_7:
	v_cmp_gt_i32_e32 vcc, s14, v74
	s_andn2_b64 s[2:3], s[2:3], exec
	s_and_b64 s[4:5], vcc, exec
	s_or_b64 s[2:3], s[2:3], s[4:5]
	s_and_b64 exec, exec, s[2:3]
	s_cbranch_execnz .LBB135_11
.LBB135_8:
	s_endpgm
.LBB135_9:
                                        ; implicit-def: $vgpr1
	s_cbranch_execnz .LBB135_7
.LBB135_10:
	v_mov_b32_e32 v74, v1
	s_and_b64 exec, exec, s[2:3]
	s_cbranch_execz .LBB135_8
.LBB135_11:
	s_load_dwordx8 s[4:11], s[0:1], 0x28
	v_ashrrev_i32_e32 v75, 31, v74
	v_lshlrev_b64 v[10:11], 2, v[74:75]
	v_and_b32_e32 v75, 3, v0
	s_waitcnt lgkmcnt(0)
	v_lshl_add_u64 v[12:13], s[4:5], 0, v[10:11]
	s_cmp_eq_u64 s[6:7], 0
	global_load_dword v101, v[12:13], off
	v_lshl_add_u64 v[12:13], v[12:13], 0, 4
	v_lshl_add_u64 v[10:11], s[6:7], 0, v[10:11]
	s_cselect_b64 vcc, -1, 0
	v_cndmask_b32_e32 v11, v11, v13, vcc
	v_cndmask_b32_e32 v10, v10, v12, vcc
	global_load_dword v1, v[10:11], off
	s_load_dwordx2 s[4:5], s[0:1], 0x48
	s_cmp_eq_u32 s15, 1
	s_waitcnt vmcnt(1)
	v_subrev_u32_e32 v0, s12, v101
	v_add_u32_e32 v78, v0, v75
	v_ashrrev_i32_e32 v79, 31, v78
	s_waitcnt vmcnt(0)
	v_subrev_u32_e32 v100, s12, v1
	v_lshlrev_b64 v[0:1], 7, v[78:79]
	v_lshl_add_u64 v[80:81], s[10:11], 0, v[0:1]
	v_cmp_lt_i32_e64 s[2:3], v78, v100
	s_cbranch_scc1 .LBB135_23
; %bb.12:
	v_mov_b64_e32 v[82:83], 0
	v_mov_b64_e32 v[92:93], 0
	;; [unrolled: 1-line block ×8, first 2 shown]
	s_and_saveexec_b64 s[6:7], s[2:3]
	s_cbranch_execz .LBB135_22
; %bb.13:
	v_add_u32_e32 v0, v101, v75
	v_subrev_u32_e32 v0, s12, v0
	v_add_u32_e32 v0, 4, v0
	v_max_i32_e32 v0, v0, v100
	v_not_b32_e32 v1, v101
	v_add3_u32 v0, s12, v0, v1
	v_sub_u32_e32 v10, v0, v75
	v_and_b32_e32 v0, 12, v10
	v_cmp_ne_u32_e32 vcc, 12, v0
	v_mov_b64_e32 v[0:1], 0
	v_mov_b64_e32 v[76:77], 0
	;; [unrolled: 1-line block ×9, first 2 shown]
	v_mov_b32_e32 v94, v78
	s_and_saveexec_b64 s[10:11], vcc
	s_cbranch_execz .LBB135_17
; %bb.14:
	v_lshrrev_b32_e32 v0, 2, v10
	v_add_u32_e32 v0, 1, v0
	v_and_b32_e32 v0, 3, v0
	v_sub_u32_e32 v11, 0, v0
	v_mov_b64_e32 v[82:83], 0
	s_mov_b64 s[14:15], 0
	s_mov_b64 s[16:17], 0x200
	v_mov_b32_e32 v94, v78
	v_mov_b64_e32 v[96:97], v[80:81]
	v_mov_b64_e32 v[92:93], 0
	;; [unrolled: 1-line block ×8, first 2 shown]
.LBB135_15:                             ; =>This Inner Loop Header: Depth=1
	v_ashrrev_i32_e32 v95, 31, v94
	v_lshl_add_u64 v[44:45], v[94:95], 2, s[8:9]
	global_load_dword v46, v[44:45], off
	global_load_dwordx4 v[12:15], v[96:97], off offset:48
	global_load_dwordx4 v[16:19], v[96:97], off offset:32
	;; [unrolled: 1-line block ×3, first 2 shown]
	global_load_dwordx4 v[24:27], v[96:97], off
	global_load_dwordx4 v[28:31], v[96:97], off offset:112
	global_load_dwordx4 v[32:35], v[96:97], off offset:96
	;; [unrolled: 1-line block ×4, first 2 shown]
	v_add_co_u32_e32 v11, vcc, 1, v11
	v_lshl_add_u64 v[96:97], v[96:97], 0, s[16:17]
	v_add_u32_e32 v94, 4, v94
	s_or_b64 s[14:15], vcc, s[14:15]
	s_waitcnt vmcnt(8)
	v_subrev_u32_e32 v44, s12, v46
	v_lshlrev_b32_e32 v44, 2, v44
	v_ashrrev_i32_e32 v45, 31, v44
	s_waitcnt lgkmcnt(0)
	v_lshl_add_u64 v[60:61], v[44:45], 4, s[4:5]
	global_load_dwordx4 v[44:47], v[60:61], off
	global_load_dwordx4 v[48:51], v[60:61], off offset:16
	global_load_dwordx4 v[52:55], v[60:61], off offset:32
	;; [unrolled: 1-line block ×3, first 2 shown]
	s_waitcnt vmcnt(3)
	v_fmac_f64_e32 v[92:93], v[24:25], v[44:45]
	v_fmac_f64_e32 v[82:83], 0, v[44:45]
	v_fmac_f64_e32 v[90:91], v[16:17], v[44:45]
	v_fmac_f64_e32 v[86:87], 0, v[44:45]
	v_fmac_f64_e32 v[88:89], v[40:41], v[44:45]
	v_fmac_f64_e32 v[84:85], 0, v[44:45]
	v_fmac_f64_e32 v[0:1], v[32:33], v[44:45]
	v_fmac_f64_e32 v[76:77], 0, v[44:45]
	v_fmac_f64_e32 v[92:93], 0x80000000, v[46:47]
	v_fmac_f64_e32 v[82:83], v[24:25], v[46:47]
	v_fmac_f64_e32 v[90:91], 0x80000000, v[46:47]
	v_fmac_f64_e32 v[86:87], v[16:17], v[46:47]
	v_fmac_f64_e32 v[88:89], 0x80000000, v[46:47]
	v_fmac_f64_e32 v[84:85], v[40:41], v[46:47]
	v_fmac_f64_e32 v[0:1], 0x80000000, v[46:47]
	v_fmac_f64_e32 v[76:77], v[32:33], v[46:47]
	s_waitcnt vmcnt(2)
	v_fmac_f64_e32 v[92:93], v[26:27], v[48:49]
	v_fmac_f64_e32 v[82:83], 0, v[48:49]
	v_fmac_f64_e32 v[90:91], v[18:19], v[48:49]
	v_fmac_f64_e32 v[86:87], 0, v[48:49]
	v_fmac_f64_e32 v[88:89], v[42:43], v[48:49]
	v_fmac_f64_e32 v[84:85], 0, v[48:49]
	v_fmac_f64_e32 v[0:1], v[34:35], v[48:49]
	v_fmac_f64_e32 v[76:77], 0, v[48:49]
	v_fmac_f64_e32 v[82:83], v[26:27], v[50:51]
	v_fmac_f64_e32 v[86:87], v[18:19], v[50:51]
	v_fmac_f64_e32 v[92:93], 0x80000000, v[50:51]
	v_fmac_f64_e32 v[90:91], 0x80000000, v[50:51]
	v_fmac_f64_e32 v[88:89], 0x80000000, v[50:51]
	v_fmac_f64_e32 v[84:85], v[42:43], v[50:51]
	v_fmac_f64_e32 v[0:1], 0x80000000, v[50:51]
	v_fmac_f64_e32 v[76:77], v[34:35], v[50:51]
	;; [unrolled: 17-line block ×4, first 2 shown]
	s_andn2_b64 exec, exec, s[14:15]
	s_cbranch_execnz .LBB135_15
; %bb.16:
	s_or_b64 exec, exec, s[14:15]
.LBB135_17:
	s_or_b64 exec, exec, s[10:11]
	v_cmp_lt_u32_e32 vcc, 11, v10
	s_and_saveexec_b64 s[10:11], vcc
	s_cbranch_execz .LBB135_21
; %bb.18:
	s_mov_b64 s[14:15], 0
	s_mov_b64 s[16:17], 0x800
.LBB135_19:                             ; =>This Inner Loop Header: Depth=1
	v_ashrrev_i32_e32 v95, 31, v94
	v_lshl_add_u64 v[98:99], v[94:95], 2, s[8:9]
	global_load_dwordx4 v[14:17], v[96:97], off offset:48
	global_load_dwordx4 v[10:13], v[96:97], off offset:32
	;; [unrolled: 1-line block ×3, first 2 shown]
	global_load_dwordx4 v[64:67], v[96:97], off
	global_load_dwordx4 v[22:25], v[96:97], off offset:112
	global_load_dwordx4 v[46:49], v[96:97], off offset:96
	;; [unrolled: 1-line block ×10, first 2 shown]
	global_load_dword v62, v[98:99], off
	global_load_dwordx4 v[102:105], v[96:97], off offset:592
	global_load_dwordx4 v[106:109], v[96:97], off offset:576
	v_add_u32_e32 v94, 16, v94
	v_cmp_ge_i32_e32 vcc, v94, v100
	s_or_b64 s[14:15], vcc, s[14:15]
	s_waitcnt vmcnt(2)
	v_subrev_u32_e32 v62, s12, v62
	v_lshlrev_b32_e32 v62, 2, v62
	v_ashrrev_i32_e32 v63, 31, v62
	s_waitcnt lgkmcnt(0)
	v_lshl_add_u64 v[68:69], v[62:63], 4, s[4:5]
	global_load_dwordx4 v[70:73], v[68:69], off
	s_waitcnt vmcnt(0)
	v_fmac_f64_e32 v[82:83], 0, v[70:71]
	v_fmac_f64_e32 v[92:93], v[64:65], v[70:71]
	;; [unrolled: 1-line block ×3, first 2 shown]
	global_load_dwordx4 v[62:65], v[68:69], off offset:16
	v_fmac_f64_e32 v[76:77], 0, v[70:71]
	v_fmac_f64_e32 v[0:1], v[46:47], v[70:71]
	;; [unrolled: 1-line block ×13, first 2 shown]
	global_load_dwordx4 v[70:73], v[96:97], off offset:1056
	s_waitcnt vmcnt(1)
	v_fmac_f64_e32 v[76:77], 0, v[62:63]
	v_fmac_f64_e32 v[0:1], v[48:49], v[62:63]
	;; [unrolled: 1-line block ×3, first 2 shown]
	global_load_dwordx4 v[46:49], v[68:69], off offset:32
	v_fmac_f64_e32 v[92:93], v[66:67], v[62:63]
	v_fmac_f64_e32 v[82:83], 0, v[62:63]
	;; [unrolled: 1-line block ×13, first 2 shown]
	global_load_dwordx4 v[64:67], v[68:69], off offset:48
	global_load_dwordx4 v[10:13], v[96:97], off offset:1072
	global_load_dwordx4 v[50:53], v[96:97], off offset:1040
	s_waitcnt vmcnt(3)
	v_fmac_f64_e32 v[82:83], 0, v[46:47]
	v_fmac_f64_e32 v[92:93], v[18:19], v[46:47]
	;; [unrolled: 1-line block ×16, first 2 shown]
	s_waitcnt vmcnt(2)
	v_fmac_f64_e32 v[82:83], 0, v[64:65]
	v_fmac_f64_e32 v[92:93], v[20:21], v[64:65]
	;; [unrolled: 1-line block ×5, first 2 shown]
	global_load_dwordx4 v[46:49], v[96:97], off offset:1024
	v_fmac_f64_e32 v[88:89], v[32:33], v[64:65]
	v_fmac_f64_e32 v[84:85], 0, v[64:65]
	global_load_dwordx4 v[18:21], v[96:97], off offset:1136
	v_fmac_f64_e32 v[0:1], v[24:25], v[64:65]
	v_fmac_f64_e32 v[76:77], 0, v[64:65]
	global_load_dwordx4 v[62:65], v[96:97], off offset:1120
	global_load_dword v14, v[98:99], off offset:16
	v_fmac_f64_e32 v[86:87], v[16:17], v[66:67]
	v_fmac_f64_e32 v[76:77], v[24:25], v[66:67]
	;; [unrolled: 1-line block ×7, first 2 shown]
	global_load_dwordx4 v[30:33], v[96:97], off offset:1568
	global_load_dwordx4 v[66:69], v[96:97], off offset:1088
	s_waitcnt vmcnt(2)
	v_subrev_u32_e32 v14, s12, v14
	v_lshlrev_b32_e32 v14, 2, v14
	v_ashrrev_i32_e32 v15, 31, v14
	v_lshl_add_u64 v[110:111], v[14:15], 4, s[4:5]
	global_load_dwordx4 v[14:17], v[110:111], off
	global_load_dwordx4 v[22:25], v[110:111], off offset:16
	s_waitcnt vmcnt(1)
	v_fmac_f64_e32 v[92:93], v[34:35], v[14:15]
	v_fmac_f64_e32 v[82:83], 0, v[14:15]
	;; [unrolled: 1-line block ×16, first 2 shown]
	s_waitcnt vmcnt(0)
	v_fmac_f64_e32 v[92:93], v[36:37], v[22:23]
	v_fmac_f64_e32 v[82:83], 0, v[22:23]
	;; [unrolled: 1-line block ×16, first 2 shown]
	global_load_dwordx4 v[22:25], v[110:111], off offset:32
	global_load_dwordx4 v[58:61], v[110:111], off offset:48
	;; [unrolled: 1-line block ×4, first 2 shown]
	s_waitcnt vmcnt(3)
	v_fmac_f64_e32 v[82:83], 0, v[22:23]
	v_fmac_f64_e32 v[86:87], 0, v[22:23]
	;; [unrolled: 1-line block ×12, first 2 shown]
	s_waitcnt vmcnt(2)
	v_fmac_f64_e32 v[82:83], 0, v[58:59]
	v_fmac_f64_e32 v[86:87], 0, v[58:59]
	;; [unrolled: 1-line block ×8, first 2 shown]
	global_load_dwordx4 v[22:25], v[96:97], off offset:1552
	global_load_dwordx4 v[38:41], v[96:97], off offset:1536
	v_fmac_f64_e32 v[90:91], v[28:29], v[58:59]
	v_fmac_f64_e32 v[86:87], v[28:29], v[60:61]
	global_load_dwordx4 v[26:29], v[96:97], off offset:1648
	global_load_dwordx4 v[42:45], v[96:97], off offset:1632
	global_load_dword v54, v[98:99], off offset:32
	v_fmac_f64_e32 v[76:77], 0, v[58:59]
	v_fmac_f64_e32 v[0:1], v[56:57], v[58:59]
	;; [unrolled: 1-line block ×10, first 2 shown]
	s_waitcnt vmcnt(0)
	v_subrev_u32_e32 v54, s12, v54
	v_lshlrev_b32_e32 v54, 2, v54
	v_ashrrev_i32_e32 v55, 31, v54
	v_lshl_add_u64 v[102:103], v[54:55], 4, s[4:5]
	global_load_dwordx4 v[54:57], v[102:103], off
	global_load_dwordx4 v[58:61], v[102:103], off offset:16
	s_waitcnt vmcnt(1)
	v_fmac_f64_e32 v[82:83], 0, v[54:55]
	v_fmac_f64_e32 v[92:93], v[46:47], v[54:55]
	;; [unrolled: 1-line block ×10, first 2 shown]
	s_waitcnt vmcnt(0)
	v_fmac_f64_e32 v[82:83], 0, v[58:59]
	v_fmac_f64_e32 v[90:91], 0x80000000, v[56:57]
	v_fmac_f64_e32 v[86:87], v[70:71], v[56:57]
	v_fmac_f64_e32 v[88:89], 0x80000000, v[56:57]
	v_fmac_f64_e32 v[84:85], v[66:67], v[56:57]
	v_fmac_f64_e32 v[0:1], 0x80000000, v[56:57]
	v_fmac_f64_e32 v[76:77], v[62:63], v[56:57]
	v_fmac_f64_e32 v[92:93], v[48:49], v[58:59]
	v_fmac_f64_e32 v[82:83], v[48:49], v[60:61]
	global_load_dwordx4 v[46:49], v[96:97], off offset:1616
	global_load_dwordx4 v[54:57], v[96:97], off offset:1600
	global_load_dword v62, v[98:99], off offset:48
	v_fmac_f64_e32 v[84:85], 0, v[58:59]
	v_fmac_f64_e32 v[88:89], v[68:69], v[58:59]
	;; [unrolled: 1-line block ×3, first 2 shown]
	global_load_dwordx4 v[66:69], v[102:103], off offset:32
	v_fmac_f64_e32 v[86:87], 0, v[58:59]
	v_fmac_f64_e32 v[90:91], v[72:73], v[58:59]
	;; [unrolled: 1-line block ×3, first 2 shown]
	global_load_dwordx4 v[70:73], v[102:103], off offset:48
	v_fmac_f64_e32 v[0:1], v[64:65], v[58:59]
	v_fmac_f64_e32 v[76:77], 0, v[58:59]
	;; [unrolled: 1-line block ×7, first 2 shown]
	v_lshl_add_u64 v[96:97], v[96:97], 0, s[16:17]
	s_waitcnt vmcnt(2)
	v_subrev_u32_e32 v62, s12, v62
	v_lshlrev_b32_e32 v62, 2, v62
	v_ashrrev_i32_e32 v63, 31, v62
	v_lshl_add_u64 v[98:99], v[62:63], 4, s[4:5]
	global_load_dwordx4 v[62:65], v[98:99], off
	s_waitcnt vmcnt(2)
	v_fmac_f64_e32 v[92:93], v[50:51], v[66:67]
	v_fmac_f64_e32 v[82:83], 0, v[66:67]
	;; [unrolled: 1-line block ×16, first 2 shown]
	global_load_dwordx4 v[66:69], v[98:99], off offset:16
	s_waitcnt vmcnt(2)
	v_fmac_f64_e32 v[82:83], 0, v[70:71]
	v_fmac_f64_e32 v[92:93], v[52:53], v[70:71]
	;; [unrolled: 1-line block ×3, first 2 shown]
	global_load_dwordx4 v[58:61], v[98:99], off offset:32
	global_load_dwordx4 v[50:53], v[98:99], off offset:48
	v_fmac_f64_e32 v[90:91], v[12:13], v[70:71]
	v_fmac_f64_e32 v[86:87], 0, v[70:71]
	v_fmac_f64_e32 v[88:89], v[36:37], v[70:71]
	v_fmac_f64_e32 v[84:85], 0, v[70:71]
	v_fmac_f64_e32 v[0:1], v[20:21], v[70:71]
	v_fmac_f64_e32 v[76:77], 0, v[70:71]
	v_fmac_f64_e32 v[92:93], 0x80000000, v[72:73]
	v_fmac_f64_e32 v[90:91], 0x80000000, v[72:73]
	v_fmac_f64_e32 v[86:87], v[12:13], v[72:73]
	v_fmac_f64_e32 v[88:89], 0x80000000, v[72:73]
	v_fmac_f64_e32 v[84:85], v[36:37], v[72:73]
	v_fmac_f64_e32 v[0:1], 0x80000000, v[72:73]
	v_fmac_f64_e32 v[76:77], v[20:21], v[72:73]
	s_waitcnt vmcnt(3)
	v_fmac_f64_e32 v[92:93], v[38:39], v[62:63]
	v_fmac_f64_e32 v[82:83], 0, v[62:63]
	v_fmac_f64_e32 v[90:91], v[30:31], v[62:63]
	v_fmac_f64_e32 v[86:87], 0, v[62:63]
	v_fmac_f64_e32 v[88:89], v[54:55], v[62:63]
	v_fmac_f64_e32 v[84:85], 0, v[62:63]
	v_fmac_f64_e32 v[0:1], v[42:43], v[62:63]
	v_fmac_f64_e32 v[76:77], 0, v[62:63]
	v_fmac_f64_e32 v[92:93], 0x80000000, v[64:65]
	v_fmac_f64_e32 v[82:83], v[38:39], v[64:65]
	v_fmac_f64_e32 v[90:91], 0x80000000, v[64:65]
	v_fmac_f64_e32 v[86:87], v[30:31], v[64:65]
	v_fmac_f64_e32 v[88:89], 0x80000000, v[64:65]
	v_fmac_f64_e32 v[84:85], v[54:55], v[64:65]
	v_fmac_f64_e32 v[0:1], 0x80000000, v[64:65]
	v_fmac_f64_e32 v[76:77], v[42:43], v[64:65]
	s_waitcnt vmcnt(2)
	v_fmac_f64_e32 v[92:93], v[40:41], v[66:67]
	v_fmac_f64_e32 v[82:83], 0, v[66:67]
	v_fmac_f64_e32 v[90:91], v[32:33], v[66:67]
	;; [unrolled: 17-line block ×4, first 2 shown]
	v_fmac_f64_e32 v[86:87], 0, v[50:51]
	v_fmac_f64_e32 v[88:89], v[48:49], v[50:51]
	;; [unrolled: 1-line block ×13, first 2 shown]
	s_andn2_b64 exec, exec, s[14:15]
	s_cbranch_execnz .LBB135_19
; %bb.20:
	s_or_b64 exec, exec, s[14:15]
.LBB135_21:
	s_or_b64 exec, exec, s[10:11]
.LBB135_22:
	s_or_b64 exec, exec, s[6:7]
	s_cbranch_execz .LBB135_24
	s_branch .LBB135_35
.LBB135_23:
                                        ; implicit-def: $vgpr82_vgpr83
                                        ; implicit-def: $vgpr92_vgpr93
                                        ; implicit-def: $vgpr86_vgpr87
                                        ; implicit-def: $vgpr90_vgpr91
                                        ; implicit-def: $vgpr84_vgpr85
                                        ; implicit-def: $vgpr88_vgpr89
                                        ; implicit-def: $vgpr76_vgpr77
                                        ; implicit-def: $vgpr0_vgpr1
.LBB135_24:
	v_mov_b64_e32 v[82:83], 0
	v_mov_b64_e32 v[92:93], 0
	;; [unrolled: 1-line block ×8, first 2 shown]
	s_and_saveexec_b64 s[6:7], s[2:3]
	s_cbranch_execz .LBB135_34
; %bb.25:
	v_add_u32_e32 v0, v101, v75
	v_subrev_u32_e32 v0, s12, v0
	v_add_u32_e32 v0, 4, v0
	v_max_i32_e32 v0, v0, v100
	v_not_b32_e32 v1, v101
	v_add3_u32 v0, s12, v0, v1
	v_sub_u32_e32 v10, v0, v75
	v_and_b32_e32 v0, 12, v10
	v_cmp_ne_u32_e32 vcc, 12, v0
	v_mov_b64_e32 v[0:1], 0
	v_mov_b64_e32 v[76:77], 0
	;; [unrolled: 1-line block ×8, first 2 shown]
	s_and_saveexec_b64 s[2:3], vcc
	s_cbranch_execz .LBB135_29
; %bb.26:
	v_lshrrev_b32_e32 v0, 2, v10
	v_add_u32_e32 v0, 1, v0
	v_and_b32_e32 v0, 3, v0
	v_sub_u32_e32 v11, 0, v0
	v_mov_b64_e32 v[82:83], 0
	s_mov_b64 s[10:11], 0
	s_mov_b64 s[14:15], 0x200
	v_mov_b64_e32 v[92:93], 0
	v_mov_b64_e32 v[86:87], 0
	;; [unrolled: 1-line block ×7, first 2 shown]
.LBB135_27:                             ; =>This Inner Loop Header: Depth=1
	v_ashrrev_i32_e32 v79, 31, v78
	v_lshl_add_u64 v[40:41], v[78:79], 2, s[8:9]
	global_load_dword v42, v[40:41], off
	global_load_dwordx4 v[12:15], v[80:81], off offset:48
	global_load_dwordx4 v[16:19], v[80:81], off offset:32
	global_load_dwordx4 v[20:23], v[80:81], off offset:16
	global_load_dwordx4 v[24:27], v[80:81], off
	global_load_dwordx4 v[28:31], v[80:81], off offset:96
	global_load_dwordx4 v[32:35], v[80:81], off offset:80
	;; [unrolled: 1-line block ×3, first 2 shown]
	v_add_co_u32_e32 v11, vcc, 1, v11
	v_add_u32_e32 v78, 4, v78
	s_or_b64 s[10:11], vcc, s[10:11]
	s_waitcnt vmcnt(7)
	v_subrev_u32_e32 v40, s12, v42
	v_lshlrev_b32_e32 v40, 2, v40
	v_ashrrev_i32_e32 v41, 31, v40
	s_waitcnt lgkmcnt(0)
	v_lshl_add_u64 v[60:61], v[40:41], 4, s[4:5]
	global_load_dwordx4 v[40:43], v[60:61], off
	global_load_dwordx4 v[44:47], v[60:61], off offset:16
	global_load_dwordx4 v[48:51], v[60:61], off offset:32
	;; [unrolled: 1-line block ×4, first 2 shown]
	v_lshl_add_u64 v[80:81], v[80:81], 0, s[14:15]
	s_waitcnt vmcnt(4)
	v_fmac_f64_e32 v[92:93], v[24:25], v[40:41]
	v_fmac_f64_e32 v[82:83], 0, v[40:41]
	v_fmac_f64_e32 v[90:91], v[26:27], v[40:41]
	v_fmac_f64_e32 v[86:87], 0, v[40:41]
	v_fmac_f64_e32 v[88:89], v[20:21], v[40:41]
	v_fmac_f64_e32 v[84:85], 0, v[40:41]
	v_fmac_f64_e32 v[0:1], v[22:23], v[40:41]
	v_fmac_f64_e32 v[76:77], 0, v[40:41]
	v_fmac_f64_e32 v[92:93], 0x80000000, v[42:43]
	v_fmac_f64_e32 v[82:83], v[24:25], v[42:43]
	v_fmac_f64_e32 v[90:91], 0x80000000, v[42:43]
	v_fmac_f64_e32 v[86:87], v[26:27], v[42:43]
	v_fmac_f64_e32 v[88:89], 0x80000000, v[42:43]
	v_fmac_f64_e32 v[84:85], v[20:21], v[42:43]
	v_fmac_f64_e32 v[0:1], 0x80000000, v[42:43]
	v_fmac_f64_e32 v[76:77], v[22:23], v[42:43]
	s_waitcnt vmcnt(3)
	v_fmac_f64_e32 v[92:93], v[16:17], v[44:45]
	v_fmac_f64_e32 v[82:83], 0, v[44:45]
	v_fmac_f64_e32 v[90:91], v[18:19], v[44:45]
	v_fmac_f64_e32 v[86:87], 0, v[44:45]
	v_fmac_f64_e32 v[88:89], v[12:13], v[44:45]
	v_fmac_f64_e32 v[84:85], 0, v[44:45]
	v_fmac_f64_e32 v[0:1], v[14:15], v[44:45]
	v_fmac_f64_e32 v[76:77], 0, v[44:45]
	v_fmac_f64_e32 v[92:93], 0x80000000, v[46:47]
	v_fmac_f64_e32 v[82:83], v[16:17], v[46:47]
	v_fmac_f64_e32 v[90:91], 0x80000000, v[46:47]
	v_fmac_f64_e32 v[86:87], v[18:19], v[46:47]
	v_fmac_f64_e32 v[88:89], 0x80000000, v[46:47]
	v_fmac_f64_e32 v[84:85], v[12:13], v[46:47]
	v_fmac_f64_e32 v[0:1], 0x80000000, v[46:47]
	v_fmac_f64_e32 v[76:77], v[14:15], v[46:47]
	;; [unrolled: 17-line block ×3, first 2 shown]
	s_waitcnt vmcnt(1)
	v_fmac_f64_e32 v[92:93], v[28:29], v[52:53]
	v_fmac_f64_e32 v[82:83], 0, v[52:53]
	;; [unrolled: 1-line block ×4, first 2 shown]
	s_waitcnt vmcnt(0)
	v_fmac_f64_e32 v[88:89], v[56:57], v[52:53]
	v_fmac_f64_e32 v[84:85], 0, v[52:53]
	;; [unrolled: 1-line block ×12, first 2 shown]
	s_andn2_b64 exec, exec, s[10:11]
	s_cbranch_execnz .LBB135_27
; %bb.28:
	s_or_b64 exec, exec, s[10:11]
.LBB135_29:
	s_or_b64 exec, exec, s[2:3]
	v_cmp_lt_u32_e32 vcc, 11, v10
	s_and_saveexec_b64 s[2:3], vcc
	s_cbranch_execz .LBB135_33
; %bb.30:
	s_mov_b64 s[10:11], 0
	s_mov_b64 s[14:15], 0x800
.LBB135_31:                             ; =>This Inner Loop Header: Depth=1
	v_ashrrev_i32_e32 v79, 31, v78
	v_lshl_add_u64 v[50:51], v[78:79], 2, s[8:9]
	global_load_dwordx4 v[10:13], v[80:81], off offset:48
	global_load_dwordx4 v[14:17], v[80:81], off offset:32
	;; [unrolled: 1-line block ×3, first 2 shown]
	global_load_dwordx4 v[58:61], v[80:81], off
	global_load_dwordx4 v[18:21], v[80:81], off offset:112
	global_load_dwordx4 v[30:33], v[80:81], off offset:96
	;; [unrolled: 1-line block ×7, first 2 shown]
	global_load_dword v52, v[50:51], off
	global_load_dword v56, v[50:51], off offset:16
	global_load_dword v63, v[50:51], off offset:32
	;; [unrolled: 1-line block ×3, first 2 shown]
	global_load_dwordx4 v[64:67], v[80:81], off offset:608
	v_add_u32_e32 v78, 16, v78
	v_cmp_ge_i32_e32 vcc, v78, v100
	s_or_b64 s[10:11], vcc, s[10:11]
	global_load_dwordx4 v[68:71], v[80:81], off offset:576
	s_waitcnt vmcnt(5)
	v_subrev_u32_e32 v50, s12, v52
	v_lshlrev_b32_e32 v50, 2, v50
	v_ashrrev_i32_e32 v51, 31, v50
	s_waitcnt lgkmcnt(0)
	v_lshl_add_u64 v[54:55], v[50:51], 4, s[4:5]
	global_load_dwordx4 v[50:53], v[54:55], off
	s_waitcnt vmcnt(3)
	v_subrev_u32_e32 v62, s12, v62
	s_waitcnt vmcnt(0)
	v_fmac_f64_e32 v[92:93], v[58:59], v[50:51]
	v_fmac_f64_e32 v[82:83], 0, v[50:51]
	;; [unrolled: 1-line block ×16, first 2 shown]
	global_load_dwordx4 v[50:53], v[54:55], off offset:16
	global_load_dwordx4 v[58:61], v[80:81], off offset:512
	;; [unrolled: 1-line block ×3, first 2 shown]
	s_waitcnt vmcnt(2)
	v_fmac_f64_e32 v[82:83], 0, v[50:51]
	v_fmac_f64_e32 v[86:87], 0, v[50:51]
	;; [unrolled: 1-line block ×6, first 2 shown]
	global_load_dwordx4 v[14:17], v[54:55], off offset:32
	v_fmac_f64_e32 v[88:89], v[10:11], v[50:51]
	v_fmac_f64_e32 v[84:85], 0, v[50:51]
	;; [unrolled: 1-line block ×10, first 2 shown]
	global_load_dwordx4 v[10:13], v[80:81], off offset:592
	s_waitcnt vmcnt(1)
	v_fmac_f64_e32 v[92:93], v[46:47], v[14:15]
	v_fmac_f64_e32 v[82:83], 0, v[14:15]
	;; [unrolled: 1-line block ×12, first 2 shown]
	global_load_dwordx4 v[38:41], v[80:81], off offset:1072
	v_fmac_f64_e32 v[92:93], 0x80000000, v[16:17]
	v_fmac_f64_e32 v[90:91], 0x80000000, v[16:17]
	;; [unrolled: 1-line block ×4, first 2 shown]
	global_load_dwordx4 v[46:49], v[80:81], off offset:1056
	global_load_dwordx4 v[14:17], v[54:55], off offset:48
	;; [unrolled: 1-line block ×4, first 2 shown]
	s_waitcnt vmcnt(2)
	v_fmac_f64_e32 v[82:83], 0, v[14:15]
	v_fmac_f64_e32 v[92:93], v[30:31], v[14:15]
	;; [unrolled: 1-line block ×3, first 2 shown]
	v_subrev_u32_e32 v30, s12, v56
	v_fmac_f64_e32 v[90:91], v[32:33], v[14:15]
	v_fmac_f64_e32 v[86:87], 0, v[14:15]
	;; [unrolled: 1-line block ×6, first 2 shown]
	v_lshlrev_b32_e32 v14, 2, v30
	v_ashrrev_i32_e32 v15, 31, v14
	v_fmac_f64_e32 v[84:85], v[18:19], v[16:17]
	v_lshl_add_u64 v[18:19], v[14:15], 4, s[4:5]
	v_fmac_f64_e32 v[86:87], v[32:33], v[16:17]
	v_fmac_f64_e32 v[76:77], v[20:21], v[16:17]
	;; [unrolled: 1-line block ×6, first 2 shown]
	global_load_dwordx4 v[14:17], v[18:19], off
	global_load_dwordx4 v[30:33], v[80:81], off offset:1136
	global_load_dwordx4 v[54:57], v[80:81], off offset:1104
	s_waitcnt vmcnt(2)
	v_fmac_f64_e32 v[92:93], v[58:59], v[14:15]
	v_fmac_f64_e32 v[82:83], 0, v[14:15]
	v_fmac_f64_e32 v[90:91], v[60:61], v[14:15]
	v_fmac_f64_e32 v[86:87], 0, v[14:15]
	v_fmac_f64_e32 v[88:89], v[42:43], v[14:15]
	v_fmac_f64_e32 v[84:85], 0, v[14:15]
	v_fmac_f64_e32 v[0:1], v[44:45], v[14:15]
	v_fmac_f64_e32 v[76:77], 0, v[14:15]
	v_fmac_f64_e32 v[82:83], v[58:59], v[16:17]
	v_fmac_f64_e32 v[86:87], v[60:61], v[16:17]
	v_fmac_f64_e32 v[84:85], v[42:43], v[16:17]
	v_fmac_f64_e32 v[76:77], v[44:45], v[16:17]
	v_fmac_f64_e32 v[92:93], 0x80000000, v[16:17]
	v_fmac_f64_e32 v[90:91], 0x80000000, v[16:17]
	v_fmac_f64_e32 v[88:89], 0x80000000, v[16:17]
	v_fmac_f64_e32 v[0:1], 0x80000000, v[16:17]
	global_load_dwordx4 v[14:17], v[18:19], off offset:16
	global_load_dwordx4 v[42:45], v[80:81], off offset:1120
	;; [unrolled: 1-line block ×3, first 2 shown]
	s_waitcnt vmcnt(2)
	v_fmac_f64_e32 v[92:93], v[34:35], v[14:15]
	v_fmac_f64_e32 v[82:83], 0, v[14:15]
	;; [unrolled: 1-line block ×16, first 2 shown]
	global_load_dwordx4 v[14:17], v[18:19], off offset:32
	s_waitcnt vmcnt(0)
	v_fmac_f64_e32 v[92:93], v[68:69], v[14:15]
	v_fmac_f64_e32 v[82:83], 0, v[14:15]
	;; [unrolled: 1-line block ×12, first 2 shown]
	global_load_dwordx4 v[10:13], v[80:81], off offset:1584
	v_fmac_f64_e32 v[92:93], 0x80000000, v[16:17]
	v_fmac_f64_e32 v[90:91], 0x80000000, v[16:17]
	;; [unrolled: 1-line block ×4, first 2 shown]
	global_load_dwordx4 v[14:17], v[80:81], off offset:1568
	global_load_dwordx4 v[26:29], v[18:19], off offset:48
	;; [unrolled: 1-line block ×3, first 2 shown]
	s_waitcnt vmcnt(1)
	v_fmac_f64_e32 v[92:93], v[64:65], v[26:27]
	v_fmac_f64_e32 v[82:83], 0, v[26:27]
	;; [unrolled: 1-line block ×8, first 2 shown]
	v_subrev_u32_e32 v26, s12, v63
	v_lshlrev_b32_e32 v26, 2, v26
	v_ashrrev_i32_e32 v27, 31, v26
	v_lshl_add_u64 v[68:69], v[26:27], 4, s[4:5]
	v_fmac_f64_e32 v[82:83], v[64:65], v[28:29]
	v_fmac_f64_e32 v[86:87], v[66:67], v[28:29]
	global_load_dwordx4 v[64:67], v[68:69], off
	v_fmac_f64_e32 v[84:85], v[22:23], v[28:29]
	v_fmac_f64_e32 v[76:77], v[24:25], v[28:29]
	;; [unrolled: 1-line block ×6, first 2 shown]
	global_load_dwordx4 v[18:21], v[80:81], off offset:1552
	global_load_dwordx4 v[22:25], v[80:81], off offset:1536
	global_load_dwordx4 v[26:29], v[80:81], off offset:1632
	s_waitcnt vmcnt(3)
	v_fmac_f64_e32 v[84:85], 0, v[64:65]
	v_fmac_f64_e32 v[76:77], 0, v[64:65]
	;; [unrolled: 1-line block ×6, first 2 shown]
	global_load_dwordx4 v[50:53], v[68:69], off offset:16
	v_fmac_f64_e32 v[82:83], 0, v[64:65]
	v_fmac_f64_e32 v[86:87], 0, v[64:65]
	;; [unrolled: 1-line block ×10, first 2 shown]
	s_waitcnt vmcnt(0)
	v_fmac_f64_e32 v[84:85], 0, v[50:51]
	v_fmac_f64_e32 v[88:89], v[38:39], v[50:51]
	;; [unrolled: 1-line block ×3, first 2 shown]
	v_lshlrev_b32_e32 v38, 2, v62
	v_fmac_f64_e32 v[82:83], 0, v[50:51]
	v_fmac_f64_e32 v[86:87], 0, v[50:51]
	v_fmac_f64_e32 v[76:77], 0, v[50:51]
	v_ashrrev_i32_e32 v39, 31, v38
	v_fmac_f64_e32 v[92:93], v[46:47], v[50:51]
	v_fmac_f64_e32 v[90:91], v[48:49], v[50:51]
	;; [unrolled: 1-line block ×4, first 2 shown]
	global_load_dwordx4 v[46:49], v[80:81], off offset:1600
	v_fmac_f64_e32 v[0:1], v[40:41], v[50:51]
	v_fmac_f64_e32 v[76:77], v[40:41], v[52:53]
	v_lshl_add_u64 v[66:67], v[38:39], 4, s[4:5]
	global_load_dwordx4 v[38:41], v[68:69], off offset:32
	global_load_dwordx4 v[62:65], v[68:69], off offset:48
	v_fmac_f64_e32 v[92:93], 0x80000000, v[52:53]
	v_fmac_f64_e32 v[90:91], 0x80000000, v[52:53]
	;; [unrolled: 1-line block ×4, first 2 shown]
	global_load_dwordx4 v[50:53], v[66:67], off offset:32
	s_waitcnt vmcnt(2)
	v_fmac_f64_e32 v[82:83], 0, v[38:39]
	v_fmac_f64_e32 v[86:87], 0, v[38:39]
	;; [unrolled: 1-line block ×6, first 2 shown]
	global_load_dwordx4 v[58:61], v[66:67], off
	v_fmac_f64_e32 v[84:85], 0, v[38:39]
	v_fmac_f64_e32 v[76:77], 0, v[38:39]
	v_fmac_f64_e32 v[88:89], v[54:55], v[38:39]
	v_fmac_f64_e32 v[0:1], v[56:57], v[38:39]
	v_fmac_f64_e32 v[84:85], v[54:55], v[40:41]
	v_fmac_f64_e32 v[76:77], v[56:57], v[40:41]
	global_load_dwordx4 v[54:57], v[66:67], off offset:16
	v_fmac_f64_e32 v[88:89], 0x80000000, v[40:41]
	v_fmac_f64_e32 v[0:1], 0x80000000, v[40:41]
	s_waitcnt vmcnt(3)
	v_fmac_f64_e32 v[84:85], 0, v[62:63]
	v_fmac_f64_e32 v[76:77], 0, v[62:63]
	;; [unrolled: 1-line block ×4, first 2 shown]
	global_load_dwordx4 v[38:41], v[66:67], off offset:48
	v_fmac_f64_e32 v[88:89], v[30:31], v[62:63]
	v_fmac_f64_e32 v[0:1], v[32:33], v[62:63]
	;; [unrolled: 1-line block ×4, first 2 shown]
	global_load_dwordx4 v[30:33], v[80:81], off offset:1648
	v_fmac_f64_e32 v[92:93], v[42:43], v[62:63]
	v_fmac_f64_e32 v[82:83], 0, v[62:63]
	;; [unrolled: 1-line block ×10, first 2 shown]
	v_lshl_add_u64 v[80:81], v[80:81], 0, s[14:15]
	s_waitcnt vmcnt(3)
	v_fmac_f64_e32 v[92:93], v[22:23], v[58:59]
	v_fmac_f64_e32 v[82:83], 0, v[58:59]
	;; [unrolled: 1-line block ×16, first 2 shown]
	s_waitcnt vmcnt(2)
	v_fmac_f64_e32 v[92:93], v[14:15], v[54:55]
	v_fmac_f64_e32 v[82:83], 0, v[54:55]
	;; [unrolled: 1-line block ×32, first 2 shown]
	s_waitcnt vmcnt(1)
	v_fmac_f64_e32 v[92:93], v[26:27], v[38:39]
	v_fmac_f64_e32 v[82:83], 0, v[38:39]
	;; [unrolled: 1-line block ×4, first 2 shown]
	s_waitcnt vmcnt(0)
	v_fmac_f64_e32 v[88:89], v[30:31], v[38:39]
	v_fmac_f64_e32 v[84:85], 0, v[38:39]
	;; [unrolled: 1-line block ×12, first 2 shown]
	s_andn2_b64 exec, exec, s[10:11]
	s_cbranch_execnz .LBB135_31
; %bb.32:
	s_or_b64 exec, exec, s[10:11]
.LBB135_33:
	s_or_b64 exec, exec, s[2:3]
.LBB135_34:
	s_or_b64 exec, exec, s[6:7]
.LBB135_35:
	v_mov_b32_dpp v10, v92 row_shr:1 row_mask:0xf bank_mask:0xf
	v_mov_b32_dpp v11, v93 row_shr:1 row_mask:0xf bank_mask:0xf
	v_mov_b32_dpp v14, v82 row_shr:1 row_mask:0xf bank_mask:0xf
	v_mov_b32_dpp v15, v83 row_shr:1 row_mask:0xf bank_mask:0xf
	v_mov_b32_dpp v18, v90 row_shr:1 row_mask:0xf bank_mask:0xf
	v_mov_b32_dpp v19, v91 row_shr:1 row_mask:0xf bank_mask:0xf
	v_mov_b32_dpp v22, v86 row_shr:1 row_mask:0xf bank_mask:0xf
	v_mov_b32_dpp v23, v87 row_shr:1 row_mask:0xf bank_mask:0xf
	v_mov_b32_dpp v26, v88 row_shr:1 row_mask:0xf bank_mask:0xf
	v_mov_b32_dpp v27, v89 row_shr:1 row_mask:0xf bank_mask:0xf
	v_mov_b32_dpp v30, v84 row_shr:1 row_mask:0xf bank_mask:0xf
	v_mov_b32_dpp v31, v85 row_shr:1 row_mask:0xf bank_mask:0xf
	v_mov_b32_dpp v34, v0 row_shr:1 row_mask:0xf bank_mask:0xf
	v_mov_b32_dpp v35, v1 row_shr:1 row_mask:0xf bank_mask:0xf
	v_mov_b32_dpp v36, v76 row_shr:1 row_mask:0xf bank_mask:0xf
	v_mov_b32_dpp v37, v77 row_shr:1 row_mask:0xf bank_mask:0xf
	v_add_f64 v[10:11], v[92:93], v[10:11]
	v_add_f64 v[14:15], v[82:83], v[14:15]
	;; [unrolled: 1-line block ×8, first 2 shown]
	v_mov_b32_dpp v12, v10 row_shr:2 row_mask:0xf bank_mask:0xf
	v_mov_b32_dpp v13, v11 row_shr:2 row_mask:0xf bank_mask:0xf
	;; [unrolled: 1-line block ×16, first 2 shown]
	v_cmp_eq_u32_e32 vcc, 3, v75
	s_and_b64 exec, exec, vcc
	s_cbranch_execz .LBB135_8
; %bb.36:
	s_load_dwordx2 s[2:3], s[0:1], 0x60
	v_add_f64 v[40:41], v[10:11], v[12:13]
	v_add_f64 v[10:11], v[14:15], v[16:17]
	;; [unrolled: 1-line block ×8, first 2 shown]
	v_cmp_eq_f64_e32 vcc, 0, v[2:3]
	v_cmp_eq_f64_e64 s[0:1], 0, v[4:5]
	v_mul_f64 v[22:23], v[10:11], -v[8:9]
	v_mul_f64 v[24:25], v[6:7], v[10:11]
	v_mul_f64 v[18:19], v[12:13], -v[8:9]
	v_mul_f64 v[20:21], v[6:7], v[12:13]
	;; [unrolled: 2-line block ×4, first 2 shown]
	s_and_b64 s[0:1], vcc, s[0:1]
	v_fmac_f64_e32 v[22:23], v[6:7], v[40:41]
	v_fmac_f64_e32 v[24:25], v[8:9], v[40:41]
	v_lshlrev_b32_e32 v0, 2, v74
	v_fmac_f64_e32 v[18:19], v[6:7], v[42:43]
	v_fmac_f64_e32 v[20:21], v[8:9], v[42:43]
	;; [unrolled: 1-line block ×6, first 2 shown]
	s_waitcnt lgkmcnt(0)
	s_and_saveexec_b64 s[4:5], s[0:1]
	s_xor_b64 s[0:1], exec, s[4:5]
	s_cbranch_execz .LBB135_38
; %bb.37:
	v_ashrrev_i32_e32 v1, 31, v0
	v_lshl_add_u64 v[0:1], v[0:1], 4, s[2:3]
	global_store_dwordx4 v[0:1], v[22:25], off
	global_store_dwordx4 v[0:1], v[18:21], off offset:16
	global_store_dwordx4 v[0:1], v[14:17], off offset:32
	;; [unrolled: 1-line block ×3, first 2 shown]
                                        ; implicit-def: $vgpr4_vgpr5
                                        ; implicit-def: $vgpr22_vgpr23
                                        ; implicit-def: $vgpr0
                                        ; implicit-def: $vgpr18_vgpr19
                                        ; implicit-def: $vgpr14_vgpr15
                                        ; implicit-def: $vgpr10_vgpr11
.LBB135_38:
	s_andn2_saveexec_b64 s[0:1], s[0:1]
	s_cbranch_execz .LBB135_8
; %bb.39:
	v_ashrrev_i32_e32 v1, 31, v0
	v_lshl_add_u64 v[0:1], v[0:1], 4, s[2:3]
	global_load_dwordx4 v[6:9], v[0:1], off
	global_load_dwordx4 v[26:29], v[0:1], off offset:16
	global_load_dwordx4 v[30:33], v[0:1], off offset:32
	;; [unrolled: 1-line block ×3, first 2 shown]
	s_waitcnt vmcnt(3)
	v_fmac_f64_e32 v[22:23], v[2:3], v[6:7]
	v_fmac_f64_e32 v[24:25], v[4:5], v[6:7]
	s_waitcnt vmcnt(2)
	v_fmac_f64_e32 v[18:19], v[2:3], v[26:27]
	v_fmac_f64_e32 v[20:21], v[4:5], v[26:27]
	;; [unrolled: 3-line block ×4, first 2 shown]
	v_fma_f64 v[22:23], -v[4:5], v[8:9], v[22:23]
	v_fmac_f64_e32 v[24:25], v[2:3], v[8:9]
	v_fma_f64 v[18:19], -v[4:5], v[28:29], v[18:19]
	v_fmac_f64_e32 v[20:21], v[2:3], v[28:29]
	;; [unrolled: 2-line block ×4, first 2 shown]
	global_store_dwordx4 v[0:1], v[22:25], off
	global_store_dwordx4 v[0:1], v[18:21], off offset:16
	global_store_dwordx4 v[0:1], v[14:17], off offset:32
	;; [unrolled: 1-line block ×3, first 2 shown]
	s_endpgm
	.section	.rodata,"a",@progbits
	.p2align	6, 0x0
	.amdhsa_kernel _ZN9rocsparseL18bsrxmvn_4x4_kernelILj128ELj4E21rocsparse_complex_numIdEiidS2_S2_EEvT3_20rocsparse_direction_NS_24const_host_device_scalarIT1_EES3_PKS3_PKT2_SC_S9_PKT4_PKT5_S7_PT6_21rocsparse_index_base_b
		.amdhsa_group_segment_fixed_size 0
		.amdhsa_private_segment_fixed_size 0
		.amdhsa_kernarg_size 112
		.amdhsa_user_sgpr_count 2
		.amdhsa_user_sgpr_dispatch_ptr 0
		.amdhsa_user_sgpr_queue_ptr 0
		.amdhsa_user_sgpr_kernarg_segment_ptr 1
		.amdhsa_user_sgpr_dispatch_id 0
		.amdhsa_user_sgpr_kernarg_preload_length 0
		.amdhsa_user_sgpr_kernarg_preload_offset 0
		.amdhsa_user_sgpr_private_segment_size 0
		.amdhsa_uses_dynamic_stack 0
		.amdhsa_enable_private_segment 0
		.amdhsa_system_sgpr_workgroup_id_x 1
		.amdhsa_system_sgpr_workgroup_id_y 0
		.amdhsa_system_sgpr_workgroup_id_z 0
		.amdhsa_system_sgpr_workgroup_info 0
		.amdhsa_system_vgpr_workitem_id 0
		.amdhsa_next_free_vgpr 112
		.amdhsa_next_free_sgpr 18
		.amdhsa_accum_offset 112
		.amdhsa_reserve_vcc 1
		.amdhsa_float_round_mode_32 0
		.amdhsa_float_round_mode_16_64 0
		.amdhsa_float_denorm_mode_32 3
		.amdhsa_float_denorm_mode_16_64 3
		.amdhsa_dx10_clamp 1
		.amdhsa_ieee_mode 1
		.amdhsa_fp16_overflow 0
		.amdhsa_tg_split 0
		.amdhsa_exception_fp_ieee_invalid_op 0
		.amdhsa_exception_fp_denorm_src 0
		.amdhsa_exception_fp_ieee_div_zero 0
		.amdhsa_exception_fp_ieee_overflow 0
		.amdhsa_exception_fp_ieee_underflow 0
		.amdhsa_exception_fp_ieee_inexact 0
		.amdhsa_exception_int_div_zero 0
	.end_amdhsa_kernel
	.section	.text._ZN9rocsparseL18bsrxmvn_4x4_kernelILj128ELj4E21rocsparse_complex_numIdEiidS2_S2_EEvT3_20rocsparse_direction_NS_24const_host_device_scalarIT1_EES3_PKS3_PKT2_SC_S9_PKT4_PKT5_S7_PT6_21rocsparse_index_base_b,"axG",@progbits,_ZN9rocsparseL18bsrxmvn_4x4_kernelILj128ELj4E21rocsparse_complex_numIdEiidS2_S2_EEvT3_20rocsparse_direction_NS_24const_host_device_scalarIT1_EES3_PKS3_PKT2_SC_S9_PKT4_PKT5_S7_PT6_21rocsparse_index_base_b,comdat
.Lfunc_end135:
	.size	_ZN9rocsparseL18bsrxmvn_4x4_kernelILj128ELj4E21rocsparse_complex_numIdEiidS2_S2_EEvT3_20rocsparse_direction_NS_24const_host_device_scalarIT1_EES3_PKS3_PKT2_SC_S9_PKT4_PKT5_S7_PT6_21rocsparse_index_base_b, .Lfunc_end135-_ZN9rocsparseL18bsrxmvn_4x4_kernelILj128ELj4E21rocsparse_complex_numIdEiidS2_S2_EEvT3_20rocsparse_direction_NS_24const_host_device_scalarIT1_EES3_PKS3_PKT2_SC_S9_PKT4_PKT5_S7_PT6_21rocsparse_index_base_b
                                        ; -- End function
	.set _ZN9rocsparseL18bsrxmvn_4x4_kernelILj128ELj4E21rocsparse_complex_numIdEiidS2_S2_EEvT3_20rocsparse_direction_NS_24const_host_device_scalarIT1_EES3_PKS3_PKT2_SC_S9_PKT4_PKT5_S7_PT6_21rocsparse_index_base_b.num_vgpr, 112
	.set _ZN9rocsparseL18bsrxmvn_4x4_kernelILj128ELj4E21rocsparse_complex_numIdEiidS2_S2_EEvT3_20rocsparse_direction_NS_24const_host_device_scalarIT1_EES3_PKS3_PKT2_SC_S9_PKT4_PKT5_S7_PT6_21rocsparse_index_base_b.num_agpr, 0
	.set _ZN9rocsparseL18bsrxmvn_4x4_kernelILj128ELj4E21rocsparse_complex_numIdEiidS2_S2_EEvT3_20rocsparse_direction_NS_24const_host_device_scalarIT1_EES3_PKS3_PKT2_SC_S9_PKT4_PKT5_S7_PT6_21rocsparse_index_base_b.numbered_sgpr, 18
	.set _ZN9rocsparseL18bsrxmvn_4x4_kernelILj128ELj4E21rocsparse_complex_numIdEiidS2_S2_EEvT3_20rocsparse_direction_NS_24const_host_device_scalarIT1_EES3_PKS3_PKT2_SC_S9_PKT4_PKT5_S7_PT6_21rocsparse_index_base_b.num_named_barrier, 0
	.set _ZN9rocsparseL18bsrxmvn_4x4_kernelILj128ELj4E21rocsparse_complex_numIdEiidS2_S2_EEvT3_20rocsparse_direction_NS_24const_host_device_scalarIT1_EES3_PKS3_PKT2_SC_S9_PKT4_PKT5_S7_PT6_21rocsparse_index_base_b.private_seg_size, 0
	.set _ZN9rocsparseL18bsrxmvn_4x4_kernelILj128ELj4E21rocsparse_complex_numIdEiidS2_S2_EEvT3_20rocsparse_direction_NS_24const_host_device_scalarIT1_EES3_PKS3_PKT2_SC_S9_PKT4_PKT5_S7_PT6_21rocsparse_index_base_b.uses_vcc, 1
	.set _ZN9rocsparseL18bsrxmvn_4x4_kernelILj128ELj4E21rocsparse_complex_numIdEiidS2_S2_EEvT3_20rocsparse_direction_NS_24const_host_device_scalarIT1_EES3_PKS3_PKT2_SC_S9_PKT4_PKT5_S7_PT6_21rocsparse_index_base_b.uses_flat_scratch, 0
	.set _ZN9rocsparseL18bsrxmvn_4x4_kernelILj128ELj4E21rocsparse_complex_numIdEiidS2_S2_EEvT3_20rocsparse_direction_NS_24const_host_device_scalarIT1_EES3_PKS3_PKT2_SC_S9_PKT4_PKT5_S7_PT6_21rocsparse_index_base_b.has_dyn_sized_stack, 0
	.set _ZN9rocsparseL18bsrxmvn_4x4_kernelILj128ELj4E21rocsparse_complex_numIdEiidS2_S2_EEvT3_20rocsparse_direction_NS_24const_host_device_scalarIT1_EES3_PKS3_PKT2_SC_S9_PKT4_PKT5_S7_PT6_21rocsparse_index_base_b.has_recursion, 0
	.set _ZN9rocsparseL18bsrxmvn_4x4_kernelILj128ELj4E21rocsparse_complex_numIdEiidS2_S2_EEvT3_20rocsparse_direction_NS_24const_host_device_scalarIT1_EES3_PKS3_PKT2_SC_S9_PKT4_PKT5_S7_PT6_21rocsparse_index_base_b.has_indirect_call, 0
	.section	.AMDGPU.csdata,"",@progbits
; Kernel info:
; codeLenInByte = 6512
; TotalNumSgprs: 24
; NumVgprs: 112
; NumAgprs: 0
; TotalNumVgprs: 112
; ScratchSize: 0
; MemoryBound: 0
; FloatMode: 240
; IeeeMode: 1
; LDSByteSize: 0 bytes/workgroup (compile time only)
; SGPRBlocks: 2
; VGPRBlocks: 13
; NumSGPRsForWavesPerEU: 24
; NumVGPRsForWavesPerEU: 112
; AccumOffset: 112
; Occupancy: 4
; WaveLimiterHint : 1
; COMPUTE_PGM_RSRC2:SCRATCH_EN: 0
; COMPUTE_PGM_RSRC2:USER_SGPR: 2
; COMPUTE_PGM_RSRC2:TRAP_HANDLER: 0
; COMPUTE_PGM_RSRC2:TGID_X_EN: 1
; COMPUTE_PGM_RSRC2:TGID_Y_EN: 0
; COMPUTE_PGM_RSRC2:TGID_Z_EN: 0
; COMPUTE_PGM_RSRC2:TIDIG_COMP_CNT: 0
; COMPUTE_PGM_RSRC3_GFX90A:ACCUM_OFFSET: 27
; COMPUTE_PGM_RSRC3_GFX90A:TG_SPLIT: 0
	.section	.text._ZN9rocsparseL18bsrxmvn_4x4_kernelILj128ELj8E21rocsparse_complex_numIdEiidS2_S2_EEvT3_20rocsparse_direction_NS_24const_host_device_scalarIT1_EES3_PKS3_PKT2_SC_S9_PKT4_PKT5_S7_PT6_21rocsparse_index_base_b,"axG",@progbits,_ZN9rocsparseL18bsrxmvn_4x4_kernelILj128ELj8E21rocsparse_complex_numIdEiidS2_S2_EEvT3_20rocsparse_direction_NS_24const_host_device_scalarIT1_EES3_PKS3_PKT2_SC_S9_PKT4_PKT5_S7_PT6_21rocsparse_index_base_b,comdat
	.globl	_ZN9rocsparseL18bsrxmvn_4x4_kernelILj128ELj8E21rocsparse_complex_numIdEiidS2_S2_EEvT3_20rocsparse_direction_NS_24const_host_device_scalarIT1_EES3_PKS3_PKT2_SC_S9_PKT4_PKT5_S7_PT6_21rocsparse_index_base_b ; -- Begin function _ZN9rocsparseL18bsrxmvn_4x4_kernelILj128ELj8E21rocsparse_complex_numIdEiidS2_S2_EEvT3_20rocsparse_direction_NS_24const_host_device_scalarIT1_EES3_PKS3_PKT2_SC_S9_PKT4_PKT5_S7_PT6_21rocsparse_index_base_b
	.p2align	8
	.type	_ZN9rocsparseL18bsrxmvn_4x4_kernelILj128ELj8E21rocsparse_complex_numIdEiidS2_S2_EEvT3_20rocsparse_direction_NS_24const_host_device_scalarIT1_EES3_PKS3_PKT2_SC_S9_PKT4_PKT5_S7_PT6_21rocsparse_index_base_b,@function
_ZN9rocsparseL18bsrxmvn_4x4_kernelILj128ELj8E21rocsparse_complex_numIdEiidS2_S2_EEvT3_20rocsparse_direction_NS_24const_host_device_scalarIT1_EES3_PKS3_PKT2_SC_S9_PKT4_PKT5_S7_PT6_21rocsparse_index_base_b: ; @_ZN9rocsparseL18bsrxmvn_4x4_kernelILj128ELj8E21rocsparse_complex_numIdEiidS2_S2_EEvT3_20rocsparse_direction_NS_24const_host_device_scalarIT1_EES3_PKS3_PKT2_SC_S9_PKT4_PKT5_S7_PT6_21rocsparse_index_base_b
; %bb.0:
	s_load_dwordx2 s[4:5], s[0:1], 0x8
	s_load_dwordx2 s[12:13], s[0:1], 0x68
	s_add_u32 s3, s0, 8
	s_addc_u32 s8, s1, 0
	s_add_u32 s9, s0, 0x50
	s_load_dwordx2 s[6:7], s[0:1], 0x50
	s_addc_u32 s10, s1, 0
	s_waitcnt lgkmcnt(0)
	s_bitcmp1_b32 s13, 0
	s_cselect_b32 s5, s8, s5
	s_cselect_b32 s3, s3, s4
	v_mov_b32_e32 v2, s3
	v_mov_b32_e32 v3, s5
	flat_load_dwordx4 v[6:9], v[2:3]
	s_cselect_b32 s3, s10, s7
	s_cselect_b32 s4, s9, s6
	v_mov_b32_e32 v2, s4
	v_mov_b32_e32 v3, s3
	flat_load_dwordx4 v[2:5], v[2:3]
	s_waitcnt vmcnt(0) lgkmcnt(0)
	v_cmp_eq_f64_e32 vcc, 0, v[6:7]
	v_cmp_eq_f64_e64 s[4:5], 0, v[8:9]
	s_and_b64 s[8:9], vcc, s[4:5]
	s_mov_b64 s[4:5], -1
	s_and_saveexec_b64 s[6:7], s[8:9]
; %bb.1:
	v_cmp_neq_f64_e32 vcc, 1.0, v[2:3]
	v_cmp_neq_f64_e64 s[4:5], 0, v[4:5]
	s_or_b64 s[4:5], vcc, s[4:5]
	s_orn2_b64 s[4:5], s[4:5], exec
; %bb.2:
	s_or_b64 exec, exec, s[6:7]
	s_and_saveexec_b64 s[6:7], s[4:5]
	s_cbranch_execz .LBB136_8
; %bb.3:
	s_load_dwordx2 s[4:5], s[0:1], 0x20
	s_load_dwordx2 s[14:15], s[0:1], 0x0
	v_lshrrev_b32_e32 v1, 3, v0
	v_lshl_or_b32 v74, s2, 4, v1
	s_mov_b64 s[2:3], 0
	s_waitcnt lgkmcnt(0)
	s_cmp_lg_u64 s[4:5], 0
	s_cbranch_scc0 .LBB136_9
; %bb.4:
	s_load_dword s6, s[0:1], 0x18
                                        ; implicit-def: $vgpr1
	s_waitcnt lgkmcnt(0)
	v_cmp_gt_i32_e32 vcc, s6, v74
	s_and_saveexec_b64 s[6:7], vcc
	s_xor_b64 s[6:7], exec, s[6:7]
	s_cbranch_execz .LBB136_6
; %bb.5:
	v_ashrrev_i32_e32 v75, 31, v74
	v_lshl_add_u64 v[10:11], v[74:75], 2, s[4:5]
	global_load_dword v1, v[10:11], off
	s_mov_b64 s[2:3], exec
	s_waitcnt vmcnt(0)
	v_subrev_u32_e32 v1, s12, v1
.LBB136_6:
	s_or_b64 exec, exec, s[6:7]
	s_branch .LBB136_10
.LBB136_7:
	v_cmp_gt_i32_e32 vcc, s14, v74
	s_andn2_b64 s[2:3], s[2:3], exec
	s_and_b64 s[4:5], vcc, exec
	s_or_b64 s[2:3], s[2:3], s[4:5]
	s_and_b64 exec, exec, s[2:3]
	s_cbranch_execnz .LBB136_11
.LBB136_8:
	s_endpgm
.LBB136_9:
                                        ; implicit-def: $vgpr1
	s_cbranch_execnz .LBB136_7
.LBB136_10:
	v_mov_b32_e32 v74, v1
	s_and_b64 exec, exec, s[2:3]
	s_cbranch_execz .LBB136_8
.LBB136_11:
	s_load_dwordx8 s[4:11], s[0:1], 0x28
	v_ashrrev_i32_e32 v75, 31, v74
	v_lshlrev_b64 v[10:11], 2, v[74:75]
	v_and_b32_e32 v75, 7, v0
	s_waitcnt lgkmcnt(0)
	v_lshl_add_u64 v[12:13], s[4:5], 0, v[10:11]
	s_cmp_eq_u64 s[6:7], 0
	global_load_dword v101, v[12:13], off
	v_lshl_add_u64 v[12:13], v[12:13], 0, 4
	v_lshl_add_u64 v[10:11], s[6:7], 0, v[10:11]
	s_cselect_b64 vcc, -1, 0
	v_cndmask_b32_e32 v11, v11, v13, vcc
	v_cndmask_b32_e32 v10, v10, v12, vcc
	global_load_dword v1, v[10:11], off
	s_load_dwordx2 s[4:5], s[0:1], 0x48
	s_cmp_eq_u32 s15, 1
	s_waitcnt vmcnt(1)
	v_subrev_u32_e32 v0, s12, v101
	v_add_u32_e32 v86, v0, v75
	v_ashrrev_i32_e32 v87, 31, v86
	s_waitcnt vmcnt(0)
	v_subrev_u32_e32 v100, s12, v1
	v_lshlrev_b64 v[0:1], 7, v[86:87]
	v_lshl_add_u64 v[88:89], s[10:11], 0, v[0:1]
	v_cmp_lt_i32_e64 s[2:3], v86, v100
	s_cbranch_scc1 .LBB136_23
; %bb.12:
	v_mov_b64_e32 v[84:85], 0
	v_mov_b64_e32 v[92:93], 0
	;; [unrolled: 1-line block ×8, first 2 shown]
	s_and_saveexec_b64 s[6:7], s[2:3]
	s_cbranch_execz .LBB136_22
; %bb.13:
	v_add_u32_e32 v0, v101, v75
	v_subrev_u32_e32 v0, s12, v0
	v_add_u32_e32 v0, 8, v0
	v_max_i32_e32 v0, v0, v100
	v_not_b32_e32 v1, v101
	v_add3_u32 v0, s12, v0, v1
	v_sub_u32_e32 v10, v0, v75
	v_and_b32_e32 v0, 24, v10
	v_cmp_ne_u32_e32 vcc, 24, v0
	v_mov_b64_e32 v[0:1], 0
	v_mov_b64_e32 v[76:77], 0
	;; [unrolled: 1-line block ×9, first 2 shown]
	v_mov_b32_e32 v94, v86
	s_and_saveexec_b64 s[10:11], vcc
	s_cbranch_execz .LBB136_17
; %bb.14:
	v_lshrrev_b32_e32 v0, 3, v10
	v_add_u32_e32 v0, 1, v0
	v_and_b32_e32 v0, 3, v0
	v_sub_u32_e32 v11, 0, v0
	v_mov_b64_e32 v[84:85], 0
	s_mov_b64 s[14:15], 0
	s_mov_b64 s[16:17], 0x400
	v_mov_b32_e32 v94, v86
	v_mov_b64_e32 v[96:97], v[88:89]
	v_mov_b64_e32 v[92:93], 0
	v_mov_b64_e32 v[82:83], 0
	v_mov_b64_e32 v[90:91], 0
	v_mov_b64_e32 v[78:79], 0
	v_mov_b64_e32 v[80:81], 0
	v_mov_b64_e32 v[76:77], 0
	v_mov_b64_e32 v[0:1], 0
.LBB136_15:                             ; =>This Inner Loop Header: Depth=1
	v_ashrrev_i32_e32 v95, 31, v94
	v_lshl_add_u64 v[44:45], v[94:95], 2, s[8:9]
	global_load_dword v46, v[44:45], off
	global_load_dwordx4 v[12:15], v[96:97], off offset:48
	global_load_dwordx4 v[16:19], v[96:97], off offset:32
	;; [unrolled: 1-line block ×3, first 2 shown]
	global_load_dwordx4 v[24:27], v[96:97], off
	global_load_dwordx4 v[28:31], v[96:97], off offset:112
	global_load_dwordx4 v[32:35], v[96:97], off offset:96
	;; [unrolled: 1-line block ×4, first 2 shown]
	v_add_co_u32_e32 v11, vcc, 1, v11
	v_lshl_add_u64 v[96:97], v[96:97], 0, s[16:17]
	v_add_u32_e32 v94, 8, v94
	s_or_b64 s[14:15], vcc, s[14:15]
	s_waitcnt vmcnt(8)
	v_subrev_u32_e32 v44, s12, v46
	v_lshlrev_b32_e32 v44, 2, v44
	v_ashrrev_i32_e32 v45, 31, v44
	s_waitcnt lgkmcnt(0)
	v_lshl_add_u64 v[60:61], v[44:45], 4, s[4:5]
	global_load_dwordx4 v[44:47], v[60:61], off
	global_load_dwordx4 v[48:51], v[60:61], off offset:16
	global_load_dwordx4 v[52:55], v[60:61], off offset:32
	;; [unrolled: 1-line block ×3, first 2 shown]
	s_waitcnt vmcnt(3)
	v_fmac_f64_e32 v[92:93], v[24:25], v[44:45]
	v_fmac_f64_e32 v[84:85], 0, v[44:45]
	v_fmac_f64_e32 v[90:91], v[16:17], v[44:45]
	v_fmac_f64_e32 v[82:83], 0, v[44:45]
	v_fmac_f64_e32 v[80:81], v[40:41], v[44:45]
	v_fmac_f64_e32 v[78:79], 0, v[44:45]
	v_fmac_f64_e32 v[0:1], v[32:33], v[44:45]
	v_fmac_f64_e32 v[76:77], 0, v[44:45]
	v_fmac_f64_e32 v[92:93], 0x80000000, v[46:47]
	v_fmac_f64_e32 v[84:85], v[24:25], v[46:47]
	v_fmac_f64_e32 v[90:91], 0x80000000, v[46:47]
	v_fmac_f64_e32 v[82:83], v[16:17], v[46:47]
	v_fmac_f64_e32 v[80:81], 0x80000000, v[46:47]
	v_fmac_f64_e32 v[78:79], v[40:41], v[46:47]
	v_fmac_f64_e32 v[0:1], 0x80000000, v[46:47]
	v_fmac_f64_e32 v[76:77], v[32:33], v[46:47]
	s_waitcnt vmcnt(2)
	v_fmac_f64_e32 v[92:93], v[26:27], v[48:49]
	v_fmac_f64_e32 v[84:85], 0, v[48:49]
	v_fmac_f64_e32 v[90:91], v[18:19], v[48:49]
	v_fmac_f64_e32 v[82:83], 0, v[48:49]
	v_fmac_f64_e32 v[80:81], v[42:43], v[48:49]
	v_fmac_f64_e32 v[78:79], 0, v[48:49]
	v_fmac_f64_e32 v[0:1], v[34:35], v[48:49]
	v_fmac_f64_e32 v[76:77], 0, v[48:49]
	v_fmac_f64_e32 v[84:85], v[26:27], v[50:51]
	v_fmac_f64_e32 v[82:83], v[18:19], v[50:51]
	v_fmac_f64_e32 v[92:93], 0x80000000, v[50:51]
	v_fmac_f64_e32 v[90:91], 0x80000000, v[50:51]
	v_fmac_f64_e32 v[80:81], 0x80000000, v[50:51]
	v_fmac_f64_e32 v[78:79], v[42:43], v[50:51]
	v_fmac_f64_e32 v[0:1], 0x80000000, v[50:51]
	v_fmac_f64_e32 v[76:77], v[34:35], v[50:51]
	;; [unrolled: 17-line block ×4, first 2 shown]
	s_andn2_b64 exec, exec, s[14:15]
	s_cbranch_execnz .LBB136_15
; %bb.16:
	s_or_b64 exec, exec, s[14:15]
.LBB136_17:
	s_or_b64 exec, exec, s[10:11]
	v_cmp_lt_u32_e32 vcc, 23, v10
	s_and_saveexec_b64 s[10:11], vcc
	s_cbranch_execz .LBB136_21
; %bb.18:
	s_mov_b64 s[14:15], 0
	s_mov_b64 s[16:17], 0x1000
.LBB136_19:                             ; =>This Inner Loop Header: Depth=1
	v_ashrrev_i32_e32 v95, 31, v94
	v_lshl_add_u64 v[98:99], v[94:95], 2, s[8:9]
	global_load_dwordx4 v[14:17], v[96:97], off offset:48
	global_load_dwordx4 v[10:13], v[96:97], off offset:32
	;; [unrolled: 1-line block ×3, first 2 shown]
	global_load_dwordx4 v[64:67], v[96:97], off
	global_load_dwordx4 v[22:25], v[96:97], off offset:112
	global_load_dwordx4 v[46:49], v[96:97], off offset:96
	;; [unrolled: 1-line block ×10, first 2 shown]
	global_load_dword v62, v[98:99], off
	global_load_dwordx4 v[102:105], v[96:97], off offset:1104
	global_load_dwordx4 v[106:109], v[96:97], off offset:1088
	v_add_u32_e32 v94, 32, v94
	v_cmp_ge_i32_e32 vcc, v94, v100
	s_or_b64 s[14:15], vcc, s[14:15]
	s_waitcnt vmcnt(2)
	v_subrev_u32_e32 v62, s12, v62
	v_lshlrev_b32_e32 v62, 2, v62
	v_ashrrev_i32_e32 v63, 31, v62
	s_waitcnt lgkmcnt(0)
	v_lshl_add_u64 v[68:69], v[62:63], 4, s[4:5]
	global_load_dwordx4 v[70:73], v[68:69], off
	s_waitcnt vmcnt(0)
	v_fmac_f64_e32 v[84:85], 0, v[70:71]
	v_fmac_f64_e32 v[92:93], v[64:65], v[70:71]
	;; [unrolled: 1-line block ×3, first 2 shown]
	global_load_dwordx4 v[62:65], v[68:69], off offset:16
	v_fmac_f64_e32 v[76:77], 0, v[70:71]
	v_fmac_f64_e32 v[0:1], v[46:47], v[70:71]
	;; [unrolled: 1-line block ×13, first 2 shown]
	global_load_dwordx4 v[70:73], v[96:97], off offset:2080
	s_waitcnt vmcnt(1)
	v_fmac_f64_e32 v[76:77], 0, v[62:63]
	v_fmac_f64_e32 v[0:1], v[48:49], v[62:63]
	;; [unrolled: 1-line block ×3, first 2 shown]
	global_load_dwordx4 v[46:49], v[68:69], off offset:32
	v_fmac_f64_e32 v[92:93], v[66:67], v[62:63]
	v_fmac_f64_e32 v[84:85], 0, v[62:63]
	;; [unrolled: 1-line block ×13, first 2 shown]
	global_load_dwordx4 v[64:67], v[68:69], off offset:48
	global_load_dwordx4 v[10:13], v[96:97], off offset:2096
	;; [unrolled: 1-line block ×3, first 2 shown]
	s_waitcnt vmcnt(3)
	v_fmac_f64_e32 v[84:85], 0, v[46:47]
	v_fmac_f64_e32 v[92:93], v[18:19], v[46:47]
	;; [unrolled: 1-line block ×16, first 2 shown]
	s_waitcnt vmcnt(2)
	v_fmac_f64_e32 v[84:85], 0, v[64:65]
	v_fmac_f64_e32 v[92:93], v[20:21], v[64:65]
	;; [unrolled: 1-line block ×5, first 2 shown]
	global_load_dwordx4 v[46:49], v[96:97], off offset:2048
	v_fmac_f64_e32 v[80:81], v[32:33], v[64:65]
	v_fmac_f64_e32 v[78:79], 0, v[64:65]
	global_load_dwordx4 v[18:21], v[96:97], off offset:2160
	v_fmac_f64_e32 v[0:1], v[24:25], v[64:65]
	v_fmac_f64_e32 v[76:77], 0, v[64:65]
	global_load_dwordx4 v[62:65], v[96:97], off offset:2144
	global_load_dword v14, v[98:99], off offset:32
	v_fmac_f64_e32 v[82:83], v[16:17], v[66:67]
	v_fmac_f64_e32 v[76:77], v[24:25], v[66:67]
	v_fmac_f64_e32 v[78:79], v[32:33], v[66:67]
	v_fmac_f64_e32 v[92:93], 0x80000000, v[66:67]
	v_fmac_f64_e32 v[90:91], 0x80000000, v[66:67]
	v_fmac_f64_e32 v[80:81], 0x80000000, v[66:67]
	v_fmac_f64_e32 v[0:1], 0x80000000, v[66:67]
	global_load_dwordx4 v[30:33], v[96:97], off offset:3104
	global_load_dwordx4 v[66:69], v[96:97], off offset:2112
	s_waitcnt vmcnt(2)
	v_subrev_u32_e32 v14, s12, v14
	v_lshlrev_b32_e32 v14, 2, v14
	v_ashrrev_i32_e32 v15, 31, v14
	v_lshl_add_u64 v[110:111], v[14:15], 4, s[4:5]
	global_load_dwordx4 v[14:17], v[110:111], off
	global_load_dwordx4 v[22:25], v[110:111], off offset:16
	s_waitcnt vmcnt(1)
	v_fmac_f64_e32 v[92:93], v[34:35], v[14:15]
	v_fmac_f64_e32 v[84:85], 0, v[14:15]
	;; [unrolled: 1-line block ×16, first 2 shown]
	s_waitcnt vmcnt(0)
	v_fmac_f64_e32 v[92:93], v[36:37], v[22:23]
	v_fmac_f64_e32 v[84:85], 0, v[22:23]
	;; [unrolled: 1-line block ×16, first 2 shown]
	global_load_dwordx4 v[22:25], v[110:111], off offset:32
	global_load_dwordx4 v[58:61], v[110:111], off offset:48
	;; [unrolled: 1-line block ×4, first 2 shown]
	s_waitcnt vmcnt(3)
	v_fmac_f64_e32 v[84:85], 0, v[22:23]
	v_fmac_f64_e32 v[82:83], 0, v[22:23]
	;; [unrolled: 1-line block ×12, first 2 shown]
	s_waitcnt vmcnt(2)
	v_fmac_f64_e32 v[84:85], 0, v[58:59]
	v_fmac_f64_e32 v[82:83], 0, v[58:59]
	;; [unrolled: 1-line block ×8, first 2 shown]
	global_load_dwordx4 v[22:25], v[96:97], off offset:3088
	global_load_dwordx4 v[38:41], v[96:97], off offset:3072
	v_fmac_f64_e32 v[90:91], v[28:29], v[58:59]
	v_fmac_f64_e32 v[82:83], v[28:29], v[60:61]
	global_load_dwordx4 v[26:29], v[96:97], off offset:3184
	global_load_dwordx4 v[42:45], v[96:97], off offset:3168
	global_load_dword v54, v[98:99], off offset:64
	v_fmac_f64_e32 v[76:77], 0, v[58:59]
	v_fmac_f64_e32 v[0:1], v[56:57], v[58:59]
	;; [unrolled: 1-line block ×10, first 2 shown]
	s_waitcnt vmcnt(0)
	v_subrev_u32_e32 v54, s12, v54
	v_lshlrev_b32_e32 v54, 2, v54
	v_ashrrev_i32_e32 v55, 31, v54
	v_lshl_add_u64 v[102:103], v[54:55], 4, s[4:5]
	global_load_dwordx4 v[54:57], v[102:103], off
	global_load_dwordx4 v[58:61], v[102:103], off offset:16
	s_waitcnt vmcnt(1)
	v_fmac_f64_e32 v[84:85], 0, v[54:55]
	v_fmac_f64_e32 v[92:93], v[46:47], v[54:55]
	;; [unrolled: 1-line block ×10, first 2 shown]
	s_waitcnt vmcnt(0)
	v_fmac_f64_e32 v[84:85], 0, v[58:59]
	v_fmac_f64_e32 v[90:91], 0x80000000, v[56:57]
	;; [unrolled: 1-line block ×9, first 2 shown]
	global_load_dwordx4 v[46:49], v[96:97], off offset:3152
	global_load_dwordx4 v[54:57], v[96:97], off offset:3136
	global_load_dword v62, v[98:99], off offset:96
	v_fmac_f64_e32 v[78:79], 0, v[58:59]
	v_fmac_f64_e32 v[80:81], v[68:69], v[58:59]
	;; [unrolled: 1-line block ×3, first 2 shown]
	global_load_dwordx4 v[66:69], v[102:103], off offset:32
	v_fmac_f64_e32 v[82:83], 0, v[58:59]
	v_fmac_f64_e32 v[90:91], v[72:73], v[58:59]
	;; [unrolled: 1-line block ×3, first 2 shown]
	global_load_dwordx4 v[70:73], v[102:103], off offset:48
	v_fmac_f64_e32 v[0:1], v[64:65], v[58:59]
	v_fmac_f64_e32 v[76:77], 0, v[58:59]
	;; [unrolled: 1-line block ×7, first 2 shown]
	v_lshl_add_u64 v[96:97], v[96:97], 0, s[16:17]
	s_waitcnt vmcnt(2)
	v_subrev_u32_e32 v62, s12, v62
	v_lshlrev_b32_e32 v62, 2, v62
	v_ashrrev_i32_e32 v63, 31, v62
	v_lshl_add_u64 v[98:99], v[62:63], 4, s[4:5]
	global_load_dwordx4 v[62:65], v[98:99], off
	s_waitcnt vmcnt(2)
	v_fmac_f64_e32 v[92:93], v[50:51], v[66:67]
	v_fmac_f64_e32 v[84:85], 0, v[66:67]
	;; [unrolled: 1-line block ×16, first 2 shown]
	global_load_dwordx4 v[66:69], v[98:99], off offset:16
	s_waitcnt vmcnt(2)
	v_fmac_f64_e32 v[84:85], 0, v[70:71]
	v_fmac_f64_e32 v[92:93], v[52:53], v[70:71]
	;; [unrolled: 1-line block ×3, first 2 shown]
	global_load_dwordx4 v[58:61], v[98:99], off offset:32
	global_load_dwordx4 v[50:53], v[98:99], off offset:48
	v_fmac_f64_e32 v[90:91], v[12:13], v[70:71]
	v_fmac_f64_e32 v[82:83], 0, v[70:71]
	v_fmac_f64_e32 v[80:81], v[36:37], v[70:71]
	v_fmac_f64_e32 v[78:79], 0, v[70:71]
	v_fmac_f64_e32 v[0:1], v[20:21], v[70:71]
	v_fmac_f64_e32 v[76:77], 0, v[70:71]
	v_fmac_f64_e32 v[92:93], 0x80000000, v[72:73]
	v_fmac_f64_e32 v[90:91], 0x80000000, v[72:73]
	v_fmac_f64_e32 v[82:83], v[12:13], v[72:73]
	v_fmac_f64_e32 v[80:81], 0x80000000, v[72:73]
	v_fmac_f64_e32 v[78:79], v[36:37], v[72:73]
	v_fmac_f64_e32 v[0:1], 0x80000000, v[72:73]
	v_fmac_f64_e32 v[76:77], v[20:21], v[72:73]
	s_waitcnt vmcnt(3)
	v_fmac_f64_e32 v[92:93], v[38:39], v[62:63]
	v_fmac_f64_e32 v[84:85], 0, v[62:63]
	v_fmac_f64_e32 v[90:91], v[30:31], v[62:63]
	v_fmac_f64_e32 v[82:83], 0, v[62:63]
	v_fmac_f64_e32 v[80:81], v[54:55], v[62:63]
	v_fmac_f64_e32 v[78:79], 0, v[62:63]
	v_fmac_f64_e32 v[0:1], v[42:43], v[62:63]
	v_fmac_f64_e32 v[76:77], 0, v[62:63]
	v_fmac_f64_e32 v[92:93], 0x80000000, v[64:65]
	v_fmac_f64_e32 v[84:85], v[38:39], v[64:65]
	v_fmac_f64_e32 v[90:91], 0x80000000, v[64:65]
	v_fmac_f64_e32 v[82:83], v[30:31], v[64:65]
	v_fmac_f64_e32 v[80:81], 0x80000000, v[64:65]
	v_fmac_f64_e32 v[78:79], v[54:55], v[64:65]
	v_fmac_f64_e32 v[0:1], 0x80000000, v[64:65]
	v_fmac_f64_e32 v[76:77], v[42:43], v[64:65]
	s_waitcnt vmcnt(2)
	v_fmac_f64_e32 v[92:93], v[40:41], v[66:67]
	v_fmac_f64_e32 v[84:85], 0, v[66:67]
	v_fmac_f64_e32 v[90:91], v[32:33], v[66:67]
	v_fmac_f64_e32 v[82:83], 0, v[66:67]
	v_fmac_f64_e32 v[80:81], v[56:57], v[66:67]
	v_fmac_f64_e32 v[78:79], 0, v[66:67]
	v_fmac_f64_e32 v[0:1], v[44:45], v[66:67]
	v_fmac_f64_e32 v[76:77], 0, v[66:67]
	v_fmac_f64_e32 v[92:93], 0x80000000, v[68:69]
	v_fmac_f64_e32 v[84:85], v[40:41], v[68:69]
	v_fmac_f64_e32 v[90:91], 0x80000000, v[68:69]
	v_fmac_f64_e32 v[82:83], v[32:33], v[68:69]
	v_fmac_f64_e32 v[80:81], 0x80000000, v[68:69]
	v_fmac_f64_e32 v[78:79], v[56:57], v[68:69]
	v_fmac_f64_e32 v[0:1], 0x80000000, v[68:69]
	v_fmac_f64_e32 v[76:77], v[44:45], v[68:69]
	s_waitcnt vmcnt(1)
	v_fmac_f64_e32 v[92:93], v[22:23], v[58:59]
	v_fmac_f64_e32 v[84:85], 0, v[58:59]
	v_fmac_f64_e32 v[90:91], v[14:15], v[58:59]
	v_fmac_f64_e32 v[82:83], 0, v[58:59]
	v_fmac_f64_e32 v[80:81], v[46:47], v[58:59]
	v_fmac_f64_e32 v[78:79], 0, v[58:59]
	v_fmac_f64_e32 v[0:1], v[26:27], v[58:59]
	v_fmac_f64_e32 v[76:77], 0, v[58:59]
	v_fmac_f64_e32 v[92:93], 0x80000000, v[60:61]
	v_fmac_f64_e32 v[84:85], v[22:23], v[60:61]
	v_fmac_f64_e32 v[90:91], 0x80000000, v[60:61]
	v_fmac_f64_e32 v[82:83], v[14:15], v[60:61]
	v_fmac_f64_e32 v[80:81], 0x80000000, v[60:61]
	v_fmac_f64_e32 v[78:79], v[46:47], v[60:61]
	v_fmac_f64_e32 v[0:1], 0x80000000, v[60:61]
	v_fmac_f64_e32 v[76:77], v[26:27], v[60:61]
	s_waitcnt vmcnt(0)
	v_fmac_f64_e32 v[92:93], v[24:25], v[50:51]
	v_fmac_f64_e32 v[84:85], 0, v[50:51]
	v_fmac_f64_e32 v[90:91], v[16:17], v[50:51]
	v_fmac_f64_e32 v[82:83], 0, v[50:51]
	v_fmac_f64_e32 v[80:81], v[48:49], v[50:51]
	v_fmac_f64_e32 v[78:79], 0, v[50:51]
	v_fmac_f64_e32 v[0:1], v[28:29], v[50:51]
	v_fmac_f64_e32 v[76:77], 0, v[50:51]
	v_fmac_f64_e32 v[92:93], 0x80000000, v[52:53]
	v_fmac_f64_e32 v[84:85], v[24:25], v[52:53]
	v_fmac_f64_e32 v[90:91], 0x80000000, v[52:53]
	v_fmac_f64_e32 v[82:83], v[16:17], v[52:53]
	v_fmac_f64_e32 v[80:81], 0x80000000, v[52:53]
	v_fmac_f64_e32 v[78:79], v[48:49], v[52:53]
	v_fmac_f64_e32 v[0:1], 0x80000000, v[52:53]
	v_fmac_f64_e32 v[76:77], v[28:29], v[52:53]
	s_andn2_b64 exec, exec, s[14:15]
	s_cbranch_execnz .LBB136_19
; %bb.20:
	s_or_b64 exec, exec, s[14:15]
.LBB136_21:
	s_or_b64 exec, exec, s[10:11]
.LBB136_22:
	s_or_b64 exec, exec, s[6:7]
	s_cbranch_execz .LBB136_24
	s_branch .LBB136_35
.LBB136_23:
                                        ; implicit-def: $vgpr84_vgpr85
                                        ; implicit-def: $vgpr92_vgpr93
                                        ; implicit-def: $vgpr82_vgpr83
                                        ; implicit-def: $vgpr90_vgpr91
                                        ; implicit-def: $vgpr78_vgpr79
                                        ; implicit-def: $vgpr80_vgpr81
                                        ; implicit-def: $vgpr76_vgpr77
                                        ; implicit-def: $vgpr0_vgpr1
.LBB136_24:
	v_mov_b64_e32 v[84:85], 0
	v_mov_b64_e32 v[92:93], 0
	;; [unrolled: 1-line block ×8, first 2 shown]
	s_and_saveexec_b64 s[6:7], s[2:3]
	s_cbranch_execz .LBB136_34
; %bb.25:
	v_add_u32_e32 v0, v101, v75
	v_subrev_u32_e32 v0, s12, v0
	v_add_u32_e32 v0, 8, v0
	v_max_i32_e32 v0, v0, v100
	v_not_b32_e32 v1, v101
	v_add3_u32 v0, s12, v0, v1
	v_sub_u32_e32 v10, v0, v75
	v_and_b32_e32 v0, 24, v10
	v_cmp_ne_u32_e32 vcc, 24, v0
	v_mov_b64_e32 v[0:1], 0
	v_mov_b64_e32 v[76:77], 0
	;; [unrolled: 1-line block ×8, first 2 shown]
	s_and_saveexec_b64 s[2:3], vcc
	s_cbranch_execz .LBB136_29
; %bb.26:
	v_lshrrev_b32_e32 v0, 3, v10
	v_add_u32_e32 v0, 1, v0
	v_and_b32_e32 v0, 3, v0
	v_sub_u32_e32 v11, 0, v0
	v_mov_b64_e32 v[84:85], 0
	s_mov_b64 s[10:11], 0
	s_mov_b64 s[14:15], 0x400
	v_mov_b64_e32 v[92:93], 0
	v_mov_b64_e32 v[82:83], 0
	;; [unrolled: 1-line block ×7, first 2 shown]
.LBB136_27:                             ; =>This Inner Loop Header: Depth=1
	v_ashrrev_i32_e32 v87, 31, v86
	v_lshl_add_u64 v[40:41], v[86:87], 2, s[8:9]
	global_load_dword v42, v[40:41], off
	global_load_dwordx4 v[12:15], v[88:89], off offset:48
	global_load_dwordx4 v[16:19], v[88:89], off offset:32
	;; [unrolled: 1-line block ×3, first 2 shown]
	global_load_dwordx4 v[24:27], v[88:89], off
	global_load_dwordx4 v[28:31], v[88:89], off offset:96
	global_load_dwordx4 v[32:35], v[88:89], off offset:80
	;; [unrolled: 1-line block ×3, first 2 shown]
	v_add_co_u32_e32 v11, vcc, 1, v11
	v_add_u32_e32 v86, 8, v86
	s_or_b64 s[10:11], vcc, s[10:11]
	s_waitcnt vmcnt(7)
	v_subrev_u32_e32 v40, s12, v42
	v_lshlrev_b32_e32 v40, 2, v40
	v_ashrrev_i32_e32 v41, 31, v40
	s_waitcnt lgkmcnt(0)
	v_lshl_add_u64 v[60:61], v[40:41], 4, s[4:5]
	global_load_dwordx4 v[40:43], v[60:61], off
	global_load_dwordx4 v[44:47], v[60:61], off offset:16
	global_load_dwordx4 v[48:51], v[60:61], off offset:32
	;; [unrolled: 1-line block ×4, first 2 shown]
	v_lshl_add_u64 v[88:89], v[88:89], 0, s[14:15]
	s_waitcnt vmcnt(4)
	v_fmac_f64_e32 v[92:93], v[24:25], v[40:41]
	v_fmac_f64_e32 v[84:85], 0, v[40:41]
	v_fmac_f64_e32 v[90:91], v[26:27], v[40:41]
	v_fmac_f64_e32 v[82:83], 0, v[40:41]
	v_fmac_f64_e32 v[80:81], v[20:21], v[40:41]
	v_fmac_f64_e32 v[78:79], 0, v[40:41]
	v_fmac_f64_e32 v[0:1], v[22:23], v[40:41]
	v_fmac_f64_e32 v[76:77], 0, v[40:41]
	v_fmac_f64_e32 v[92:93], 0x80000000, v[42:43]
	v_fmac_f64_e32 v[84:85], v[24:25], v[42:43]
	v_fmac_f64_e32 v[90:91], 0x80000000, v[42:43]
	v_fmac_f64_e32 v[82:83], v[26:27], v[42:43]
	v_fmac_f64_e32 v[80:81], 0x80000000, v[42:43]
	v_fmac_f64_e32 v[78:79], v[20:21], v[42:43]
	v_fmac_f64_e32 v[0:1], 0x80000000, v[42:43]
	v_fmac_f64_e32 v[76:77], v[22:23], v[42:43]
	s_waitcnt vmcnt(3)
	v_fmac_f64_e32 v[92:93], v[16:17], v[44:45]
	v_fmac_f64_e32 v[84:85], 0, v[44:45]
	v_fmac_f64_e32 v[90:91], v[18:19], v[44:45]
	v_fmac_f64_e32 v[82:83], 0, v[44:45]
	v_fmac_f64_e32 v[80:81], v[12:13], v[44:45]
	v_fmac_f64_e32 v[78:79], 0, v[44:45]
	v_fmac_f64_e32 v[0:1], v[14:15], v[44:45]
	v_fmac_f64_e32 v[76:77], 0, v[44:45]
	v_fmac_f64_e32 v[92:93], 0x80000000, v[46:47]
	v_fmac_f64_e32 v[84:85], v[16:17], v[46:47]
	v_fmac_f64_e32 v[90:91], 0x80000000, v[46:47]
	v_fmac_f64_e32 v[82:83], v[18:19], v[46:47]
	v_fmac_f64_e32 v[80:81], 0x80000000, v[46:47]
	v_fmac_f64_e32 v[78:79], v[12:13], v[46:47]
	v_fmac_f64_e32 v[0:1], 0x80000000, v[46:47]
	v_fmac_f64_e32 v[76:77], v[14:15], v[46:47]
	;; [unrolled: 17-line block ×3, first 2 shown]
	s_waitcnt vmcnt(1)
	v_fmac_f64_e32 v[92:93], v[28:29], v[52:53]
	v_fmac_f64_e32 v[84:85], 0, v[52:53]
	;; [unrolled: 1-line block ×4, first 2 shown]
	s_waitcnt vmcnt(0)
	v_fmac_f64_e32 v[80:81], v[56:57], v[52:53]
	v_fmac_f64_e32 v[78:79], 0, v[52:53]
	v_fmac_f64_e32 v[0:1], v[58:59], v[52:53]
	v_fmac_f64_e32 v[76:77], 0, v[52:53]
	v_fmac_f64_e32 v[92:93], 0x80000000, v[54:55]
	v_fmac_f64_e32 v[84:85], v[28:29], v[54:55]
	v_fmac_f64_e32 v[90:91], 0x80000000, v[54:55]
	v_fmac_f64_e32 v[82:83], v[30:31], v[54:55]
	v_fmac_f64_e32 v[80:81], 0x80000000, v[54:55]
	v_fmac_f64_e32 v[78:79], v[56:57], v[54:55]
	v_fmac_f64_e32 v[0:1], 0x80000000, v[54:55]
	v_fmac_f64_e32 v[76:77], v[58:59], v[54:55]
	s_andn2_b64 exec, exec, s[10:11]
	s_cbranch_execnz .LBB136_27
; %bb.28:
	s_or_b64 exec, exec, s[10:11]
.LBB136_29:
	s_or_b64 exec, exec, s[2:3]
	v_cmp_lt_u32_e32 vcc, 23, v10
	s_and_saveexec_b64 s[2:3], vcc
	s_cbranch_execz .LBB136_33
; %bb.30:
	s_mov_b64 s[10:11], 0
	s_mov_b64 s[14:15], 0x1000
.LBB136_31:                             ; =>This Inner Loop Header: Depth=1
	v_ashrrev_i32_e32 v87, 31, v86
	v_lshl_add_u64 v[50:51], v[86:87], 2, s[8:9]
	global_load_dwordx4 v[10:13], v[88:89], off offset:48
	global_load_dwordx4 v[14:17], v[88:89], off offset:32
	;; [unrolled: 1-line block ×3, first 2 shown]
	global_load_dwordx4 v[58:61], v[88:89], off
	global_load_dwordx4 v[18:21], v[88:89], off offset:112
	global_load_dwordx4 v[30:33], v[88:89], off offset:96
	global_load_dwordx4 v[38:41], v[88:89], off offset:80
	global_load_dwordx4 v[46:49], v[88:89], off offset:64
	global_load_dwordx4 v[26:29], v[88:89], off offset:1072
	global_load_dwordx4 v[34:37], v[88:89], off offset:1056
	global_load_dwordx4 v[42:45], v[88:89], off offset:1040
	global_load_dword v52, v[50:51], off
	global_load_dword v56, v[50:51], off offset:32
	global_load_dword v63, v[50:51], off offset:64
	;; [unrolled: 1-line block ×3, first 2 shown]
	global_load_dwordx4 v[64:67], v[88:89], off offset:1120
	v_add_u32_e32 v86, 32, v86
	v_cmp_ge_i32_e32 vcc, v86, v100
	s_or_b64 s[10:11], vcc, s[10:11]
	global_load_dwordx4 v[68:71], v[88:89], off offset:1088
	s_waitcnt vmcnt(5)
	v_subrev_u32_e32 v50, s12, v52
	v_lshlrev_b32_e32 v50, 2, v50
	v_ashrrev_i32_e32 v51, 31, v50
	s_waitcnt lgkmcnt(0)
	v_lshl_add_u64 v[54:55], v[50:51], 4, s[4:5]
	global_load_dwordx4 v[50:53], v[54:55], off
	s_waitcnt vmcnt(3)
	v_subrev_u32_e32 v62, s12, v62
	s_waitcnt vmcnt(0)
	v_fmac_f64_e32 v[92:93], v[58:59], v[50:51]
	v_fmac_f64_e32 v[84:85], 0, v[50:51]
	v_fmac_f64_e32 v[90:91], v[60:61], v[50:51]
	v_fmac_f64_e32 v[82:83], 0, v[50:51]
	v_fmac_f64_e32 v[80:81], v[22:23], v[50:51]
	v_fmac_f64_e32 v[78:79], 0, v[50:51]
	v_fmac_f64_e32 v[0:1], v[24:25], v[50:51]
	v_fmac_f64_e32 v[76:77], 0, v[50:51]
	v_fmac_f64_e32 v[84:85], v[58:59], v[52:53]
	v_fmac_f64_e32 v[82:83], v[60:61], v[52:53]
	v_fmac_f64_e32 v[78:79], v[22:23], v[52:53]
	v_fmac_f64_e32 v[76:77], v[24:25], v[52:53]
	v_fmac_f64_e32 v[92:93], 0x80000000, v[52:53]
	v_fmac_f64_e32 v[90:91], 0x80000000, v[52:53]
	v_fmac_f64_e32 v[80:81], 0x80000000, v[52:53]
	v_fmac_f64_e32 v[0:1], 0x80000000, v[52:53]
	global_load_dwordx4 v[50:53], v[54:55], off offset:16
	global_load_dwordx4 v[58:61], v[88:89], off offset:1024
	;; [unrolled: 1-line block ×3, first 2 shown]
	s_waitcnt vmcnt(2)
	v_fmac_f64_e32 v[84:85], 0, v[50:51]
	v_fmac_f64_e32 v[82:83], 0, v[50:51]
	;; [unrolled: 1-line block ×6, first 2 shown]
	global_load_dwordx4 v[14:17], v[54:55], off offset:32
	v_fmac_f64_e32 v[80:81], v[10:11], v[50:51]
	v_fmac_f64_e32 v[78:79], 0, v[50:51]
	;; [unrolled: 1-line block ×10, first 2 shown]
	global_load_dwordx4 v[10:13], v[88:89], off offset:1104
	s_waitcnt vmcnt(1)
	v_fmac_f64_e32 v[92:93], v[46:47], v[14:15]
	v_fmac_f64_e32 v[84:85], 0, v[14:15]
	;; [unrolled: 1-line block ×12, first 2 shown]
	global_load_dwordx4 v[38:41], v[88:89], off offset:2096
	v_fmac_f64_e32 v[92:93], 0x80000000, v[16:17]
	v_fmac_f64_e32 v[90:91], 0x80000000, v[16:17]
	;; [unrolled: 1-line block ×4, first 2 shown]
	global_load_dwordx4 v[46:49], v[88:89], off offset:2080
	global_load_dwordx4 v[14:17], v[54:55], off offset:48
	;; [unrolled: 1-line block ×4, first 2 shown]
	s_waitcnt vmcnt(2)
	v_fmac_f64_e32 v[84:85], 0, v[14:15]
	v_fmac_f64_e32 v[92:93], v[30:31], v[14:15]
	;; [unrolled: 1-line block ×3, first 2 shown]
	v_subrev_u32_e32 v30, s12, v56
	v_fmac_f64_e32 v[90:91], v[32:33], v[14:15]
	v_fmac_f64_e32 v[82:83], 0, v[14:15]
	;; [unrolled: 1-line block ×6, first 2 shown]
	v_lshlrev_b32_e32 v14, 2, v30
	v_ashrrev_i32_e32 v15, 31, v14
	v_fmac_f64_e32 v[78:79], v[18:19], v[16:17]
	v_lshl_add_u64 v[18:19], v[14:15], 4, s[4:5]
	v_fmac_f64_e32 v[82:83], v[32:33], v[16:17]
	v_fmac_f64_e32 v[76:77], v[20:21], v[16:17]
	;; [unrolled: 1-line block ×6, first 2 shown]
	global_load_dwordx4 v[14:17], v[18:19], off
	global_load_dwordx4 v[30:33], v[88:89], off offset:2160
	global_load_dwordx4 v[54:57], v[88:89], off offset:2128
	s_waitcnt vmcnt(2)
	v_fmac_f64_e32 v[92:93], v[58:59], v[14:15]
	v_fmac_f64_e32 v[84:85], 0, v[14:15]
	;; [unrolled: 1-line block ×16, first 2 shown]
	global_load_dwordx4 v[14:17], v[18:19], off offset:16
	global_load_dwordx4 v[42:45], v[88:89], off offset:2144
	;; [unrolled: 1-line block ×3, first 2 shown]
	s_waitcnt vmcnt(2)
	v_fmac_f64_e32 v[92:93], v[34:35], v[14:15]
	v_fmac_f64_e32 v[84:85], 0, v[14:15]
	;; [unrolled: 1-line block ×16, first 2 shown]
	global_load_dwordx4 v[14:17], v[18:19], off offset:32
	s_waitcnt vmcnt(0)
	v_fmac_f64_e32 v[92:93], v[68:69], v[14:15]
	v_fmac_f64_e32 v[84:85], 0, v[14:15]
	;; [unrolled: 1-line block ×12, first 2 shown]
	global_load_dwordx4 v[10:13], v[88:89], off offset:3120
	v_fmac_f64_e32 v[92:93], 0x80000000, v[16:17]
	v_fmac_f64_e32 v[90:91], 0x80000000, v[16:17]
	;; [unrolled: 1-line block ×4, first 2 shown]
	global_load_dwordx4 v[14:17], v[88:89], off offset:3104
	global_load_dwordx4 v[26:29], v[18:19], off offset:48
	;; [unrolled: 1-line block ×3, first 2 shown]
	s_waitcnt vmcnt(1)
	v_fmac_f64_e32 v[92:93], v[64:65], v[26:27]
	v_fmac_f64_e32 v[84:85], 0, v[26:27]
	;; [unrolled: 1-line block ×8, first 2 shown]
	v_subrev_u32_e32 v26, s12, v63
	v_lshlrev_b32_e32 v26, 2, v26
	v_ashrrev_i32_e32 v27, 31, v26
	v_lshl_add_u64 v[68:69], v[26:27], 4, s[4:5]
	v_fmac_f64_e32 v[84:85], v[64:65], v[28:29]
	v_fmac_f64_e32 v[82:83], v[66:67], v[28:29]
	global_load_dwordx4 v[64:67], v[68:69], off
	v_fmac_f64_e32 v[78:79], v[22:23], v[28:29]
	v_fmac_f64_e32 v[76:77], v[24:25], v[28:29]
	;; [unrolled: 1-line block ×6, first 2 shown]
	global_load_dwordx4 v[18:21], v[88:89], off offset:3088
	global_load_dwordx4 v[22:25], v[88:89], off offset:3072
	global_load_dwordx4 v[26:29], v[88:89], off offset:3168
	s_waitcnt vmcnt(3)
	v_fmac_f64_e32 v[78:79], 0, v[64:65]
	v_fmac_f64_e32 v[76:77], 0, v[64:65]
	;; [unrolled: 1-line block ×6, first 2 shown]
	global_load_dwordx4 v[50:53], v[68:69], off offset:16
	v_fmac_f64_e32 v[84:85], 0, v[64:65]
	v_fmac_f64_e32 v[82:83], 0, v[64:65]
	;; [unrolled: 1-line block ×10, first 2 shown]
	s_waitcnt vmcnt(0)
	v_fmac_f64_e32 v[78:79], 0, v[50:51]
	v_fmac_f64_e32 v[80:81], v[38:39], v[50:51]
	;; [unrolled: 1-line block ×3, first 2 shown]
	v_lshlrev_b32_e32 v38, 2, v62
	v_fmac_f64_e32 v[84:85], 0, v[50:51]
	v_fmac_f64_e32 v[82:83], 0, v[50:51]
	;; [unrolled: 1-line block ×3, first 2 shown]
	v_ashrrev_i32_e32 v39, 31, v38
	v_fmac_f64_e32 v[92:93], v[46:47], v[50:51]
	v_fmac_f64_e32 v[90:91], v[48:49], v[50:51]
	;; [unrolled: 1-line block ×4, first 2 shown]
	global_load_dwordx4 v[46:49], v[88:89], off offset:3136
	v_fmac_f64_e32 v[0:1], v[40:41], v[50:51]
	v_fmac_f64_e32 v[76:77], v[40:41], v[52:53]
	v_lshl_add_u64 v[66:67], v[38:39], 4, s[4:5]
	global_load_dwordx4 v[38:41], v[68:69], off offset:32
	global_load_dwordx4 v[62:65], v[68:69], off offset:48
	v_fmac_f64_e32 v[92:93], 0x80000000, v[52:53]
	v_fmac_f64_e32 v[90:91], 0x80000000, v[52:53]
	;; [unrolled: 1-line block ×4, first 2 shown]
	global_load_dwordx4 v[50:53], v[66:67], off offset:32
	s_waitcnt vmcnt(2)
	v_fmac_f64_e32 v[84:85], 0, v[38:39]
	v_fmac_f64_e32 v[82:83], 0, v[38:39]
	;; [unrolled: 1-line block ×6, first 2 shown]
	global_load_dwordx4 v[58:61], v[66:67], off
	v_fmac_f64_e32 v[78:79], 0, v[38:39]
	v_fmac_f64_e32 v[76:77], 0, v[38:39]
	;; [unrolled: 1-line block ×6, first 2 shown]
	global_load_dwordx4 v[54:57], v[66:67], off offset:16
	v_fmac_f64_e32 v[80:81], 0x80000000, v[40:41]
	v_fmac_f64_e32 v[0:1], 0x80000000, v[40:41]
	s_waitcnt vmcnt(3)
	v_fmac_f64_e32 v[78:79], 0, v[62:63]
	v_fmac_f64_e32 v[76:77], 0, v[62:63]
	;; [unrolled: 1-line block ×4, first 2 shown]
	global_load_dwordx4 v[38:41], v[66:67], off offset:48
	v_fmac_f64_e32 v[80:81], v[30:31], v[62:63]
	v_fmac_f64_e32 v[0:1], v[32:33], v[62:63]
	;; [unrolled: 1-line block ×4, first 2 shown]
	global_load_dwordx4 v[30:33], v[88:89], off offset:3184
	v_fmac_f64_e32 v[92:93], v[42:43], v[62:63]
	v_fmac_f64_e32 v[84:85], 0, v[62:63]
	;; [unrolled: 1-line block ×10, first 2 shown]
	v_lshl_add_u64 v[88:89], v[88:89], 0, s[14:15]
	s_waitcnt vmcnt(3)
	v_fmac_f64_e32 v[92:93], v[22:23], v[58:59]
	v_fmac_f64_e32 v[84:85], 0, v[58:59]
	v_fmac_f64_e32 v[90:91], v[24:25], v[58:59]
	v_fmac_f64_e32 v[82:83], 0, v[58:59]
	v_fmac_f64_e32 v[80:81], v[18:19], v[58:59]
	v_fmac_f64_e32 v[78:79], 0, v[58:59]
	v_fmac_f64_e32 v[0:1], v[20:21], v[58:59]
	v_fmac_f64_e32 v[76:77], 0, v[58:59]
	v_fmac_f64_e32 v[92:93], 0x80000000, v[60:61]
	v_fmac_f64_e32 v[84:85], v[22:23], v[60:61]
	v_fmac_f64_e32 v[90:91], 0x80000000, v[60:61]
	v_fmac_f64_e32 v[82:83], v[24:25], v[60:61]
	v_fmac_f64_e32 v[80:81], 0x80000000, v[60:61]
	v_fmac_f64_e32 v[78:79], v[18:19], v[60:61]
	v_fmac_f64_e32 v[0:1], 0x80000000, v[60:61]
	v_fmac_f64_e32 v[76:77], v[20:21], v[60:61]
	s_waitcnt vmcnt(2)
	v_fmac_f64_e32 v[92:93], v[14:15], v[54:55]
	v_fmac_f64_e32 v[84:85], 0, v[54:55]
	;; [unrolled: 1-line block ×32, first 2 shown]
	s_waitcnt vmcnt(1)
	v_fmac_f64_e32 v[92:93], v[26:27], v[38:39]
	v_fmac_f64_e32 v[84:85], 0, v[38:39]
	;; [unrolled: 1-line block ×4, first 2 shown]
	s_waitcnt vmcnt(0)
	v_fmac_f64_e32 v[80:81], v[30:31], v[38:39]
	v_fmac_f64_e32 v[78:79], 0, v[38:39]
	;; [unrolled: 1-line block ×12, first 2 shown]
	s_andn2_b64 exec, exec, s[10:11]
	s_cbranch_execnz .LBB136_31
; %bb.32:
	s_or_b64 exec, exec, s[10:11]
.LBB136_33:
	s_or_b64 exec, exec, s[2:3]
.LBB136_34:
	s_or_b64 exec, exec, s[6:7]
.LBB136_35:
	v_mov_b32_dpp v10, v92 row_shr:1 row_mask:0xf bank_mask:0xf
	v_mov_b32_dpp v11, v93 row_shr:1 row_mask:0xf bank_mask:0xf
	;; [unrolled: 1-line block ×16, first 2 shown]
	v_add_f64 v[10:11], v[92:93], v[10:11]
	v_add_f64 v[14:15], v[84:85], v[14:15]
	;; [unrolled: 1-line block ×8, first 2 shown]
	v_mov_b32_dpp v12, v10 row_shr:2 row_mask:0xf bank_mask:0xf
	v_mov_b32_dpp v13, v11 row_shr:2 row_mask:0xf bank_mask:0xf
	;; [unrolled: 1-line block ×16, first 2 shown]
	v_add_f64 v[10:11], v[10:11], v[12:13]
	v_add_f64 v[14:15], v[14:15], v[16:17]
	v_add_f64 v[18:19], v[18:19], v[20:21]
	v_add_f64 v[22:23], v[22:23], v[24:25]
	v_add_f64 v[26:27], v[26:27], v[28:29]
	v_add_f64 v[30:31], v[30:31], v[32:33]
	v_add_f64 v[0:1], v[0:1], v[34:35]
	v_add_f64 v[36:37], v[36:37], v[38:39]
	v_mov_b32_dpp v12, v10 row_shr:4 row_mask:0xf bank_mask:0xe
	v_mov_b32_dpp v13, v11 row_shr:4 row_mask:0xf bank_mask:0xe
	;; [unrolled: 1-line block ×16, first 2 shown]
	v_cmp_eq_u32_e32 vcc, 7, v75
	s_and_b64 exec, exec, vcc
	s_cbranch_execz .LBB136_8
; %bb.36:
	s_load_dwordx2 s[2:3], s[0:1], 0x60
	v_add_f64 v[40:41], v[10:11], v[12:13]
	v_add_f64 v[10:11], v[14:15], v[16:17]
	;; [unrolled: 1-line block ×8, first 2 shown]
	v_cmp_eq_f64_e32 vcc, 0, v[2:3]
	v_cmp_eq_f64_e64 s[0:1], 0, v[4:5]
	v_mul_f64 v[22:23], v[10:11], -v[8:9]
	v_mul_f64 v[24:25], v[6:7], v[10:11]
	v_mul_f64 v[18:19], v[12:13], -v[8:9]
	v_mul_f64 v[20:21], v[6:7], v[12:13]
	;; [unrolled: 2-line block ×4, first 2 shown]
	s_and_b64 s[0:1], vcc, s[0:1]
	v_fmac_f64_e32 v[22:23], v[6:7], v[40:41]
	v_fmac_f64_e32 v[24:25], v[8:9], v[40:41]
	v_lshlrev_b32_e32 v0, 2, v74
	v_fmac_f64_e32 v[18:19], v[6:7], v[42:43]
	v_fmac_f64_e32 v[20:21], v[8:9], v[42:43]
	;; [unrolled: 1-line block ×6, first 2 shown]
	s_waitcnt lgkmcnt(0)
	s_and_saveexec_b64 s[4:5], s[0:1]
	s_xor_b64 s[0:1], exec, s[4:5]
	s_cbranch_execz .LBB136_38
; %bb.37:
	v_ashrrev_i32_e32 v1, 31, v0
	v_lshl_add_u64 v[0:1], v[0:1], 4, s[2:3]
	global_store_dwordx4 v[0:1], v[22:25], off
	global_store_dwordx4 v[0:1], v[18:21], off offset:16
	global_store_dwordx4 v[0:1], v[14:17], off offset:32
	;; [unrolled: 1-line block ×3, first 2 shown]
                                        ; implicit-def: $vgpr4_vgpr5
                                        ; implicit-def: $vgpr22_vgpr23
                                        ; implicit-def: $vgpr0
                                        ; implicit-def: $vgpr18_vgpr19
                                        ; implicit-def: $vgpr14_vgpr15
                                        ; implicit-def: $vgpr10_vgpr11
.LBB136_38:
	s_andn2_saveexec_b64 s[0:1], s[0:1]
	s_cbranch_execz .LBB136_8
; %bb.39:
	v_ashrrev_i32_e32 v1, 31, v0
	v_lshl_add_u64 v[0:1], v[0:1], 4, s[2:3]
	global_load_dwordx4 v[6:9], v[0:1], off
	global_load_dwordx4 v[26:29], v[0:1], off offset:16
	global_load_dwordx4 v[30:33], v[0:1], off offset:32
	global_load_dwordx4 v[34:37], v[0:1], off offset:48
	s_waitcnt vmcnt(3)
	v_fmac_f64_e32 v[22:23], v[2:3], v[6:7]
	v_fmac_f64_e32 v[24:25], v[4:5], v[6:7]
	s_waitcnt vmcnt(2)
	v_fmac_f64_e32 v[18:19], v[2:3], v[26:27]
	v_fmac_f64_e32 v[20:21], v[4:5], v[26:27]
	s_waitcnt vmcnt(1)
	v_fmac_f64_e32 v[14:15], v[2:3], v[30:31]
	v_fmac_f64_e32 v[16:17], v[4:5], v[30:31]
	s_waitcnt vmcnt(0)
	v_fmac_f64_e32 v[10:11], v[2:3], v[34:35]
	v_fmac_f64_e32 v[12:13], v[4:5], v[34:35]
	v_fma_f64 v[22:23], -v[4:5], v[8:9], v[22:23]
	v_fmac_f64_e32 v[24:25], v[2:3], v[8:9]
	v_fma_f64 v[18:19], -v[4:5], v[28:29], v[18:19]
	v_fmac_f64_e32 v[20:21], v[2:3], v[28:29]
	;; [unrolled: 2-line block ×4, first 2 shown]
	global_store_dwordx4 v[0:1], v[22:25], off
	global_store_dwordx4 v[0:1], v[18:21], off offset:16
	global_store_dwordx4 v[0:1], v[14:17], off offset:32
	;; [unrolled: 1-line block ×3, first 2 shown]
	s_endpgm
	.section	.rodata,"a",@progbits
	.p2align	6, 0x0
	.amdhsa_kernel _ZN9rocsparseL18bsrxmvn_4x4_kernelILj128ELj8E21rocsparse_complex_numIdEiidS2_S2_EEvT3_20rocsparse_direction_NS_24const_host_device_scalarIT1_EES3_PKS3_PKT2_SC_S9_PKT4_PKT5_S7_PT6_21rocsparse_index_base_b
		.amdhsa_group_segment_fixed_size 0
		.amdhsa_private_segment_fixed_size 0
		.amdhsa_kernarg_size 112
		.amdhsa_user_sgpr_count 2
		.amdhsa_user_sgpr_dispatch_ptr 0
		.amdhsa_user_sgpr_queue_ptr 0
		.amdhsa_user_sgpr_kernarg_segment_ptr 1
		.amdhsa_user_sgpr_dispatch_id 0
		.amdhsa_user_sgpr_kernarg_preload_length 0
		.amdhsa_user_sgpr_kernarg_preload_offset 0
		.amdhsa_user_sgpr_private_segment_size 0
		.amdhsa_uses_dynamic_stack 0
		.amdhsa_enable_private_segment 0
		.amdhsa_system_sgpr_workgroup_id_x 1
		.amdhsa_system_sgpr_workgroup_id_y 0
		.amdhsa_system_sgpr_workgroup_id_z 0
		.amdhsa_system_sgpr_workgroup_info 0
		.amdhsa_system_vgpr_workitem_id 0
		.amdhsa_next_free_vgpr 112
		.amdhsa_next_free_sgpr 18
		.amdhsa_accum_offset 112
		.amdhsa_reserve_vcc 1
		.amdhsa_float_round_mode_32 0
		.amdhsa_float_round_mode_16_64 0
		.amdhsa_float_denorm_mode_32 3
		.amdhsa_float_denorm_mode_16_64 3
		.amdhsa_dx10_clamp 1
		.amdhsa_ieee_mode 1
		.amdhsa_fp16_overflow 0
		.amdhsa_tg_split 0
		.amdhsa_exception_fp_ieee_invalid_op 0
		.amdhsa_exception_fp_denorm_src 0
		.amdhsa_exception_fp_ieee_div_zero 0
		.amdhsa_exception_fp_ieee_overflow 0
		.amdhsa_exception_fp_ieee_underflow 0
		.amdhsa_exception_fp_ieee_inexact 0
		.amdhsa_exception_int_div_zero 0
	.end_amdhsa_kernel
	.section	.text._ZN9rocsparseL18bsrxmvn_4x4_kernelILj128ELj8E21rocsparse_complex_numIdEiidS2_S2_EEvT3_20rocsparse_direction_NS_24const_host_device_scalarIT1_EES3_PKS3_PKT2_SC_S9_PKT4_PKT5_S7_PT6_21rocsparse_index_base_b,"axG",@progbits,_ZN9rocsparseL18bsrxmvn_4x4_kernelILj128ELj8E21rocsparse_complex_numIdEiidS2_S2_EEvT3_20rocsparse_direction_NS_24const_host_device_scalarIT1_EES3_PKS3_PKT2_SC_S9_PKT4_PKT5_S7_PT6_21rocsparse_index_base_b,comdat
.Lfunc_end136:
	.size	_ZN9rocsparseL18bsrxmvn_4x4_kernelILj128ELj8E21rocsparse_complex_numIdEiidS2_S2_EEvT3_20rocsparse_direction_NS_24const_host_device_scalarIT1_EES3_PKS3_PKT2_SC_S9_PKT4_PKT5_S7_PT6_21rocsparse_index_base_b, .Lfunc_end136-_ZN9rocsparseL18bsrxmvn_4x4_kernelILj128ELj8E21rocsparse_complex_numIdEiidS2_S2_EEvT3_20rocsparse_direction_NS_24const_host_device_scalarIT1_EES3_PKS3_PKT2_SC_S9_PKT4_PKT5_S7_PT6_21rocsparse_index_base_b
                                        ; -- End function
	.set _ZN9rocsparseL18bsrxmvn_4x4_kernelILj128ELj8E21rocsparse_complex_numIdEiidS2_S2_EEvT3_20rocsparse_direction_NS_24const_host_device_scalarIT1_EES3_PKS3_PKT2_SC_S9_PKT4_PKT5_S7_PT6_21rocsparse_index_base_b.num_vgpr, 112
	.set _ZN9rocsparseL18bsrxmvn_4x4_kernelILj128ELj8E21rocsparse_complex_numIdEiidS2_S2_EEvT3_20rocsparse_direction_NS_24const_host_device_scalarIT1_EES3_PKS3_PKT2_SC_S9_PKT4_PKT5_S7_PT6_21rocsparse_index_base_b.num_agpr, 0
	.set _ZN9rocsparseL18bsrxmvn_4x4_kernelILj128ELj8E21rocsparse_complex_numIdEiidS2_S2_EEvT3_20rocsparse_direction_NS_24const_host_device_scalarIT1_EES3_PKS3_PKT2_SC_S9_PKT4_PKT5_S7_PT6_21rocsparse_index_base_b.numbered_sgpr, 18
	.set _ZN9rocsparseL18bsrxmvn_4x4_kernelILj128ELj8E21rocsparse_complex_numIdEiidS2_S2_EEvT3_20rocsparse_direction_NS_24const_host_device_scalarIT1_EES3_PKS3_PKT2_SC_S9_PKT4_PKT5_S7_PT6_21rocsparse_index_base_b.num_named_barrier, 0
	.set _ZN9rocsparseL18bsrxmvn_4x4_kernelILj128ELj8E21rocsparse_complex_numIdEiidS2_S2_EEvT3_20rocsparse_direction_NS_24const_host_device_scalarIT1_EES3_PKS3_PKT2_SC_S9_PKT4_PKT5_S7_PT6_21rocsparse_index_base_b.private_seg_size, 0
	.set _ZN9rocsparseL18bsrxmvn_4x4_kernelILj128ELj8E21rocsparse_complex_numIdEiidS2_S2_EEvT3_20rocsparse_direction_NS_24const_host_device_scalarIT1_EES3_PKS3_PKT2_SC_S9_PKT4_PKT5_S7_PT6_21rocsparse_index_base_b.uses_vcc, 1
	.set _ZN9rocsparseL18bsrxmvn_4x4_kernelILj128ELj8E21rocsparse_complex_numIdEiidS2_S2_EEvT3_20rocsparse_direction_NS_24const_host_device_scalarIT1_EES3_PKS3_PKT2_SC_S9_PKT4_PKT5_S7_PT6_21rocsparse_index_base_b.uses_flat_scratch, 0
	.set _ZN9rocsparseL18bsrxmvn_4x4_kernelILj128ELj8E21rocsparse_complex_numIdEiidS2_S2_EEvT3_20rocsparse_direction_NS_24const_host_device_scalarIT1_EES3_PKS3_PKT2_SC_S9_PKT4_PKT5_S7_PT6_21rocsparse_index_base_b.has_dyn_sized_stack, 0
	.set _ZN9rocsparseL18bsrxmvn_4x4_kernelILj128ELj8E21rocsparse_complex_numIdEiidS2_S2_EEvT3_20rocsparse_direction_NS_24const_host_device_scalarIT1_EES3_PKS3_PKT2_SC_S9_PKT4_PKT5_S7_PT6_21rocsparse_index_base_b.has_recursion, 0
	.set _ZN9rocsparseL18bsrxmvn_4x4_kernelILj128ELj8E21rocsparse_complex_numIdEiidS2_S2_EEvT3_20rocsparse_direction_NS_24const_host_device_scalarIT1_EES3_PKS3_PKT2_SC_S9_PKT4_PKT5_S7_PT6_21rocsparse_index_base_b.has_indirect_call, 0
	.section	.AMDGPU.csdata,"",@progbits
; Kernel info:
; codeLenInByte = 6704
; TotalNumSgprs: 24
; NumVgprs: 112
; NumAgprs: 0
; TotalNumVgprs: 112
; ScratchSize: 0
; MemoryBound: 0
; FloatMode: 240
; IeeeMode: 1
; LDSByteSize: 0 bytes/workgroup (compile time only)
; SGPRBlocks: 2
; VGPRBlocks: 13
; NumSGPRsForWavesPerEU: 24
; NumVGPRsForWavesPerEU: 112
; AccumOffset: 112
; Occupancy: 4
; WaveLimiterHint : 1
; COMPUTE_PGM_RSRC2:SCRATCH_EN: 0
; COMPUTE_PGM_RSRC2:USER_SGPR: 2
; COMPUTE_PGM_RSRC2:TRAP_HANDLER: 0
; COMPUTE_PGM_RSRC2:TGID_X_EN: 1
; COMPUTE_PGM_RSRC2:TGID_Y_EN: 0
; COMPUTE_PGM_RSRC2:TGID_Z_EN: 0
; COMPUTE_PGM_RSRC2:TIDIG_COMP_CNT: 0
; COMPUTE_PGM_RSRC3_GFX90A:ACCUM_OFFSET: 27
; COMPUTE_PGM_RSRC3_GFX90A:TG_SPLIT: 0
	.section	.text._ZN9rocsparseL18bsrxmvn_4x4_kernelILj128ELj16E21rocsparse_complex_numIdEiidS2_S2_EEvT3_20rocsparse_direction_NS_24const_host_device_scalarIT1_EES3_PKS3_PKT2_SC_S9_PKT4_PKT5_S7_PT6_21rocsparse_index_base_b,"axG",@progbits,_ZN9rocsparseL18bsrxmvn_4x4_kernelILj128ELj16E21rocsparse_complex_numIdEiidS2_S2_EEvT3_20rocsparse_direction_NS_24const_host_device_scalarIT1_EES3_PKS3_PKT2_SC_S9_PKT4_PKT5_S7_PT6_21rocsparse_index_base_b,comdat
	.globl	_ZN9rocsparseL18bsrxmvn_4x4_kernelILj128ELj16E21rocsparse_complex_numIdEiidS2_S2_EEvT3_20rocsparse_direction_NS_24const_host_device_scalarIT1_EES3_PKS3_PKT2_SC_S9_PKT4_PKT5_S7_PT6_21rocsparse_index_base_b ; -- Begin function _ZN9rocsparseL18bsrxmvn_4x4_kernelILj128ELj16E21rocsparse_complex_numIdEiidS2_S2_EEvT3_20rocsparse_direction_NS_24const_host_device_scalarIT1_EES3_PKS3_PKT2_SC_S9_PKT4_PKT5_S7_PT6_21rocsparse_index_base_b
	.p2align	8
	.type	_ZN9rocsparseL18bsrxmvn_4x4_kernelILj128ELj16E21rocsparse_complex_numIdEiidS2_S2_EEvT3_20rocsparse_direction_NS_24const_host_device_scalarIT1_EES3_PKS3_PKT2_SC_S9_PKT4_PKT5_S7_PT6_21rocsparse_index_base_b,@function
_ZN9rocsparseL18bsrxmvn_4x4_kernelILj128ELj16E21rocsparse_complex_numIdEiidS2_S2_EEvT3_20rocsparse_direction_NS_24const_host_device_scalarIT1_EES3_PKS3_PKT2_SC_S9_PKT4_PKT5_S7_PT6_21rocsparse_index_base_b: ; @_ZN9rocsparseL18bsrxmvn_4x4_kernelILj128ELj16E21rocsparse_complex_numIdEiidS2_S2_EEvT3_20rocsparse_direction_NS_24const_host_device_scalarIT1_EES3_PKS3_PKT2_SC_S9_PKT4_PKT5_S7_PT6_21rocsparse_index_base_b
; %bb.0:
	s_load_dwordx2 s[4:5], s[0:1], 0x8
	s_load_dwordx2 s[12:13], s[0:1], 0x68
	s_add_u32 s3, s0, 8
	s_addc_u32 s8, s1, 0
	s_add_u32 s9, s0, 0x50
	s_load_dwordx2 s[6:7], s[0:1], 0x50
	s_addc_u32 s10, s1, 0
	s_waitcnt lgkmcnt(0)
	s_bitcmp1_b32 s13, 0
	s_cselect_b32 s5, s8, s5
	s_cselect_b32 s3, s3, s4
	v_mov_b32_e32 v2, s3
	v_mov_b32_e32 v3, s5
	flat_load_dwordx4 v[6:9], v[2:3]
	s_cselect_b32 s3, s10, s7
	s_cselect_b32 s4, s9, s6
	v_mov_b32_e32 v2, s4
	v_mov_b32_e32 v3, s3
	flat_load_dwordx4 v[2:5], v[2:3]
	s_waitcnt vmcnt(0) lgkmcnt(0)
	v_cmp_eq_f64_e32 vcc, 0, v[6:7]
	v_cmp_eq_f64_e64 s[4:5], 0, v[8:9]
	s_and_b64 s[8:9], vcc, s[4:5]
	s_mov_b64 s[4:5], -1
	s_and_saveexec_b64 s[6:7], s[8:9]
; %bb.1:
	v_cmp_neq_f64_e32 vcc, 1.0, v[2:3]
	v_cmp_neq_f64_e64 s[4:5], 0, v[4:5]
	s_or_b64 s[4:5], vcc, s[4:5]
	s_orn2_b64 s[4:5], s[4:5], exec
; %bb.2:
	s_or_b64 exec, exec, s[6:7]
	s_and_saveexec_b64 s[6:7], s[4:5]
	s_cbranch_execz .LBB137_8
; %bb.3:
	s_load_dwordx2 s[4:5], s[0:1], 0x20
	s_load_dwordx2 s[14:15], s[0:1], 0x0
	v_lshrrev_b32_e32 v1, 4, v0
	v_lshl_or_b32 v74, s2, 3, v1
	s_mov_b64 s[2:3], 0
	s_waitcnt lgkmcnt(0)
	s_cmp_lg_u64 s[4:5], 0
	s_cbranch_scc0 .LBB137_9
; %bb.4:
	s_load_dword s6, s[0:1], 0x18
                                        ; implicit-def: $vgpr1
	s_waitcnt lgkmcnt(0)
	v_cmp_gt_i32_e32 vcc, s6, v74
	s_and_saveexec_b64 s[6:7], vcc
	s_xor_b64 s[6:7], exec, s[6:7]
	s_cbranch_execz .LBB137_6
; %bb.5:
	v_ashrrev_i32_e32 v75, 31, v74
	v_lshl_add_u64 v[10:11], v[74:75], 2, s[4:5]
	global_load_dword v1, v[10:11], off
	s_mov_b64 s[2:3], exec
	s_waitcnt vmcnt(0)
	v_subrev_u32_e32 v1, s12, v1
.LBB137_6:
	s_or_b64 exec, exec, s[6:7]
	s_branch .LBB137_10
.LBB137_7:
	v_cmp_gt_i32_e32 vcc, s14, v74
	s_andn2_b64 s[2:3], s[2:3], exec
	s_and_b64 s[4:5], vcc, exec
	s_or_b64 s[2:3], s[2:3], s[4:5]
	s_and_b64 exec, exec, s[2:3]
	s_cbranch_execnz .LBB137_11
.LBB137_8:
	s_endpgm
.LBB137_9:
                                        ; implicit-def: $vgpr1
	s_cbranch_execnz .LBB137_7
.LBB137_10:
	v_mov_b32_e32 v74, v1
	s_and_b64 exec, exec, s[2:3]
	s_cbranch_execz .LBB137_8
.LBB137_11:
	s_load_dwordx8 s[4:11], s[0:1], 0x28
	v_ashrrev_i32_e32 v75, 31, v74
	v_lshlrev_b64 v[10:11], 2, v[74:75]
	v_and_b32_e32 v75, 15, v0
	s_waitcnt lgkmcnt(0)
	v_lshl_add_u64 v[12:13], s[4:5], 0, v[10:11]
	s_cmp_eq_u64 s[6:7], 0
	global_load_dword v99, v[12:13], off
	v_lshl_add_u64 v[12:13], v[12:13], 0, 4
	v_lshl_add_u64 v[10:11], s[6:7], 0, v[10:11]
	s_cselect_b64 vcc, -1, 0
	v_cndmask_b32_e32 v11, v11, v13, vcc
	v_cndmask_b32_e32 v10, v10, v12, vcc
	global_load_dword v1, v[10:11], off
	s_load_dwordx2 s[4:5], s[0:1], 0x48
	s_cmp_eq_u32 s15, 1
	s_waitcnt vmcnt(1)
	v_subrev_u32_e32 v0, s12, v99
	v_add_u32_e32 v86, v0, v75
	v_ashrrev_i32_e32 v87, 31, v86
	s_waitcnt vmcnt(0)
	v_subrev_u32_e32 v98, s12, v1
	v_lshlrev_b64 v[0:1], 7, v[86:87]
	v_lshl_add_u64 v[90:91], s[10:11], 0, v[0:1]
	v_cmp_lt_i32_e64 s[2:3], v86, v98
	s_cbranch_scc1 .LBB137_23
; %bb.12:
	v_mov_b64_e32 v[84:85], 0
	v_mov_b64_e32 v[92:93], 0
	;; [unrolled: 1-line block ×8, first 2 shown]
	s_and_saveexec_b64 s[6:7], s[2:3]
	s_cbranch_execz .LBB137_22
; %bb.13:
	v_add_u32_e32 v0, v99, v75
	v_subrev_u32_e32 v0, s12, v0
	v_add_u32_e32 v0, 16, v0
	v_max_i32_e32 v0, v0, v98
	v_not_b32_e32 v1, v99
	v_add3_u32 v0, s12, v0, v1
	v_sub_u32_e32 v10, v0, v75
	v_and_b32_e32 v0, 48, v10
	v_cmp_ne_u32_e32 vcc, 48, v0
	v_mov_b64_e32 v[76:77], 0
	v_mov_b64_e32 v[0:1], 0
	;; [unrolled: 1-line block ×9, first 2 shown]
	v_mov_b32_e32 v94, v86
	s_and_saveexec_b64 s[10:11], vcc
	s_cbranch_execz .LBB137_17
; %bb.14:
	v_lshrrev_b32_e32 v0, 4, v10
	v_add_u32_e32 v0, 1, v0
	v_and_b32_e32 v0, 3, v0
	v_sub_u32_e32 v11, 0, v0
	v_mov_b64_e32 v[84:85], 0
	s_mov_b64 s[14:15], 0
	s_mov_b64 s[16:17], 0x800
	v_mov_b32_e32 v94, v86
	v_mov_b64_e32 v[96:97], v[90:91]
	v_mov_b64_e32 v[92:93], 0
	;; [unrolled: 1-line block ×8, first 2 shown]
.LBB137_15:                             ; =>This Inner Loop Header: Depth=1
	v_ashrrev_i32_e32 v95, 31, v94
	v_lshl_add_u64 v[44:45], v[94:95], 2, s[8:9]
	global_load_dword v46, v[44:45], off
	global_load_dwordx4 v[12:15], v[96:97], off offset:48
	global_load_dwordx4 v[16:19], v[96:97], off offset:32
	;; [unrolled: 1-line block ×3, first 2 shown]
	global_load_dwordx4 v[24:27], v[96:97], off
	global_load_dwordx4 v[28:31], v[96:97], off offset:112
	global_load_dwordx4 v[32:35], v[96:97], off offset:96
	;; [unrolled: 1-line block ×4, first 2 shown]
	v_add_co_u32_e32 v11, vcc, 1, v11
	v_lshl_add_u64 v[96:97], v[96:97], 0, s[16:17]
	v_add_u32_e32 v94, 16, v94
	s_or_b64 s[14:15], vcc, s[14:15]
	s_waitcnt vmcnt(8)
	v_subrev_u32_e32 v44, s12, v46
	v_lshlrev_b32_e32 v44, 2, v44
	v_ashrrev_i32_e32 v45, 31, v44
	s_waitcnt lgkmcnt(0)
	v_lshl_add_u64 v[60:61], v[44:45], 4, s[4:5]
	global_load_dwordx4 v[44:47], v[60:61], off
	global_load_dwordx4 v[48:51], v[60:61], off offset:16
	global_load_dwordx4 v[52:55], v[60:61], off offset:32
	;; [unrolled: 1-line block ×3, first 2 shown]
	s_waitcnt vmcnt(3)
	v_fmac_f64_e32 v[92:93], v[24:25], v[44:45]
	v_fmac_f64_e32 v[84:85], 0, v[44:45]
	v_fmac_f64_e32 v[88:89], v[16:17], v[44:45]
	v_fmac_f64_e32 v[82:83], 0, v[44:45]
	v_fmac_f64_e32 v[80:81], v[40:41], v[44:45]
	v_fmac_f64_e32 v[78:79], 0, v[44:45]
	v_fmac_f64_e32 v[76:77], v[32:33], v[44:45]
	v_fmac_f64_e32 v[0:1], 0, v[44:45]
	v_fmac_f64_e32 v[92:93], 0x80000000, v[46:47]
	v_fmac_f64_e32 v[84:85], v[24:25], v[46:47]
	v_fmac_f64_e32 v[88:89], 0x80000000, v[46:47]
	v_fmac_f64_e32 v[82:83], v[16:17], v[46:47]
	v_fmac_f64_e32 v[80:81], 0x80000000, v[46:47]
	v_fmac_f64_e32 v[78:79], v[40:41], v[46:47]
	v_fmac_f64_e32 v[76:77], 0x80000000, v[46:47]
	v_fmac_f64_e32 v[0:1], v[32:33], v[46:47]
	s_waitcnt vmcnt(2)
	v_fmac_f64_e32 v[92:93], v[26:27], v[48:49]
	v_fmac_f64_e32 v[84:85], 0, v[48:49]
	v_fmac_f64_e32 v[88:89], v[18:19], v[48:49]
	v_fmac_f64_e32 v[82:83], 0, v[48:49]
	v_fmac_f64_e32 v[80:81], v[42:43], v[48:49]
	v_fmac_f64_e32 v[78:79], 0, v[48:49]
	v_fmac_f64_e32 v[76:77], v[34:35], v[48:49]
	v_fmac_f64_e32 v[0:1], 0, v[48:49]
	v_fmac_f64_e32 v[84:85], v[26:27], v[50:51]
	v_fmac_f64_e32 v[82:83], v[18:19], v[50:51]
	v_fmac_f64_e32 v[92:93], 0x80000000, v[50:51]
	v_fmac_f64_e32 v[88:89], 0x80000000, v[50:51]
	v_fmac_f64_e32 v[80:81], 0x80000000, v[50:51]
	v_fmac_f64_e32 v[78:79], v[42:43], v[50:51]
	v_fmac_f64_e32 v[76:77], 0x80000000, v[50:51]
	v_fmac_f64_e32 v[0:1], v[34:35], v[50:51]
	;; [unrolled: 17-line block ×4, first 2 shown]
	s_andn2_b64 exec, exec, s[14:15]
	s_cbranch_execnz .LBB137_15
; %bb.16:
	s_or_b64 exec, exec, s[14:15]
.LBB137_17:
	s_or_b64 exec, exec, s[10:11]
	v_cmp_lt_u32_e32 vcc, 47, v10
	s_and_saveexec_b64 s[10:11], vcc
	s_cbranch_execz .LBB137_21
; %bb.18:
	s_mov_b64 s[14:15], 0
	s_mov_b64 s[16:17], 0x1000
	s_movk_i32 s13, 0x1000
	s_mov_b64 s[18:19], 0x2000
.LBB137_19:                             ; =>This Inner Loop Header: Depth=1
	v_ashrrev_i32_e32 v95, 31, v94
	v_lshl_add_u64 v[70:71], v[94:95], 2, s[8:9]
	global_load_dwordx4 v[10:13], v[96:97], off offset:48
	global_load_dwordx4 v[50:53], v[96:97], off offset:32
	;; [unrolled: 1-line block ×3, first 2 shown]
	global_load_dwordx4 v[64:67], v[96:97], off
	global_load_dwordx4 v[18:21], v[96:97], off offset:112
	global_load_dwordx4 v[34:37], v[96:97], off offset:96
	;; [unrolled: 1-line block ×10, first 2 shown]
	global_load_dword v62, v[70:71], off
	v_lshl_add_u64 v[108:109], v[96:97], 0, s[16:17]
	v_add_co_u32_e32 v110, vcc, s13, v96
	v_add_u32_e32 v94, 64, v94
	s_nop 0
	v_addc_co_u32_e32 v111, vcc, 0, v97, vcc
	v_cmp_ge_i32_e32 vcc, v94, v98
	s_or_b64 s[14:15], vcc, s[14:15]
	s_waitcnt vmcnt(0)
	v_subrev_u32_e32 v62, s12, v62
	v_lshlrev_b32_e32 v62, 2, v62
	v_ashrrev_i32_e32 v63, 31, v62
	s_waitcnt lgkmcnt(0)
	v_lshl_add_u64 v[72:73], v[62:63], 4, s[4:5]
	global_load_dwordx4 v[100:103], v[72:73], off
	s_waitcnt vmcnt(0)
	v_fmac_f64_e32 v[84:85], 0, v[100:101]
	v_fmac_f64_e32 v[92:93], v[64:65], v[100:101]
	;; [unrolled: 1-line block ×3, first 2 shown]
	global_load_dwordx4 v[62:65], v[72:73], off offset:16
	v_fmac_f64_e32 v[78:79], 0, v[100:101]
	v_fmac_f64_e32 v[80:81], v[58:59], v[100:101]
	;; [unrolled: 1-line block ×13, first 2 shown]
	global_load_dwordx4 v[100:103], v[108:109], off offset:16
	s_waitcnt vmcnt(1)
	v_fmac_f64_e32 v[78:79], 0, v[62:63]
	v_fmac_f64_e32 v[80:81], v[60:61], v[62:63]
	;; [unrolled: 1-line block ×3, first 2 shown]
	global_load_dwordx4 v[58:61], v[72:73], off offset:32
	v_fmac_f64_e32 v[92:93], v[66:67], v[62:63]
	v_fmac_f64_e32 v[84:85], 0, v[62:63]
	;; [unrolled: 1-line block ×13, first 2 shown]
	global_load_dwordx4 v[66:69], v[96:97], off offset:2128
	global_load_dwordx4 v[50:53], v[96:97], off offset:2112
	;; [unrolled: 1-line block ×4, first 2 shown]
	v_lshl_add_u64 v[96:97], v[96:97], 0, s[18:19]
	s_waitcnt vmcnt(4)
	v_fmac_f64_e32 v[92:93], v[14:15], v[58:59]
	v_fmac_f64_e32 v[84:85], 0, v[58:59]
	;; [unrolled: 1-line block ×16, first 2 shown]
	global_load_dwordx4 v[58:61], v[72:73], off offset:48
	s_waitcnt vmcnt(0)
	v_fmac_f64_e32 v[84:85], 0, v[58:59]
	v_fmac_f64_e32 v[92:93], v[16:17], v[58:59]
	;; [unrolled: 1-line block ×3, first 2 shown]
	global_load_dwordx4 v[14:17], v[108:109], off offset:112
	global_load_dwordx4 v[104:107], v[108:109], off offset:96
	global_load_dword v10, v[70:71], off offset:64
	v_fmac_f64_e32 v[82:83], 0, v[58:59]
	v_fmac_f64_e32 v[88:89], v[12:13], v[58:59]
	;; [unrolled: 1-line block ×13, first 2 shown]
	global_load_dwordx4 v[22:25], v[108:109], off offset:2080
	global_load_dwordx4 v[58:61], v[108:109], off offset:64
	s_waitcnt vmcnt(2)
	v_subrev_u32_e32 v10, s12, v10
	v_lshlrev_b32_e32 v10, 2, v10
	v_ashrrev_i32_e32 v11, 31, v10
	v_lshl_add_u64 v[72:73], v[10:11], 4, s[4:5]
	global_load_dwordx4 v[10:13], v[72:73], off
	global_load_dwordx4 v[18:21], v[72:73], off offset:16
	s_waitcnt vmcnt(1)
	v_fmac_f64_e32 v[92:93], v[42:43], v[10:11]
	v_fmac_f64_e32 v[84:85], 0, v[10:11]
	;; [unrolled: 1-line block ×16, first 2 shown]
	s_waitcnt vmcnt(0)
	v_fmac_f64_e32 v[92:93], v[44:45], v[18:19]
	v_fmac_f64_e32 v[84:85], 0, v[18:19]
	v_fmac_f64_e32 v[88:89], v[40:41], v[18:19]
	v_fmac_f64_e32 v[82:83], 0, v[18:19]
	v_fmac_f64_e32 v[80:81], v[52:53], v[18:19]
	v_fmac_f64_e32 v[78:79], 0, v[18:19]
	v_fmac_f64_e32 v[76:77], v[56:57], v[18:19]
	v_fmac_f64_e32 v[0:1], 0, v[18:19]
	v_fmac_f64_e32 v[84:85], v[44:45], v[20:21]
	v_fmac_f64_e32 v[82:83], v[40:41], v[20:21]
	v_fmac_f64_e32 v[78:79], v[52:53], v[20:21]
	v_fmac_f64_e32 v[0:1], v[56:57], v[20:21]
	v_fmac_f64_e32 v[92:93], 0x80000000, v[20:21]
	v_fmac_f64_e32 v[88:89], 0x80000000, v[20:21]
	v_fmac_f64_e32 v[80:81], 0x80000000, v[20:21]
	v_fmac_f64_e32 v[76:77], 0x80000000, v[20:21]
	global_load_dwordx4 v[18:21], v[72:73], off offset:32
	global_load_dwordx4 v[38:41], v[72:73], off offset:48
	;; [unrolled: 1-line block ×4, first 2 shown]
	s_waitcnt vmcnt(3)
	v_fmac_f64_e32 v[84:85], 0, v[18:19]
	v_fmac_f64_e32 v[82:83], 0, v[18:19]
	;; [unrolled: 1-line block ×12, first 2 shown]
	s_waitcnt vmcnt(2)
	v_fmac_f64_e32 v[84:85], 0, v[38:39]
	v_fmac_f64_e32 v[82:83], 0, v[38:39]
	;; [unrolled: 1-line block ×8, first 2 shown]
	global_load_dwordx4 v[30:33], v[108:109], off offset:2048
	v_fmac_f64_e32 v[88:89], v[28:29], v[38:39]
	v_fmac_f64_e32 v[82:83], v[28:29], v[40:41]
	global_load_dwordx4 v[18:21], v[108:109], off offset:2160
	global_load_dwordx4 v[26:29], v[108:109], off offset:2144
	global_load_dword v50, v[70:71], off offset:128
	v_fmac_f64_e32 v[80:81], v[68:69], v[38:39]
	v_fmac_f64_e32 v[78:79], 0, v[38:39]
	;; [unrolled: 1-line block ×10, first 2 shown]
	global_load_dwordx4 v[46:49], v[110:111], off
	s_waitcnt vmcnt(1)
	v_subrev_u32_e32 v38, s12, v50
	v_lshlrev_b32_e32 v38, 2, v38
	v_ashrrev_i32_e32 v39, 31, v38
	v_lshl_add_u64 v[66:67], v[38:39], 4, s[4:5]
	global_load_dwordx4 v[38:41], v[66:67], off
	global_load_dwordx4 v[54:57], v[66:67], off offset:16
	s_waitcnt vmcnt(1)
	v_fmac_f64_e32 v[84:85], 0, v[38:39]
	v_fmac_f64_e32 v[92:93], v[46:47], v[38:39]
	;; [unrolled: 1-line block ×10, first 2 shown]
	s_waitcnt vmcnt(0)
	v_fmac_f64_e32 v[84:85], 0, v[54:55]
	v_fmac_f64_e32 v[88:89], 0x80000000, v[40:41]
	;; [unrolled: 1-line block ×9, first 2 shown]
	global_load_dwordx4 v[38:41], v[108:109], off offset:2128
	global_load_dwordx4 v[46:49], v[108:109], off offset:2096
	;; [unrolled: 1-line block ×3, first 2 shown]
	global_load_dword v58, v[70:71], off offset:192
	v_fmac_f64_e32 v[78:79], 0, v[54:55]
	v_fmac_f64_e32 v[80:81], v[60:61], v[54:55]
	;; [unrolled: 1-line block ×3, first 2 shown]
	global_load_dwordx4 v[70:73], v[66:67], off offset:48
	v_fmac_f64_e32 v[82:83], 0, v[54:55]
	v_fmac_f64_e32 v[88:89], v[64:65], v[54:55]
	;; [unrolled: 1-line block ×10, first 2 shown]
	s_waitcnt vmcnt(1)
	v_subrev_u32_e32 v58, s12, v58
	v_lshlrev_b32_e32 v58, 2, v58
	v_ashrrev_i32_e32 v59, 31, v58
	v_lshl_add_u64 v[104:105], v[58:59], 4, s[4:5]
	global_load_dwordx4 v[58:61], v[66:67], off offset:32
	global_load_dwordx4 v[62:65], v[104:105], off
	s_waitcnt vmcnt(1)
	v_fmac_f64_e32 v[92:93], v[100:101], v[58:59]
	global_load_dwordx4 v[66:69], v[104:105], off offset:16
	v_fmac_f64_e32 v[84:85], 0, v[58:59]
	v_fmac_f64_e32 v[88:89], v[34:35], v[58:59]
	;; [unrolled: 1-line block ×15, first 2 shown]
	global_load_dwordx4 v[58:61], v[104:105], off offset:32
	global_load_dwordx4 v[54:57], v[104:105], off offset:48
	v_fmac_f64_e32 v[92:93], v[102:103], v[70:71]
	v_fmac_f64_e32 v[84:85], 0, v[70:71]
	v_fmac_f64_e32 v[88:89], v[36:37], v[70:71]
	v_fmac_f64_e32 v[82:83], 0, v[70:71]
	v_fmac_f64_e32 v[80:81], v[44:45], v[70:71]
	v_fmac_f64_e32 v[78:79], 0, v[70:71]
	v_fmac_f64_e32 v[76:77], v[16:17], v[70:71]
	v_fmac_f64_e32 v[0:1], 0, v[70:71]
	v_fmac_f64_e32 v[84:85], v[102:103], v[72:73]
	v_fmac_f64_e32 v[92:93], 0x80000000, v[72:73]
	v_fmac_f64_e32 v[88:89], 0x80000000, v[72:73]
	v_fmac_f64_e32 v[82:83], v[36:37], v[72:73]
	v_fmac_f64_e32 v[80:81], 0x80000000, v[72:73]
	v_fmac_f64_e32 v[78:79], v[44:45], v[72:73]
	v_fmac_f64_e32 v[76:77], 0x80000000, v[72:73]
	v_fmac_f64_e32 v[0:1], v[16:17], v[72:73]
	s_waitcnt vmcnt(3)
	v_fmac_f64_e32 v[92:93], v[30:31], v[62:63]
	v_fmac_f64_e32 v[84:85], 0, v[62:63]
	v_fmac_f64_e32 v[88:89], v[22:23], v[62:63]
	v_fmac_f64_e32 v[82:83], 0, v[62:63]
	v_fmac_f64_e32 v[80:81], v[50:51], v[62:63]
	v_fmac_f64_e32 v[78:79], 0, v[62:63]
	v_fmac_f64_e32 v[76:77], v[26:27], v[62:63]
	v_fmac_f64_e32 v[0:1], 0, v[62:63]
	v_fmac_f64_e32 v[92:93], 0x80000000, v[64:65]
	v_fmac_f64_e32 v[84:85], v[30:31], v[64:65]
	v_fmac_f64_e32 v[88:89], 0x80000000, v[64:65]
	v_fmac_f64_e32 v[82:83], v[22:23], v[64:65]
	v_fmac_f64_e32 v[80:81], 0x80000000, v[64:65]
	v_fmac_f64_e32 v[78:79], v[50:51], v[64:65]
	v_fmac_f64_e32 v[76:77], 0x80000000, v[64:65]
	v_fmac_f64_e32 v[0:1], v[26:27], v[64:65]
	s_waitcnt vmcnt(2)
	;; [unrolled: 17-line block ×4, first 2 shown]
	v_fmac_f64_e32 v[92:93], v[12:13], v[54:55]
	v_fmac_f64_e32 v[84:85], 0, v[54:55]
	;; [unrolled: 1-line block ×16, first 2 shown]
	s_andn2_b64 exec, exec, s[14:15]
	s_cbranch_execnz .LBB137_19
; %bb.20:
	s_or_b64 exec, exec, s[14:15]
.LBB137_21:
	s_or_b64 exec, exec, s[10:11]
.LBB137_22:
	s_or_b64 exec, exec, s[6:7]
	s_cbranch_execz .LBB137_24
	s_branch .LBB137_35
.LBB137_23:
                                        ; implicit-def: $vgpr84_vgpr85
                                        ; implicit-def: $vgpr92_vgpr93
                                        ; implicit-def: $vgpr82_vgpr83
                                        ; implicit-def: $vgpr88_vgpr89
                                        ; implicit-def: $vgpr78_vgpr79
                                        ; implicit-def: $vgpr80_vgpr81
                                        ; implicit-def: $vgpr0_vgpr1
                                        ; implicit-def: $vgpr76_vgpr77
.LBB137_24:
	v_mov_b64_e32 v[84:85], 0
	v_mov_b64_e32 v[92:93], 0
	;; [unrolled: 1-line block ×8, first 2 shown]
	s_and_saveexec_b64 s[6:7], s[2:3]
	s_cbranch_execz .LBB137_34
; %bb.25:
	v_add_u32_e32 v0, v99, v75
	v_subrev_u32_e32 v0, s12, v0
	v_add_u32_e32 v0, 16, v0
	v_max_i32_e32 v0, v0, v98
	v_not_b32_e32 v1, v99
	v_add3_u32 v0, s12, v0, v1
	v_sub_u32_e32 v10, v0, v75
	v_and_b32_e32 v0, 48, v10
	v_cmp_ne_u32_e32 vcc, 48, v0
	v_mov_b64_e32 v[76:77], 0
	v_mov_b64_e32 v[0:1], 0
	;; [unrolled: 1-line block ×8, first 2 shown]
	s_and_saveexec_b64 s[2:3], vcc
	s_cbranch_execz .LBB137_29
; %bb.26:
	v_lshrrev_b32_e32 v0, 4, v10
	v_add_u32_e32 v0, 1, v0
	v_and_b32_e32 v0, 3, v0
	v_sub_u32_e32 v11, 0, v0
	v_mov_b64_e32 v[84:85], 0
	s_mov_b64 s[10:11], 0
	s_mov_b64 s[14:15], 0x800
	v_mov_b64_e32 v[92:93], 0
	v_mov_b64_e32 v[82:83], 0
	;; [unrolled: 1-line block ×7, first 2 shown]
.LBB137_27:                             ; =>This Inner Loop Header: Depth=1
	v_ashrrev_i32_e32 v87, 31, v86
	v_lshl_add_u64 v[40:41], v[86:87], 2, s[8:9]
	global_load_dword v42, v[40:41], off
	global_load_dwordx4 v[12:15], v[90:91], off offset:48
	global_load_dwordx4 v[16:19], v[90:91], off offset:32
	global_load_dwordx4 v[20:23], v[90:91], off offset:16
	global_load_dwordx4 v[24:27], v[90:91], off
	global_load_dwordx4 v[28:31], v[90:91], off offset:96
	global_load_dwordx4 v[32:35], v[90:91], off offset:80
	;; [unrolled: 1-line block ×3, first 2 shown]
	v_add_co_u32_e32 v11, vcc, 1, v11
	v_add_u32_e32 v86, 16, v86
	s_or_b64 s[10:11], vcc, s[10:11]
	s_waitcnt vmcnt(7)
	v_subrev_u32_e32 v40, s12, v42
	v_lshlrev_b32_e32 v40, 2, v40
	v_ashrrev_i32_e32 v41, 31, v40
	s_waitcnt lgkmcnt(0)
	v_lshl_add_u64 v[60:61], v[40:41], 4, s[4:5]
	global_load_dwordx4 v[40:43], v[60:61], off
	global_load_dwordx4 v[44:47], v[60:61], off offset:16
	global_load_dwordx4 v[48:51], v[60:61], off offset:32
	;; [unrolled: 1-line block ×4, first 2 shown]
	v_lshl_add_u64 v[90:91], v[90:91], 0, s[14:15]
	s_waitcnt vmcnt(4)
	v_fmac_f64_e32 v[92:93], v[24:25], v[40:41]
	v_fmac_f64_e32 v[84:85], 0, v[40:41]
	v_fmac_f64_e32 v[88:89], v[26:27], v[40:41]
	v_fmac_f64_e32 v[82:83], 0, v[40:41]
	v_fmac_f64_e32 v[80:81], v[20:21], v[40:41]
	v_fmac_f64_e32 v[78:79], 0, v[40:41]
	v_fmac_f64_e32 v[76:77], v[22:23], v[40:41]
	v_fmac_f64_e32 v[0:1], 0, v[40:41]
	v_fmac_f64_e32 v[92:93], 0x80000000, v[42:43]
	v_fmac_f64_e32 v[84:85], v[24:25], v[42:43]
	v_fmac_f64_e32 v[88:89], 0x80000000, v[42:43]
	v_fmac_f64_e32 v[82:83], v[26:27], v[42:43]
	v_fmac_f64_e32 v[80:81], 0x80000000, v[42:43]
	v_fmac_f64_e32 v[78:79], v[20:21], v[42:43]
	v_fmac_f64_e32 v[76:77], 0x80000000, v[42:43]
	v_fmac_f64_e32 v[0:1], v[22:23], v[42:43]
	s_waitcnt vmcnt(3)
	v_fmac_f64_e32 v[92:93], v[16:17], v[44:45]
	v_fmac_f64_e32 v[84:85], 0, v[44:45]
	v_fmac_f64_e32 v[88:89], v[18:19], v[44:45]
	v_fmac_f64_e32 v[82:83], 0, v[44:45]
	v_fmac_f64_e32 v[80:81], v[12:13], v[44:45]
	v_fmac_f64_e32 v[78:79], 0, v[44:45]
	v_fmac_f64_e32 v[76:77], v[14:15], v[44:45]
	v_fmac_f64_e32 v[0:1], 0, v[44:45]
	v_fmac_f64_e32 v[92:93], 0x80000000, v[46:47]
	v_fmac_f64_e32 v[84:85], v[16:17], v[46:47]
	v_fmac_f64_e32 v[88:89], 0x80000000, v[46:47]
	v_fmac_f64_e32 v[82:83], v[18:19], v[46:47]
	v_fmac_f64_e32 v[80:81], 0x80000000, v[46:47]
	v_fmac_f64_e32 v[78:79], v[12:13], v[46:47]
	v_fmac_f64_e32 v[76:77], 0x80000000, v[46:47]
	v_fmac_f64_e32 v[0:1], v[14:15], v[46:47]
	;; [unrolled: 17-line block ×3, first 2 shown]
	s_waitcnt vmcnt(1)
	v_fmac_f64_e32 v[92:93], v[28:29], v[52:53]
	v_fmac_f64_e32 v[84:85], 0, v[52:53]
	;; [unrolled: 1-line block ×4, first 2 shown]
	s_waitcnt vmcnt(0)
	v_fmac_f64_e32 v[80:81], v[56:57], v[52:53]
	v_fmac_f64_e32 v[78:79], 0, v[52:53]
	;; [unrolled: 1-line block ×12, first 2 shown]
	s_andn2_b64 exec, exec, s[10:11]
	s_cbranch_execnz .LBB137_27
; %bb.28:
	s_or_b64 exec, exec, s[10:11]
.LBB137_29:
	s_or_b64 exec, exec, s[2:3]
	v_cmp_lt_u32_e32 vcc, 47, v10
	s_and_saveexec_b64 s[2:3], vcc
	s_cbranch_execz .LBB137_33
; %bb.30:
	s_mov_b64 s[10:11], 0
	s_mov_b64 s[14:15], 0x1000
	s_movk_i32 s13, 0x1000
	s_mov_b64 s[16:17], 0x2000
.LBB137_31:                             ; =>This Inner Loop Header: Depth=1
	v_ashrrev_i32_e32 v87, 31, v86
	v_lshl_add_u64 v[50:51], v[86:87], 2, s[8:9]
	global_load_dwordx4 v[10:13], v[90:91], off offset:48
	global_load_dwordx4 v[14:17], v[90:91], off offset:32
	;; [unrolled: 1-line block ×3, first 2 shown]
	global_load_dwordx4 v[60:63], v[90:91], off
	global_load_dwordx4 v[22:25], v[90:91], off offset:112
	global_load_dwordx4 v[26:29], v[90:91], off offset:96
	;; [unrolled: 1-line block ×7, first 2 shown]
	global_load_dword v52, v[50:51], off
	global_load_dword v58, v[50:51], off offset:64
	global_load_dword v57, v[50:51], off offset:128
	global_load_dword v56, v[50:51], off offset:192
	v_lshl_add_u64 v[72:73], v[90:91], 0, s[14:15]
	global_load_dwordx4 v[64:67], v[90:91], off offset:2144
	global_load_dwordx4 v[68:71], v[72:73], off offset:112
	v_add_u32_e32 v86, 64, v86
	global_load_dwordx4 v[94:97], v[72:73], off offset:64
	s_waitcnt vmcnt(6)
	v_subrev_u32_e32 v50, s12, v52
	v_lshlrev_b32_e32 v50, 2, v50
	v_ashrrev_i32_e32 v51, 31, v50
	s_waitcnt lgkmcnt(0)
	v_lshl_add_u64 v[54:55], v[50:51], 4, s[4:5]
	global_load_dwordx4 v[50:53], v[54:55], off
	s_waitcnt vmcnt(4)
	v_subrev_u32_e32 v56, s12, v56
	v_lshlrev_b32_e32 v56, 2, v56
	s_waitcnt vmcnt(0)
	v_fmac_f64_e32 v[92:93], v[60:61], v[50:51]
	v_fmac_f64_e32 v[84:85], 0, v[50:51]
	;; [unrolled: 1-line block ×16, first 2 shown]
	global_load_dwordx4 v[50:53], v[54:55], off offset:16
	global_load_dwordx4 v[60:63], v[90:91], off offset:2048
	;; [unrolled: 1-line block ×3, first 2 shown]
	s_waitcnt vmcnt(2)
	v_fmac_f64_e32 v[84:85], 0, v[50:51]
	v_fmac_f64_e32 v[82:83], 0, v[50:51]
	;; [unrolled: 1-line block ×6, first 2 shown]
	global_load_dwordx4 v[14:17], v[54:55], off offset:32
	v_fmac_f64_e32 v[80:81], v[10:11], v[50:51]
	v_fmac_f64_e32 v[78:79], 0, v[50:51]
	;; [unrolled: 1-line block ×10, first 2 shown]
	global_load_dwordx4 v[50:53], v[72:73], off offset:48
	global_load_dwordx4 v[10:13], v[90:91], off offset:2128
	s_waitcnt vmcnt(2)
	v_fmac_f64_e32 v[92:93], v[38:39], v[14:15]
	v_fmac_f64_e32 v[84:85], 0, v[14:15]
	;; [unrolled: 1-line block ×8, first 2 shown]
	v_add_co_u32_e32 v14, vcc, s13, v90
	v_fmac_f64_e32 v[84:85], v[38:39], v[16:17]
	s_nop 0
	v_addc_co_u32_e32 v15, vcc, 0, v91, vcc
	v_fmac_f64_e32 v[82:83], v[40:41], v[16:17]
	v_fmac_f64_e32 v[78:79], v[30:31], v[16:17]
	v_fmac_f64_e32 v[0:1], v[32:33], v[16:17]
	global_load_dwordx4 v[30:33], v[14:15], off
	v_fmac_f64_e32 v[92:93], 0x80000000, v[16:17]
	v_fmac_f64_e32 v[88:89], 0x80000000, v[16:17]
	;; [unrolled: 1-line block ×4, first 2 shown]
	global_load_dwordx4 v[14:17], v[54:55], off offset:48
	global_load_dwordx4 v[38:41], v[90:91], off offset:2112
	v_cmp_ge_i32_e32 vcc, v86, v98
	v_lshl_add_u64 v[90:91], v[90:91], 0, s[16:17]
	s_or_b64 s[10:11], vcc, s[10:11]
	s_waitcnt vmcnt(1)
	v_fmac_f64_e32 v[92:93], v[26:27], v[14:15]
	v_fmac_f64_e32 v[84:85], 0, v[14:15]
	;; [unrolled: 1-line block ×8, first 2 shown]
	v_subrev_u32_e32 v14, s12, v58
	v_lshlrev_b32_e32 v14, 2, v14
	v_ashrrev_i32_e32 v15, 31, v14
	v_lshl_add_u64 v[54:55], v[14:15], 4, s[4:5]
	v_fmac_f64_e32 v[84:85], v[26:27], v[16:17]
	v_fmac_f64_e32 v[82:83], v[28:29], v[16:17]
	;; [unrolled: 1-line block ×8, first 2 shown]
	global_load_dwordx4 v[14:17], v[54:55], off
	global_load_dwordx4 v[22:25], v[54:55], off offset:32
	global_load_dwordx4 v[26:29], v[72:73], off offset:32
	s_waitcnt vmcnt(2)
	v_fmac_f64_e32 v[92:93], v[60:61], v[14:15]
	v_fmac_f64_e32 v[84:85], 0, v[14:15]
	;; [unrolled: 1-line block ×16, first 2 shown]
	global_load_dwordx4 v[14:17], v[54:55], off offset:16
	global_load_dwordx4 v[58:61], v[72:73], off offset:16
	;; [unrolled: 1-line block ×3, first 2 shown]
	s_waitcnt vmcnt(2)
	v_fmac_f64_e32 v[78:79], 0, v[14:15]
	v_fmac_f64_e32 v[0:1], 0, v[14:15]
	;; [unrolled: 1-line block ×6, first 2 shown]
	global_load_dwordx4 v[34:37], v[54:55], off offset:48
	v_fmac_f64_e32 v[80:81], 0x80000000, v[16:17]
	v_fmac_f64_e32 v[78:79], 0, v[22:23]
	;; [unrolled: 1-line block ×26, first 2 shown]
	global_load_dwordx4 v[42:45], v[72:73], off offset:96
	global_load_dwordx4 v[14:17], v[72:73], off offset:2080
	;; [unrolled: 1-line block ×4, first 2 shown]
	s_waitcnt vmcnt(4)
	v_fmac_f64_e32 v[78:79], 0, v[34:35]
	v_fmac_f64_e32 v[80:81], v[18:19], v[34:35]
	;; [unrolled: 1-line block ×3, first 2 shown]
	v_subrev_u32_e32 v18, s12, v57
	v_lshlrev_b32_e32 v18, 2, v18
	v_ashrrev_i32_e32 v19, 31, v18
	v_lshl_add_u64 v[54:55], v[18:19], 4, s[4:5]
	global_load_dwordx4 v[38:41], v[54:55], off
	v_fmac_f64_e32 v[0:1], 0, v[34:35]
	v_fmac_f64_e32 v[76:77], v[20:21], v[34:35]
	;; [unrolled: 1-line block ×13, first 2 shown]
	global_load_dwordx4 v[34:37], v[72:73], off offset:2048
	global_load_dwordx4 v[18:21], v[72:73], off offset:2144
	v_ashrrev_i32_e32 v57, 31, v56
	v_lshl_add_u64 v[62:63], v[56:57], 4, s[4:5]
	s_waitcnt vmcnt(2)
	v_fmac_f64_e32 v[78:79], 0, v[38:39]
	v_fmac_f64_e32 v[0:1], 0, v[38:39]
	;; [unrolled: 1-line block ×6, first 2 shown]
	global_load_dwordx4 v[58:61], v[54:55], off offset:16
	v_fmac_f64_e32 v[84:85], 0, v[38:39]
	v_fmac_f64_e32 v[82:83], 0, v[38:39]
	;; [unrolled: 1-line block ×10, first 2 shown]
	s_waitcnt vmcnt(0)
	v_fmac_f64_e32 v[84:85], 0, v[58:59]
	v_fmac_f64_e32 v[82:83], 0, v[58:59]
	;; [unrolled: 1-line block ×8, first 2 shown]
	global_load_dwordx4 v[26:29], v[72:73], off offset:2128
	v_fmac_f64_e32 v[80:81], v[50:51], v[58:59]
	v_fmac_f64_e32 v[76:77], v[52:53], v[58:59]
	v_fmac_f64_e32 v[78:79], v[50:51], v[60:61]
	v_fmac_f64_e32 v[0:1], v[52:53], v[60:61]
	global_load_dwordx4 v[38:41], v[72:73], off offset:2096
	global_load_dwordx4 v[30:33], v[72:73], off offset:2112
	;; [unrolled: 1-line block ×3, first 2 shown]
	v_fmac_f64_e32 v[92:93], 0x80000000, v[60:61]
	v_fmac_f64_e32 v[88:89], 0x80000000, v[60:61]
	;; [unrolled: 1-line block ×4, first 2 shown]
	global_load_dwordx4 v[58:61], v[54:55], off offset:48
	s_waitcnt vmcnt(1)
	v_fmac_f64_e32 v[92:93], v[94:95], v[50:51]
	global_load_dwordx4 v[54:57], v[62:63], off
	v_fmac_f64_e32 v[84:85], 0, v[50:51]
	v_fmac_f64_e32 v[88:89], v[96:97], v[50:51]
	;; [unrolled: 1-line block ×15, first 2 shown]
	global_load_dwordx4 v[50:53], v[62:63], off offset:16
	global_load_dwordx4 v[46:49], v[62:63], off offset:32
	s_waitcnt vmcnt(3)
	v_fmac_f64_e32 v[84:85], 0, v[58:59]
	v_fmac_f64_e32 v[82:83], 0, v[58:59]
	;; [unrolled: 1-line block ×6, first 2 shown]
	global_load_dwordx4 v[42:45], v[62:63], off offset:48
	v_fmac_f64_e32 v[80:81], v[68:69], v[58:59]
	v_fmac_f64_e32 v[78:79], 0, v[58:59]
	v_fmac_f64_e32 v[76:77], v[70:71], v[58:59]
	v_fmac_f64_e32 v[0:1], 0, v[58:59]
	v_fmac_f64_e32 v[78:79], v[68:69], v[60:61]
	v_fmac_f64_e32 v[0:1], v[70:71], v[60:61]
	v_fmac_f64_e32 v[92:93], 0x80000000, v[60:61]
	v_fmac_f64_e32 v[88:89], 0x80000000, v[60:61]
	v_fmac_f64_e32 v[80:81], 0x80000000, v[60:61]
	v_fmac_f64_e32 v[76:77], 0x80000000, v[60:61]
	s_waitcnt vmcnt(3)
	v_fmac_f64_e32 v[92:93], v[34:35], v[54:55]
	v_fmac_f64_e32 v[84:85], 0, v[54:55]
	v_fmac_f64_e32 v[88:89], v[36:37], v[54:55]
	v_fmac_f64_e32 v[82:83], 0, v[54:55]
	v_fmac_f64_e32 v[80:81], v[22:23], v[54:55]
	v_fmac_f64_e32 v[78:79], 0, v[54:55]
	v_fmac_f64_e32 v[76:77], v[24:25], v[54:55]
	v_fmac_f64_e32 v[0:1], 0, v[54:55]
	v_fmac_f64_e32 v[92:93], 0x80000000, v[56:57]
	v_fmac_f64_e32 v[84:85], v[34:35], v[56:57]
	v_fmac_f64_e32 v[88:89], 0x80000000, v[56:57]
	v_fmac_f64_e32 v[82:83], v[36:37], v[56:57]
	v_fmac_f64_e32 v[80:81], 0x80000000, v[56:57]
	v_fmac_f64_e32 v[78:79], v[22:23], v[56:57]
	v_fmac_f64_e32 v[76:77], 0x80000000, v[56:57]
	v_fmac_f64_e32 v[0:1], v[24:25], v[56:57]
	s_waitcnt vmcnt(2)
	v_fmac_f64_e32 v[92:93], v[14:15], v[50:51]
	v_fmac_f64_e32 v[84:85], 0, v[50:51]
	v_fmac_f64_e32 v[88:89], v[16:17], v[50:51]
	v_fmac_f64_e32 v[82:83], 0, v[50:51]
	v_fmac_f64_e32 v[80:81], v[38:39], v[50:51]
	v_fmac_f64_e32 v[78:79], 0, v[50:51]
	;; [unrolled: 17-line block ×4, first 2 shown]
	v_fmac_f64_e32 v[76:77], v[12:13], v[42:43]
	v_fmac_f64_e32 v[0:1], 0, v[42:43]
	;; [unrolled: 1-line block ×10, first 2 shown]
	s_andn2_b64 exec, exec, s[10:11]
	s_cbranch_execnz .LBB137_31
; %bb.32:
	s_or_b64 exec, exec, s[10:11]
.LBB137_33:
	s_or_b64 exec, exec, s[2:3]
.LBB137_34:
	s_or_b64 exec, exec, s[6:7]
.LBB137_35:
	v_mov_b32_dpp v10, v92 row_shr:1 row_mask:0xf bank_mask:0xf
	v_mov_b32_dpp v11, v93 row_shr:1 row_mask:0xf bank_mask:0xf
	v_mov_b32_dpp v14, v84 row_shr:1 row_mask:0xf bank_mask:0xf
	v_mov_b32_dpp v15, v85 row_shr:1 row_mask:0xf bank_mask:0xf
	v_mov_b32_dpp v18, v88 row_shr:1 row_mask:0xf bank_mask:0xf
	v_mov_b32_dpp v19, v89 row_shr:1 row_mask:0xf bank_mask:0xf
	v_mov_b32_dpp v22, v82 row_shr:1 row_mask:0xf bank_mask:0xf
	v_mov_b32_dpp v23, v83 row_shr:1 row_mask:0xf bank_mask:0xf
	v_mov_b32_dpp v26, v80 row_shr:1 row_mask:0xf bank_mask:0xf
	v_mov_b32_dpp v27, v81 row_shr:1 row_mask:0xf bank_mask:0xf
	v_mov_b32_dpp v30, v78 row_shr:1 row_mask:0xf bank_mask:0xf
	v_mov_b32_dpp v31, v79 row_shr:1 row_mask:0xf bank_mask:0xf
	v_mov_b32_dpp v34, v76 row_shr:1 row_mask:0xf bank_mask:0xf
	v_mov_b32_dpp v35, v77 row_shr:1 row_mask:0xf bank_mask:0xf
	v_mov_b32_dpp v38, v0 row_shr:1 row_mask:0xf bank_mask:0xf
	v_mov_b32_dpp v39, v1 row_shr:1 row_mask:0xf bank_mask:0xf
	v_add_f64 v[10:11], v[92:93], v[10:11]
	v_add_f64 v[14:15], v[84:85], v[14:15]
	v_add_f64 v[18:19], v[88:89], v[18:19]
	v_add_f64 v[22:23], v[82:83], v[22:23]
	v_add_f64 v[26:27], v[80:81], v[26:27]
	v_add_f64 v[30:31], v[78:79], v[30:31]
	v_add_f64 v[34:35], v[76:77], v[34:35]
	v_add_f64 v[0:1], v[0:1], v[38:39]
	v_mov_b32_dpp v12, v10 row_shr:2 row_mask:0xf bank_mask:0xf
	v_mov_b32_dpp v13, v11 row_shr:2 row_mask:0xf bank_mask:0xf
	v_mov_b32_dpp v16, v14 row_shr:2 row_mask:0xf bank_mask:0xf
	v_mov_b32_dpp v17, v15 row_shr:2 row_mask:0xf bank_mask:0xf
	v_mov_b32_dpp v20, v18 row_shr:2 row_mask:0xf bank_mask:0xf
	v_mov_b32_dpp v21, v19 row_shr:2 row_mask:0xf bank_mask:0xf
	v_mov_b32_dpp v24, v22 row_shr:2 row_mask:0xf bank_mask:0xf
	v_mov_b32_dpp v25, v23 row_shr:2 row_mask:0xf bank_mask:0xf
	v_mov_b32_dpp v28, v26 row_shr:2 row_mask:0xf bank_mask:0xf
	v_mov_b32_dpp v29, v27 row_shr:2 row_mask:0xf bank_mask:0xf
	v_mov_b32_dpp v32, v30 row_shr:2 row_mask:0xf bank_mask:0xf
	v_mov_b32_dpp v33, v31 row_shr:2 row_mask:0xf bank_mask:0xf
	v_mov_b32_dpp v36, v34 row_shr:2 row_mask:0xf bank_mask:0xf
	v_mov_b32_dpp v37, v35 row_shr:2 row_mask:0xf bank_mask:0xf
	v_mov_b32_dpp v38, v0 row_shr:2 row_mask:0xf bank_mask:0xf
	v_mov_b32_dpp v39, v1 row_shr:2 row_mask:0xf bank_mask:0xf
	v_add_f64 v[10:11], v[10:11], v[12:13]
	v_add_f64 v[14:15], v[14:15], v[16:17]
	v_add_f64 v[18:19], v[18:19], v[20:21]
	v_add_f64 v[22:23], v[22:23], v[24:25]
	v_add_f64 v[26:27], v[26:27], v[28:29]
	v_add_f64 v[30:31], v[30:31], v[32:33]
	v_add_f64 v[34:35], v[34:35], v[36:37]
	v_add_f64 v[0:1], v[0:1], v[38:39]
	;; [unrolled: 24-line block ×3, first 2 shown]
	v_mov_b32_dpp v12, v10 row_shr:8 row_mask:0xf bank_mask:0xc
	v_mov_b32_dpp v13, v11 row_shr:8 row_mask:0xf bank_mask:0xc
	;; [unrolled: 1-line block ×16, first 2 shown]
	v_cmp_eq_u32_e32 vcc, 15, v75
	s_and_b64 exec, exec, vcc
	s_cbranch_execz .LBB137_8
; %bb.36:
	s_load_dwordx2 s[2:3], s[0:1], 0x60
	v_add_f64 v[40:41], v[10:11], v[12:13]
	v_add_f64 v[10:11], v[14:15], v[16:17]
	v_add_f64 v[12:13], v[22:23], v[24:25]
	v_add_f64 v[16:17], v[30:31], v[32:33]
	v_add_f64 v[0:1], v[0:1], v[38:39]
	v_add_f64 v[42:43], v[18:19], v[20:21]
	v_add_f64 v[26:27], v[26:27], v[28:29]
	v_add_f64 v[28:29], v[34:35], v[36:37]
	v_cmp_eq_f64_e32 vcc, 0, v[2:3]
	v_cmp_eq_f64_e64 s[0:1], 0, v[4:5]
	v_mul_f64 v[22:23], v[10:11], -v[8:9]
	v_mul_f64 v[24:25], v[6:7], v[10:11]
	v_mul_f64 v[18:19], v[12:13], -v[8:9]
	v_mul_f64 v[20:21], v[6:7], v[12:13]
	;; [unrolled: 2-line block ×4, first 2 shown]
	s_and_b64 s[0:1], vcc, s[0:1]
	v_fmac_f64_e32 v[22:23], v[6:7], v[40:41]
	v_fmac_f64_e32 v[24:25], v[8:9], v[40:41]
	v_lshlrev_b32_e32 v0, 2, v74
	v_fmac_f64_e32 v[18:19], v[6:7], v[42:43]
	v_fmac_f64_e32 v[20:21], v[8:9], v[42:43]
	;; [unrolled: 1-line block ×6, first 2 shown]
	s_waitcnt lgkmcnt(0)
	s_and_saveexec_b64 s[4:5], s[0:1]
	s_xor_b64 s[0:1], exec, s[4:5]
	s_cbranch_execz .LBB137_38
; %bb.37:
	v_ashrrev_i32_e32 v1, 31, v0
	v_lshl_add_u64 v[0:1], v[0:1], 4, s[2:3]
	global_store_dwordx4 v[0:1], v[22:25], off
	global_store_dwordx4 v[0:1], v[18:21], off offset:16
	global_store_dwordx4 v[0:1], v[14:17], off offset:32
	;; [unrolled: 1-line block ×3, first 2 shown]
                                        ; implicit-def: $vgpr4_vgpr5
                                        ; implicit-def: $vgpr22_vgpr23
                                        ; implicit-def: $vgpr0
                                        ; implicit-def: $vgpr18_vgpr19
                                        ; implicit-def: $vgpr14_vgpr15
                                        ; implicit-def: $vgpr10_vgpr11
.LBB137_38:
	s_andn2_saveexec_b64 s[0:1], s[0:1]
	s_cbranch_execz .LBB137_8
; %bb.39:
	v_ashrrev_i32_e32 v1, 31, v0
	v_lshl_add_u64 v[0:1], v[0:1], 4, s[2:3]
	global_load_dwordx4 v[6:9], v[0:1], off
	global_load_dwordx4 v[26:29], v[0:1], off offset:16
	global_load_dwordx4 v[30:33], v[0:1], off offset:32
	;; [unrolled: 1-line block ×3, first 2 shown]
	s_waitcnt vmcnt(3)
	v_fmac_f64_e32 v[22:23], v[2:3], v[6:7]
	v_fmac_f64_e32 v[24:25], v[4:5], v[6:7]
	s_waitcnt vmcnt(2)
	v_fmac_f64_e32 v[18:19], v[2:3], v[26:27]
	v_fmac_f64_e32 v[20:21], v[4:5], v[26:27]
	;; [unrolled: 3-line block ×4, first 2 shown]
	v_fma_f64 v[22:23], -v[4:5], v[8:9], v[22:23]
	v_fmac_f64_e32 v[24:25], v[2:3], v[8:9]
	v_fma_f64 v[18:19], -v[4:5], v[28:29], v[18:19]
	v_fmac_f64_e32 v[20:21], v[2:3], v[28:29]
	;; [unrolled: 2-line block ×4, first 2 shown]
	global_store_dwordx4 v[0:1], v[22:25], off
	global_store_dwordx4 v[0:1], v[18:21], off offset:16
	global_store_dwordx4 v[0:1], v[14:17], off offset:32
	;; [unrolled: 1-line block ×3, first 2 shown]
	s_endpgm
	.section	.rodata,"a",@progbits
	.p2align	6, 0x0
	.amdhsa_kernel _ZN9rocsparseL18bsrxmvn_4x4_kernelILj128ELj16E21rocsparse_complex_numIdEiidS2_S2_EEvT3_20rocsparse_direction_NS_24const_host_device_scalarIT1_EES3_PKS3_PKT2_SC_S9_PKT4_PKT5_S7_PT6_21rocsparse_index_base_b
		.amdhsa_group_segment_fixed_size 0
		.amdhsa_private_segment_fixed_size 0
		.amdhsa_kernarg_size 112
		.amdhsa_user_sgpr_count 2
		.amdhsa_user_sgpr_dispatch_ptr 0
		.amdhsa_user_sgpr_queue_ptr 0
		.amdhsa_user_sgpr_kernarg_segment_ptr 1
		.amdhsa_user_sgpr_dispatch_id 0
		.amdhsa_user_sgpr_kernarg_preload_length 0
		.amdhsa_user_sgpr_kernarg_preload_offset 0
		.amdhsa_user_sgpr_private_segment_size 0
		.amdhsa_uses_dynamic_stack 0
		.amdhsa_enable_private_segment 0
		.amdhsa_system_sgpr_workgroup_id_x 1
		.amdhsa_system_sgpr_workgroup_id_y 0
		.amdhsa_system_sgpr_workgroup_id_z 0
		.amdhsa_system_sgpr_workgroup_info 0
		.amdhsa_system_vgpr_workitem_id 0
		.amdhsa_next_free_vgpr 112
		.amdhsa_next_free_sgpr 20
		.amdhsa_accum_offset 112
		.amdhsa_reserve_vcc 1
		.amdhsa_float_round_mode_32 0
		.amdhsa_float_round_mode_16_64 0
		.amdhsa_float_denorm_mode_32 3
		.amdhsa_float_denorm_mode_16_64 3
		.amdhsa_dx10_clamp 1
		.amdhsa_ieee_mode 1
		.amdhsa_fp16_overflow 0
		.amdhsa_tg_split 0
		.amdhsa_exception_fp_ieee_invalid_op 0
		.amdhsa_exception_fp_denorm_src 0
		.amdhsa_exception_fp_ieee_div_zero 0
		.amdhsa_exception_fp_ieee_overflow 0
		.amdhsa_exception_fp_ieee_underflow 0
		.amdhsa_exception_fp_ieee_inexact 0
		.amdhsa_exception_int_div_zero 0
	.end_amdhsa_kernel
	.section	.text._ZN9rocsparseL18bsrxmvn_4x4_kernelILj128ELj16E21rocsparse_complex_numIdEiidS2_S2_EEvT3_20rocsparse_direction_NS_24const_host_device_scalarIT1_EES3_PKS3_PKT2_SC_S9_PKT4_PKT5_S7_PT6_21rocsparse_index_base_b,"axG",@progbits,_ZN9rocsparseL18bsrxmvn_4x4_kernelILj128ELj16E21rocsparse_complex_numIdEiidS2_S2_EEvT3_20rocsparse_direction_NS_24const_host_device_scalarIT1_EES3_PKS3_PKT2_SC_S9_PKT4_PKT5_S7_PT6_21rocsparse_index_base_b,comdat
.Lfunc_end137:
	.size	_ZN9rocsparseL18bsrxmvn_4x4_kernelILj128ELj16E21rocsparse_complex_numIdEiidS2_S2_EEvT3_20rocsparse_direction_NS_24const_host_device_scalarIT1_EES3_PKS3_PKT2_SC_S9_PKT4_PKT5_S7_PT6_21rocsparse_index_base_b, .Lfunc_end137-_ZN9rocsparseL18bsrxmvn_4x4_kernelILj128ELj16E21rocsparse_complex_numIdEiidS2_S2_EEvT3_20rocsparse_direction_NS_24const_host_device_scalarIT1_EES3_PKS3_PKT2_SC_S9_PKT4_PKT5_S7_PT6_21rocsparse_index_base_b
                                        ; -- End function
	.set _ZN9rocsparseL18bsrxmvn_4x4_kernelILj128ELj16E21rocsparse_complex_numIdEiidS2_S2_EEvT3_20rocsparse_direction_NS_24const_host_device_scalarIT1_EES3_PKS3_PKT2_SC_S9_PKT4_PKT5_S7_PT6_21rocsparse_index_base_b.num_vgpr, 112
	.set _ZN9rocsparseL18bsrxmvn_4x4_kernelILj128ELj16E21rocsparse_complex_numIdEiidS2_S2_EEvT3_20rocsparse_direction_NS_24const_host_device_scalarIT1_EES3_PKS3_PKT2_SC_S9_PKT4_PKT5_S7_PT6_21rocsparse_index_base_b.num_agpr, 0
	.set _ZN9rocsparseL18bsrxmvn_4x4_kernelILj128ELj16E21rocsparse_complex_numIdEiidS2_S2_EEvT3_20rocsparse_direction_NS_24const_host_device_scalarIT1_EES3_PKS3_PKT2_SC_S9_PKT4_PKT5_S7_PT6_21rocsparse_index_base_b.numbered_sgpr, 20
	.set _ZN9rocsparseL18bsrxmvn_4x4_kernelILj128ELj16E21rocsparse_complex_numIdEiidS2_S2_EEvT3_20rocsparse_direction_NS_24const_host_device_scalarIT1_EES3_PKS3_PKT2_SC_S9_PKT4_PKT5_S7_PT6_21rocsparse_index_base_b.num_named_barrier, 0
	.set _ZN9rocsparseL18bsrxmvn_4x4_kernelILj128ELj16E21rocsparse_complex_numIdEiidS2_S2_EEvT3_20rocsparse_direction_NS_24const_host_device_scalarIT1_EES3_PKS3_PKT2_SC_S9_PKT4_PKT5_S7_PT6_21rocsparse_index_base_b.private_seg_size, 0
	.set _ZN9rocsparseL18bsrxmvn_4x4_kernelILj128ELj16E21rocsparse_complex_numIdEiidS2_S2_EEvT3_20rocsparse_direction_NS_24const_host_device_scalarIT1_EES3_PKS3_PKT2_SC_S9_PKT4_PKT5_S7_PT6_21rocsparse_index_base_b.uses_vcc, 1
	.set _ZN9rocsparseL18bsrxmvn_4x4_kernelILj128ELj16E21rocsparse_complex_numIdEiidS2_S2_EEvT3_20rocsparse_direction_NS_24const_host_device_scalarIT1_EES3_PKS3_PKT2_SC_S9_PKT4_PKT5_S7_PT6_21rocsparse_index_base_b.uses_flat_scratch, 0
	.set _ZN9rocsparseL18bsrxmvn_4x4_kernelILj128ELj16E21rocsparse_complex_numIdEiidS2_S2_EEvT3_20rocsparse_direction_NS_24const_host_device_scalarIT1_EES3_PKS3_PKT2_SC_S9_PKT4_PKT5_S7_PT6_21rocsparse_index_base_b.has_dyn_sized_stack, 0
	.set _ZN9rocsparseL18bsrxmvn_4x4_kernelILj128ELj16E21rocsparse_complex_numIdEiidS2_S2_EEvT3_20rocsparse_direction_NS_24const_host_device_scalarIT1_EES3_PKS3_PKT2_SC_S9_PKT4_PKT5_S7_PT6_21rocsparse_index_base_b.has_recursion, 0
	.set _ZN9rocsparseL18bsrxmvn_4x4_kernelILj128ELj16E21rocsparse_complex_numIdEiidS2_S2_EEvT3_20rocsparse_direction_NS_24const_host_device_scalarIT1_EES3_PKS3_PKT2_SC_S9_PKT4_PKT5_S7_PT6_21rocsparse_index_base_b.has_indirect_call, 0
	.section	.AMDGPU.csdata,"",@progbits
; Kernel info:
; codeLenInByte = 6952
; TotalNumSgprs: 26
; NumVgprs: 112
; NumAgprs: 0
; TotalNumVgprs: 112
; ScratchSize: 0
; MemoryBound: 0
; FloatMode: 240
; IeeeMode: 1
; LDSByteSize: 0 bytes/workgroup (compile time only)
; SGPRBlocks: 3
; VGPRBlocks: 13
; NumSGPRsForWavesPerEU: 26
; NumVGPRsForWavesPerEU: 112
; AccumOffset: 112
; Occupancy: 4
; WaveLimiterHint : 1
; COMPUTE_PGM_RSRC2:SCRATCH_EN: 0
; COMPUTE_PGM_RSRC2:USER_SGPR: 2
; COMPUTE_PGM_RSRC2:TRAP_HANDLER: 0
; COMPUTE_PGM_RSRC2:TGID_X_EN: 1
; COMPUTE_PGM_RSRC2:TGID_Y_EN: 0
; COMPUTE_PGM_RSRC2:TGID_Z_EN: 0
; COMPUTE_PGM_RSRC2:TIDIG_COMP_CNT: 0
; COMPUTE_PGM_RSRC3_GFX90A:ACCUM_OFFSET: 27
; COMPUTE_PGM_RSRC3_GFX90A:TG_SPLIT: 0
	.section	.text._ZN9rocsparseL18bsrxmvn_4x4_kernelILj128ELj32E21rocsparse_complex_numIdEiidS2_S2_EEvT3_20rocsparse_direction_NS_24const_host_device_scalarIT1_EES3_PKS3_PKT2_SC_S9_PKT4_PKT5_S7_PT6_21rocsparse_index_base_b,"axG",@progbits,_ZN9rocsparseL18bsrxmvn_4x4_kernelILj128ELj32E21rocsparse_complex_numIdEiidS2_S2_EEvT3_20rocsparse_direction_NS_24const_host_device_scalarIT1_EES3_PKS3_PKT2_SC_S9_PKT4_PKT5_S7_PT6_21rocsparse_index_base_b,comdat
	.globl	_ZN9rocsparseL18bsrxmvn_4x4_kernelILj128ELj32E21rocsparse_complex_numIdEiidS2_S2_EEvT3_20rocsparse_direction_NS_24const_host_device_scalarIT1_EES3_PKS3_PKT2_SC_S9_PKT4_PKT5_S7_PT6_21rocsparse_index_base_b ; -- Begin function _ZN9rocsparseL18bsrxmvn_4x4_kernelILj128ELj32E21rocsparse_complex_numIdEiidS2_S2_EEvT3_20rocsparse_direction_NS_24const_host_device_scalarIT1_EES3_PKS3_PKT2_SC_S9_PKT4_PKT5_S7_PT6_21rocsparse_index_base_b
	.p2align	8
	.type	_ZN9rocsparseL18bsrxmvn_4x4_kernelILj128ELj32E21rocsparse_complex_numIdEiidS2_S2_EEvT3_20rocsparse_direction_NS_24const_host_device_scalarIT1_EES3_PKS3_PKT2_SC_S9_PKT4_PKT5_S7_PT6_21rocsparse_index_base_b,@function
_ZN9rocsparseL18bsrxmvn_4x4_kernelILj128ELj32E21rocsparse_complex_numIdEiidS2_S2_EEvT3_20rocsparse_direction_NS_24const_host_device_scalarIT1_EES3_PKS3_PKT2_SC_S9_PKT4_PKT5_S7_PT6_21rocsparse_index_base_b: ; @_ZN9rocsparseL18bsrxmvn_4x4_kernelILj128ELj32E21rocsparse_complex_numIdEiidS2_S2_EEvT3_20rocsparse_direction_NS_24const_host_device_scalarIT1_EES3_PKS3_PKT2_SC_S9_PKT4_PKT5_S7_PT6_21rocsparse_index_base_b
; %bb.0:
	s_load_dwordx2 s[4:5], s[0:1], 0x8
	s_load_dwordx2 s[12:13], s[0:1], 0x68
	s_add_u32 s3, s0, 8
	s_addc_u32 s8, s1, 0
	s_add_u32 s9, s0, 0x50
	s_load_dwordx2 s[6:7], s[0:1], 0x50
	s_addc_u32 s10, s1, 0
	s_waitcnt lgkmcnt(0)
	s_bitcmp1_b32 s13, 0
	s_cselect_b32 s5, s8, s5
	s_cselect_b32 s3, s3, s4
	v_mov_b32_e32 v2, s3
	v_mov_b32_e32 v3, s5
	flat_load_dwordx4 v[6:9], v[2:3]
	s_cselect_b32 s3, s10, s7
	s_cselect_b32 s4, s9, s6
	v_mov_b32_e32 v2, s4
	v_mov_b32_e32 v3, s3
	flat_load_dwordx4 v[2:5], v[2:3]
	s_waitcnt vmcnt(0) lgkmcnt(0)
	v_cmp_eq_f64_e32 vcc, 0, v[6:7]
	v_cmp_eq_f64_e64 s[4:5], 0, v[8:9]
	s_and_b64 s[8:9], vcc, s[4:5]
	s_mov_b64 s[4:5], -1
	s_and_saveexec_b64 s[6:7], s[8:9]
; %bb.1:
	v_cmp_neq_f64_e32 vcc, 1.0, v[2:3]
	v_cmp_neq_f64_e64 s[4:5], 0, v[4:5]
	s_or_b64 s[4:5], vcc, s[4:5]
	s_orn2_b64 s[4:5], s[4:5], exec
; %bb.2:
	s_or_b64 exec, exec, s[6:7]
	s_and_saveexec_b64 s[6:7], s[4:5]
	s_cbranch_execz .LBB138_8
; %bb.3:
	s_load_dwordx2 s[4:5], s[0:1], 0x20
	s_load_dwordx2 s[14:15], s[0:1], 0x0
	v_lshrrev_b32_e32 v1, 5, v0
	v_lshl_or_b32 v74, s2, 2, v1
	s_mov_b64 s[2:3], 0
	s_waitcnt lgkmcnt(0)
	s_cmp_lg_u64 s[4:5], 0
	s_cbranch_scc0 .LBB138_9
; %bb.4:
	s_load_dword s6, s[0:1], 0x18
                                        ; implicit-def: $vgpr1
	s_waitcnt lgkmcnt(0)
	v_cmp_gt_i32_e32 vcc, s6, v74
	s_and_saveexec_b64 s[6:7], vcc
	s_xor_b64 s[6:7], exec, s[6:7]
	s_cbranch_execz .LBB138_6
; %bb.5:
	v_ashrrev_i32_e32 v75, 31, v74
	v_lshl_add_u64 v[10:11], v[74:75], 2, s[4:5]
	global_load_dword v1, v[10:11], off
	s_mov_b64 s[2:3], exec
	s_waitcnt vmcnt(0)
	v_subrev_u32_e32 v1, s12, v1
.LBB138_6:
	s_or_b64 exec, exec, s[6:7]
	s_branch .LBB138_10
.LBB138_7:
	v_cmp_gt_i32_e32 vcc, s14, v74
	s_andn2_b64 s[2:3], s[2:3], exec
	s_and_b64 s[4:5], vcc, exec
	s_or_b64 s[2:3], s[2:3], s[4:5]
	s_and_b64 exec, exec, s[2:3]
	s_cbranch_execnz .LBB138_11
.LBB138_8:
	s_endpgm
.LBB138_9:
                                        ; implicit-def: $vgpr1
	s_cbranch_execnz .LBB138_7
.LBB138_10:
	v_mov_b32_e32 v74, v1
	s_and_b64 exec, exec, s[2:3]
	s_cbranch_execz .LBB138_8
.LBB138_11:
	s_load_dwordx8 s[4:11], s[0:1], 0x28
	v_ashrrev_i32_e32 v75, 31, v74
	v_lshlrev_b64 v[10:11], 2, v[74:75]
	v_and_b32_e32 v75, 31, v0
	s_waitcnt lgkmcnt(0)
	v_lshl_add_u64 v[12:13], s[4:5], 0, v[10:11]
	s_cmp_eq_u64 s[6:7], 0
	global_load_dword v99, v[12:13], off
	v_lshl_add_u64 v[12:13], v[12:13], 0, 4
	v_lshl_add_u64 v[10:11], s[6:7], 0, v[10:11]
	s_cselect_b64 vcc, -1, 0
	v_cndmask_b32_e32 v11, v11, v13, vcc
	v_cndmask_b32_e32 v10, v10, v12, vcc
	global_load_dword v1, v[10:11], off
	s_load_dwordx2 s[6:7], s[0:1], 0x48
	s_cmp_eq_u32 s15, 1
	s_waitcnt vmcnt(1)
	v_subrev_u32_e32 v0, s12, v99
	v_add_u32_e32 v88, v0, v75
	v_ashrrev_i32_e32 v89, 31, v88
	s_waitcnt vmcnt(0)
	v_subrev_u32_e32 v98, s12, v1
	v_lshlrev_b64 v[0:1], 7, v[88:89]
	v_lshl_add_u64 v[90:91], s[10:11], 0, v[0:1]
	v_cmp_lt_i32_e64 s[2:3], v88, v98
	s_cbranch_scc1 .LBB138_23
; %bb.12:
	v_mov_b64_e32 v[84:85], 0
	v_mov_b64_e32 v[92:93], 0
	v_mov_b64_e32 v[82:83], 0
	v_mov_b64_e32 v[86:87], 0
	v_mov_b64_e32 v[78:79], 0
	v_mov_b64_e32 v[80:81], 0
	v_mov_b64_e32 v[0:1], 0
	v_mov_b64_e32 v[76:77], 0
	s_and_saveexec_b64 s[10:11], s[2:3]
	s_cbranch_execz .LBB138_22
; %bb.13:
	v_add_u32_e32 v0, v99, v75
	v_subrev_u32_e32 v0, s12, v0
	v_add_u32_e32 v0, 32, v0
	v_max_i32_e32 v0, v0, v98
	v_not_b32_e32 v1, v99
	v_add3_u32 v0, s12, v0, v1
	v_sub_u32_e32 v10, v0, v75
	s_movk_i32 s4, 0x60
	v_and_b32_e32 v0, 0x60, v10
	v_cmp_ne_u32_e32 vcc, s4, v0
	v_mov_b64_e32 v[76:77], 0
	v_mov_b64_e32 v[0:1], 0
	;; [unrolled: 1-line block ×9, first 2 shown]
	v_mov_b32_e32 v94, v88
	s_and_saveexec_b64 s[4:5], vcc
	s_cbranch_execz .LBB138_17
; %bb.14:
	v_lshrrev_b32_e32 v0, 5, v10
	v_add_u32_e32 v0, 1, v0
	v_and_b32_e32 v0, 3, v0
	v_sub_u32_e32 v11, 0, v0
	v_mov_b64_e32 v[84:85], 0
	s_mov_b64 s[14:15], 0
	s_mov_b64 s[16:17], 0x1000
	v_mov_b32_e32 v94, v88
	v_mov_b64_e32 v[96:97], v[90:91]
	v_mov_b64_e32 v[92:93], 0
	;; [unrolled: 1-line block ×8, first 2 shown]
.LBB138_15:                             ; =>This Inner Loop Header: Depth=1
	v_ashrrev_i32_e32 v95, 31, v94
	v_lshl_add_u64 v[44:45], v[94:95], 2, s[8:9]
	global_load_dword v46, v[44:45], off
	global_load_dwordx4 v[12:15], v[96:97], off offset:48
	global_load_dwordx4 v[16:19], v[96:97], off offset:32
	;; [unrolled: 1-line block ×3, first 2 shown]
	global_load_dwordx4 v[24:27], v[96:97], off
	global_load_dwordx4 v[28:31], v[96:97], off offset:112
	global_load_dwordx4 v[32:35], v[96:97], off offset:96
	;; [unrolled: 1-line block ×4, first 2 shown]
	v_add_co_u32_e32 v11, vcc, 1, v11
	v_lshl_add_u64 v[96:97], v[96:97], 0, s[16:17]
	v_add_u32_e32 v94, 32, v94
	s_or_b64 s[14:15], vcc, s[14:15]
	s_waitcnt vmcnt(8)
	v_subrev_u32_e32 v44, s12, v46
	v_lshlrev_b32_e32 v44, 2, v44
	v_ashrrev_i32_e32 v45, 31, v44
	s_waitcnt lgkmcnt(0)
	v_lshl_add_u64 v[60:61], v[44:45], 4, s[6:7]
	global_load_dwordx4 v[44:47], v[60:61], off
	global_load_dwordx4 v[48:51], v[60:61], off offset:16
	global_load_dwordx4 v[52:55], v[60:61], off offset:32
	;; [unrolled: 1-line block ×3, first 2 shown]
	s_waitcnt vmcnt(3)
	v_fmac_f64_e32 v[92:93], v[24:25], v[44:45]
	v_fmac_f64_e32 v[84:85], 0, v[44:45]
	v_fmac_f64_e32 v[86:87], v[16:17], v[44:45]
	v_fmac_f64_e32 v[82:83], 0, v[44:45]
	v_fmac_f64_e32 v[80:81], v[40:41], v[44:45]
	v_fmac_f64_e32 v[78:79], 0, v[44:45]
	v_fmac_f64_e32 v[76:77], v[32:33], v[44:45]
	v_fmac_f64_e32 v[0:1], 0, v[44:45]
	v_fmac_f64_e32 v[92:93], 0x80000000, v[46:47]
	v_fmac_f64_e32 v[84:85], v[24:25], v[46:47]
	v_fmac_f64_e32 v[86:87], 0x80000000, v[46:47]
	v_fmac_f64_e32 v[82:83], v[16:17], v[46:47]
	v_fmac_f64_e32 v[80:81], 0x80000000, v[46:47]
	v_fmac_f64_e32 v[78:79], v[40:41], v[46:47]
	v_fmac_f64_e32 v[76:77], 0x80000000, v[46:47]
	v_fmac_f64_e32 v[0:1], v[32:33], v[46:47]
	s_waitcnt vmcnt(2)
	v_fmac_f64_e32 v[92:93], v[26:27], v[48:49]
	v_fmac_f64_e32 v[84:85], 0, v[48:49]
	v_fmac_f64_e32 v[86:87], v[18:19], v[48:49]
	v_fmac_f64_e32 v[82:83], 0, v[48:49]
	v_fmac_f64_e32 v[80:81], v[42:43], v[48:49]
	v_fmac_f64_e32 v[78:79], 0, v[48:49]
	v_fmac_f64_e32 v[76:77], v[34:35], v[48:49]
	v_fmac_f64_e32 v[0:1], 0, v[48:49]
	v_fmac_f64_e32 v[84:85], v[26:27], v[50:51]
	v_fmac_f64_e32 v[82:83], v[18:19], v[50:51]
	v_fmac_f64_e32 v[92:93], 0x80000000, v[50:51]
	v_fmac_f64_e32 v[86:87], 0x80000000, v[50:51]
	v_fmac_f64_e32 v[80:81], 0x80000000, v[50:51]
	v_fmac_f64_e32 v[78:79], v[42:43], v[50:51]
	v_fmac_f64_e32 v[76:77], 0x80000000, v[50:51]
	v_fmac_f64_e32 v[0:1], v[34:35], v[50:51]
	;; [unrolled: 17-line block ×4, first 2 shown]
	s_andn2_b64 exec, exec, s[14:15]
	s_cbranch_execnz .LBB138_15
; %bb.16:
	s_or_b64 exec, exec, s[14:15]
.LBB138_17:
	s_or_b64 exec, exec, s[4:5]
	s_movk_i32 s4, 0x5f
	v_cmp_lt_u32_e32 vcc, s4, v10
	s_and_saveexec_b64 s[14:15], vcc
	s_cbranch_execz .LBB138_21
; %bb.18:
	s_mov_b64 s[16:17], 0
	s_mov_b64 s[18:19], 0x1000
	;; [unrolled: 1-line block ×3, first 2 shown]
	s_movk_i32 s13, 0x2000
	s_mov_b64 s[22:23], 0x3000
	s_movk_i32 s26, 0x3000
	s_mov_b64 s[24:25], 0x4000
.LBB138_19:                             ; =>This Inner Loop Header: Depth=1
	v_ashrrev_i32_e32 v95, 31, v94
	v_lshl_add_u64 v[44:45], v[96:97], 0, s[18:19]
	global_load_dwordx4 v[14:17], v[96:97], off offset:48
	global_load_dwordx4 v[10:13], v[96:97], off offset:32
	;; [unrolled: 1-line block ×3, first 2 shown]
	global_load_dwordx4 v[22:25], v[96:97], off
	global_load_dwordx4 v[26:29], v[96:97], off offset:112
	global_load_dwordx4 v[34:37], v[96:97], off offset:96
	;; [unrolled: 1-line block ×4, first 2 shown]
	v_lshl_add_u64 v[110:111], v[94:95], 2, s[8:9]
	global_load_dwordx4 v[48:51], v[44:45], off offset:48
	global_load_dwordx4 v[52:55], v[44:45], off offset:32
	;; [unrolled: 1-line block ×3, first 2 shown]
	global_load_dword v60, v[110:111], off
	global_load_dwordx4 v[64:67], v[44:45], off offset:112
	v_lshl_add_u64 v[46:47], v[96:97], 0, s[20:21]
	v_add_co_u32_e32 v42, vcc, s13, v96
	v_lshl_add_u64 v[72:73], v[96:97], 0, s[22:23]
	s_nop 0
	v_addc_co_u32_e32 v43, vcc, 0, v97, vcc
	v_add_co_u32_e64 v108, s[4:5], s26, v96
	v_add_u32_e32 v94, 0x80, v94
	s_nop 0
	v_addc_co_u32_e64 v109, vcc, 0, v97, s[4:5]
	v_cmp_ge_i32_e32 vcc, v94, v98
	v_lshl_add_u64 v[96:97], v[96:97], 0, s[24:25]
	s_or_b64 s[16:17], vcc, s[16:17]
	s_waitcnt vmcnt(1)
	v_subrev_u32_e32 v60, s12, v60
	v_lshlrev_b32_e32 v60, 2, v60
	v_ashrrev_i32_e32 v61, 31, v60
	s_waitcnt lgkmcnt(0)
	v_lshl_add_u64 v[100:101], v[60:61], 4, s[6:7]
	global_load_dwordx4 v[60:63], v[100:101], off
	s_waitcnt vmcnt(0)
	v_fmac_f64_e32 v[92:93], v[22:23], v[60:61]
	v_fmac_f64_e32 v[84:85], 0, v[60:61]
	;; [unrolled: 1-line block ×16, first 2 shown]
	global_load_dwordx4 v[60:63], v[100:101], off offset:16
	s_waitcnt vmcnt(0)
	v_fmac_f64_e32 v[84:85], 0, v[60:61]
	v_fmac_f64_e32 v[78:79], 0, v[60:61]
	v_fmac_f64_e32 v[0:1], 0, v[60:61]
	v_fmac_f64_e32 v[92:93], v[24:25], v[60:61]
	v_fmac_f64_e32 v[84:85], v[24:25], v[62:63]
	global_load_dwordx4 v[22:25], v[44:45], off offset:96
	v_fmac_f64_e32 v[80:81], v[40:41], v[60:61]
	v_fmac_f64_e32 v[78:79], v[40:41], v[62:63]
	global_load_dwordx4 v[68:71], v[44:45], off offset:80
	global_load_dwordx4 v[38:41], v[44:45], off offset:64
	v_fmac_f64_e32 v[76:77], v[36:37], v[60:61]
	v_fmac_f64_e32 v[0:1], v[36:37], v[62:63]
	global_load_dwordx4 v[34:37], v[100:101], off offset:32
	v_fmac_f64_e32 v[86:87], v[12:13], v[60:61]
	v_fmac_f64_e32 v[82:83], 0, v[60:61]
	;; [unrolled: 1-line block ×7, first 2 shown]
	global_load_dwordx4 v[10:13], v[46:47], off offset:48
	global_load_dwordx4 v[60:63], v[46:47], off offset:32
	s_waitcnt vmcnt(2)
	v_fmac_f64_e32 v[92:93], v[18:19], v[34:35]
	v_fmac_f64_e32 v[84:85], 0, v[34:35]
	;; [unrolled: 1-line block ×16, first 2 shown]
	global_load_dwordx4 v[34:37], v[100:101], off offset:48
	s_waitcnt vmcnt(0)
	v_fmac_f64_e32 v[82:83], 0, v[34:35]
	v_fmac_f64_e32 v[86:87], v[16:17], v[34:35]
	;; [unrolled: 1-line block ×3, first 2 shown]
	global_load_dwordx4 v[100:103], v[46:47], off offset:16
	global_load_dwordx4 v[14:17], v[46:47], off offset:112
	global_load_dword v26, v[110:111], off offset:128
	v_fmac_f64_e32 v[78:79], 0, v[34:35]
	v_fmac_f64_e32 v[84:85], 0, v[34:35]
	;; [unrolled: 1-line block ×9, first 2 shown]
	global_load_dwordx4 v[18:21], v[42:43], off offset:-4096
	v_fmac_f64_e32 v[92:93], 0x80000000, v[36:37]
	v_fmac_f64_e32 v[86:87], 0x80000000, v[36:37]
	;; [unrolled: 1-line block ×4, first 2 shown]
	global_load_dwordx4 v[34:37], v[46:47], off offset:80
	global_load_dwordx4 v[104:107], v[46:47], off offset:96
	s_waitcnt vmcnt(3)
	v_subrev_u32_e32 v26, s12, v26
	v_lshlrev_b32_e32 v26, 2, v26
	v_ashrrev_i32_e32 v27, 31, v26
	v_lshl_add_u64 v[32:33], v[26:27], 4, s[6:7]
	global_load_dwordx4 v[26:29], v[32:33], off
	s_waitcnt vmcnt(0)
	v_fmac_f64_e32 v[92:93], v[18:19], v[26:27]
	v_fmac_f64_e32 v[84:85], 0, v[26:27]
	;; [unrolled: 1-line block ×16, first 2 shown]
	global_load_dwordx4 v[28:31], v[32:33], off offset:16
	s_waitcnt vmcnt(0)
	v_fmac_f64_e32 v[84:85], 0, v[28:29]
	v_fmac_f64_e32 v[92:93], v[20:21], v[28:29]
	v_fmac_f64_e32 v[84:85], v[20:21], v[30:31]
	global_load_dwordx4 v[18:21], v[32:33], off offset:32
	v_fmac_f64_e32 v[86:87], v[54:55], v[28:29]
	v_fmac_f64_e32 v[82:83], 0, v[28:29]
	;; [unrolled: 1-line block ×13, first 2 shown]
	global_load_dwordx4 v[52:55], v[46:47], off offset:64
	global_load_dwordx4 v[26:29], v[72:73], off offset:32
	s_waitcnt vmcnt(2)
	v_fmac_f64_e32 v[92:93], v[56:57], v[18:19]
	v_fmac_f64_e32 v[84:85], 0, v[18:19]
	;; [unrolled: 1-line block ×16, first 2 shown]
	global_load_dwordx4 v[18:21], v[72:73], off offset:16
	global_load_dwordx4 v[44:47], v[32:33], off offset:48
	;; [unrolled: 1-line block ×4, first 2 shown]
	s_waitcnt vmcnt(2)
	v_fmac_f64_e32 v[82:83], 0, v[44:45]
	v_fmac_f64_e32 v[92:93], v[58:59], v[44:45]
	;; [unrolled: 1-line block ×7, first 2 shown]
	global_load_dwordx4 v[30:33], v[72:73], off offset:80
	v_fmac_f64_e32 v[76:77], v[66:67], v[44:45]
	v_fmac_f64_e32 v[0:1], 0, v[44:45]
	global_load_dword v44, v[110:111], off offset:256
	global_load_dwordx4 v[48:51], v[42:43], off
	v_fmac_f64_e32 v[84:85], v[58:59], v[46:47]
	v_fmac_f64_e32 v[92:93], 0x80000000, v[46:47]
	v_fmac_f64_e32 v[78:79], v[70:71], v[46:47]
	v_fmac_f64_e32 v[0:1], v[66:67], v[46:47]
	v_fmac_f64_e32 v[86:87], 0x80000000, v[46:47]
	v_fmac_f64_e32 v[80:81], 0x80000000, v[46:47]
	v_fmac_f64_e32 v[76:77], 0x80000000, v[46:47]
	s_waitcnt vmcnt(1)
	v_subrev_u32_e32 v42, s12, v44
	v_lshlrev_b32_e32 v42, 2, v42
	v_ashrrev_i32_e32 v43, 31, v42
	v_lshl_add_u64 v[64:65], v[42:43], 4, s[6:7]
	global_load_dwordx4 v[42:45], v[64:65], off
	global_load_dwordx4 v[56:59], v[64:65], off offset:16
	s_waitcnt vmcnt(1)
	v_fmac_f64_e32 v[84:85], 0, v[42:43]
	v_fmac_f64_e32 v[92:93], v[48:49], v[42:43]
	;; [unrolled: 1-line block ×10, first 2 shown]
	s_waitcnt vmcnt(0)
	v_fmac_f64_e32 v[84:85], 0, v[56:57]
	v_fmac_f64_e32 v[86:87], 0x80000000, v[44:45]
	;; [unrolled: 1-line block ×9, first 2 shown]
	global_load_dwordx4 v[42:45], v[72:73], off offset:48
	global_load_dwordx4 v[46:49], v[72:73], off offset:64
	global_load_dword v60, v[110:111], off offset:384
	global_load_dwordx4 v[50:53], v[108:109], off
	global_load_dwordx4 v[66:69], v[64:65], off offset:32
	v_fmac_f64_e32 v[86:87], v[62:63], v[56:57]
	global_load_dwordx4 v[70:73], v[64:65], off offset:48
	v_fmac_f64_e32 v[82:83], 0, v[56:57]
	v_fmac_f64_e32 v[80:81], v[54:55], v[56:57]
	;; [unrolled: 1-line block ×12, first 2 shown]
	s_waitcnt vmcnt(3)
	v_subrev_u32_e32 v60, s12, v60
	v_lshlrev_b32_e32 v60, 2, v60
	v_ashrrev_i32_e32 v61, 31, v60
	v_lshl_add_u64 v[104:105], v[60:61], 4, s[6:7]
	global_load_dwordx4 v[62:65], v[104:105], off
	s_waitcnt vmcnt(2)
	v_fmac_f64_e32 v[92:93], v[100:101], v[66:67]
	v_fmac_f64_e32 v[84:85], 0, v[66:67]
	;; [unrolled: 1-line block ×16, first 2 shown]
	global_load_dwordx4 v[66:69], v[104:105], off offset:16
	global_load_dwordx4 v[58:61], v[104:105], off offset:32
	;; [unrolled: 1-line block ×3, first 2 shown]
	s_waitcnt vmcnt(4)
	v_fmac_f64_e32 v[92:93], v[102:103], v[70:71]
	v_fmac_f64_e32 v[84:85], 0, v[70:71]
	v_fmac_f64_e32 v[86:87], v[12:13], v[70:71]
	v_fmac_f64_e32 v[82:83], 0, v[70:71]
	v_fmac_f64_e32 v[80:81], v[36:37], v[70:71]
	v_fmac_f64_e32 v[78:79], 0, v[70:71]
	v_fmac_f64_e32 v[76:77], v[16:17], v[70:71]
	v_fmac_f64_e32 v[0:1], 0, v[70:71]
	v_fmac_f64_e32 v[84:85], v[102:103], v[72:73]
	v_fmac_f64_e32 v[92:93], 0x80000000, v[72:73]
	v_fmac_f64_e32 v[86:87], 0x80000000, v[72:73]
	v_fmac_f64_e32 v[82:83], v[12:13], v[72:73]
	v_fmac_f64_e32 v[80:81], 0x80000000, v[72:73]
	v_fmac_f64_e32 v[78:79], v[36:37], v[72:73]
	v_fmac_f64_e32 v[76:77], 0x80000000, v[72:73]
	v_fmac_f64_e32 v[0:1], v[16:17], v[72:73]
	s_waitcnt vmcnt(3)
	v_fmac_f64_e32 v[92:93], v[50:51], v[62:63]
	v_fmac_f64_e32 v[84:85], 0, v[62:63]
	v_fmac_f64_e32 v[86:87], v[26:27], v[62:63]
	v_fmac_f64_e32 v[82:83], 0, v[62:63]
	v_fmac_f64_e32 v[80:81], v[46:47], v[62:63]
	v_fmac_f64_e32 v[78:79], 0, v[62:63]
	v_fmac_f64_e32 v[76:77], v[38:39], v[62:63]
	v_fmac_f64_e32 v[0:1], 0, v[62:63]
	v_fmac_f64_e32 v[92:93], 0x80000000, v[64:65]
	v_fmac_f64_e32 v[84:85], v[50:51], v[64:65]
	v_fmac_f64_e32 v[86:87], 0x80000000, v[64:65]
	v_fmac_f64_e32 v[82:83], v[26:27], v[64:65]
	v_fmac_f64_e32 v[80:81], 0x80000000, v[64:65]
	v_fmac_f64_e32 v[78:79], v[46:47], v[64:65]
	v_fmac_f64_e32 v[76:77], 0x80000000, v[64:65]
	v_fmac_f64_e32 v[0:1], v[38:39], v[64:65]
	;; [unrolled: 17-line block ×5, first 2 shown]
	s_andn2_b64 exec, exec, s[16:17]
	s_cbranch_execnz .LBB138_19
; %bb.20:
	s_or_b64 exec, exec, s[16:17]
.LBB138_21:
	s_or_b64 exec, exec, s[14:15]
.LBB138_22:
	s_or_b64 exec, exec, s[10:11]
	s_cbranch_execz .LBB138_24
	s_branch .LBB138_35
.LBB138_23:
                                        ; implicit-def: $vgpr84_vgpr85
                                        ; implicit-def: $vgpr92_vgpr93
                                        ; implicit-def: $vgpr82_vgpr83
                                        ; implicit-def: $vgpr86_vgpr87
                                        ; implicit-def: $vgpr78_vgpr79
                                        ; implicit-def: $vgpr80_vgpr81
                                        ; implicit-def: $vgpr0_vgpr1
                                        ; implicit-def: $vgpr76_vgpr77
.LBB138_24:
	v_mov_b64_e32 v[84:85], 0
	v_mov_b64_e32 v[92:93], 0
	;; [unrolled: 1-line block ×8, first 2 shown]
	s_and_saveexec_b64 s[4:5], s[2:3]
	s_cbranch_execz .LBB138_34
; %bb.25:
	v_add_u32_e32 v0, v99, v75
	v_subrev_u32_e32 v0, s12, v0
	v_add_u32_e32 v0, 32, v0
	v_max_i32_e32 v0, v0, v98
	v_not_b32_e32 v1, v99
	v_add3_u32 v0, s12, v0, v1
	v_sub_u32_e32 v10, v0, v75
	s_movk_i32 s2, 0x60
	v_and_b32_e32 v0, 0x60, v10
	v_cmp_ne_u32_e32 vcc, s2, v0
	v_mov_b64_e32 v[76:77], 0
	v_mov_b64_e32 v[0:1], 0
	;; [unrolled: 1-line block ×8, first 2 shown]
	s_and_saveexec_b64 s[2:3], vcc
	s_cbranch_execz .LBB138_29
; %bb.26:
	v_lshrrev_b32_e32 v0, 5, v10
	v_add_u32_e32 v0, 1, v0
	v_and_b32_e32 v0, 3, v0
	v_sub_u32_e32 v11, 0, v0
	v_mov_b64_e32 v[84:85], 0
	s_mov_b64 s[10:11], 0
	s_mov_b64 s[14:15], 0x1000
	v_mov_b64_e32 v[92:93], 0
	v_mov_b64_e32 v[82:83], 0
	v_mov_b64_e32 v[86:87], 0
	v_mov_b64_e32 v[78:79], 0
	v_mov_b64_e32 v[80:81], 0
	v_mov_b64_e32 v[0:1], 0
	v_mov_b64_e32 v[76:77], 0
.LBB138_27:                             ; =>This Inner Loop Header: Depth=1
	v_ashrrev_i32_e32 v89, 31, v88
	v_lshl_add_u64 v[40:41], v[88:89], 2, s[8:9]
	global_load_dword v42, v[40:41], off
	global_load_dwordx4 v[12:15], v[90:91], off offset:48
	global_load_dwordx4 v[16:19], v[90:91], off offset:32
	;; [unrolled: 1-line block ×3, first 2 shown]
	global_load_dwordx4 v[24:27], v[90:91], off
	global_load_dwordx4 v[28:31], v[90:91], off offset:96
	global_load_dwordx4 v[32:35], v[90:91], off offset:80
	;; [unrolled: 1-line block ×3, first 2 shown]
	v_add_co_u32_e32 v11, vcc, 1, v11
	v_add_u32_e32 v88, 32, v88
	s_or_b64 s[10:11], vcc, s[10:11]
	s_waitcnt vmcnt(7)
	v_subrev_u32_e32 v40, s12, v42
	v_lshlrev_b32_e32 v40, 2, v40
	v_ashrrev_i32_e32 v41, 31, v40
	s_waitcnt lgkmcnt(0)
	v_lshl_add_u64 v[60:61], v[40:41], 4, s[6:7]
	global_load_dwordx4 v[40:43], v[60:61], off
	global_load_dwordx4 v[44:47], v[60:61], off offset:16
	global_load_dwordx4 v[48:51], v[60:61], off offset:32
	;; [unrolled: 1-line block ×4, first 2 shown]
	v_lshl_add_u64 v[90:91], v[90:91], 0, s[14:15]
	s_waitcnt vmcnt(4)
	v_fmac_f64_e32 v[92:93], v[24:25], v[40:41]
	v_fmac_f64_e32 v[84:85], 0, v[40:41]
	v_fmac_f64_e32 v[86:87], v[26:27], v[40:41]
	v_fmac_f64_e32 v[82:83], 0, v[40:41]
	v_fmac_f64_e32 v[80:81], v[20:21], v[40:41]
	v_fmac_f64_e32 v[78:79], 0, v[40:41]
	v_fmac_f64_e32 v[76:77], v[22:23], v[40:41]
	v_fmac_f64_e32 v[0:1], 0, v[40:41]
	v_fmac_f64_e32 v[92:93], 0x80000000, v[42:43]
	v_fmac_f64_e32 v[84:85], v[24:25], v[42:43]
	v_fmac_f64_e32 v[86:87], 0x80000000, v[42:43]
	v_fmac_f64_e32 v[82:83], v[26:27], v[42:43]
	v_fmac_f64_e32 v[80:81], 0x80000000, v[42:43]
	v_fmac_f64_e32 v[78:79], v[20:21], v[42:43]
	v_fmac_f64_e32 v[76:77], 0x80000000, v[42:43]
	v_fmac_f64_e32 v[0:1], v[22:23], v[42:43]
	s_waitcnt vmcnt(3)
	v_fmac_f64_e32 v[92:93], v[16:17], v[44:45]
	v_fmac_f64_e32 v[84:85], 0, v[44:45]
	v_fmac_f64_e32 v[86:87], v[18:19], v[44:45]
	v_fmac_f64_e32 v[82:83], 0, v[44:45]
	v_fmac_f64_e32 v[80:81], v[12:13], v[44:45]
	v_fmac_f64_e32 v[78:79], 0, v[44:45]
	v_fmac_f64_e32 v[76:77], v[14:15], v[44:45]
	v_fmac_f64_e32 v[0:1], 0, v[44:45]
	v_fmac_f64_e32 v[92:93], 0x80000000, v[46:47]
	v_fmac_f64_e32 v[84:85], v[16:17], v[46:47]
	v_fmac_f64_e32 v[86:87], 0x80000000, v[46:47]
	v_fmac_f64_e32 v[82:83], v[18:19], v[46:47]
	v_fmac_f64_e32 v[80:81], 0x80000000, v[46:47]
	v_fmac_f64_e32 v[78:79], v[12:13], v[46:47]
	v_fmac_f64_e32 v[76:77], 0x80000000, v[46:47]
	v_fmac_f64_e32 v[0:1], v[14:15], v[46:47]
	;; [unrolled: 17-line block ×3, first 2 shown]
	s_waitcnt vmcnt(1)
	v_fmac_f64_e32 v[92:93], v[28:29], v[52:53]
	v_fmac_f64_e32 v[84:85], 0, v[52:53]
	;; [unrolled: 1-line block ×4, first 2 shown]
	s_waitcnt vmcnt(0)
	v_fmac_f64_e32 v[80:81], v[56:57], v[52:53]
	v_fmac_f64_e32 v[78:79], 0, v[52:53]
	;; [unrolled: 1-line block ×12, first 2 shown]
	s_andn2_b64 exec, exec, s[10:11]
	s_cbranch_execnz .LBB138_27
; %bb.28:
	s_or_b64 exec, exec, s[10:11]
.LBB138_29:
	s_or_b64 exec, exec, s[2:3]
	s_movk_i32 s2, 0x5f
	v_cmp_lt_u32_e32 vcc, s2, v10
	s_and_saveexec_b64 s[2:3], vcc
	s_cbranch_execz .LBB138_33
; %bb.30:
	s_mov_b64 s[10:11], 0
	s_mov_b64 s[14:15], 0x1000
	;; [unrolled: 1-line block ×3, first 2 shown]
	s_movk_i32 s13, 0x2000
	s_mov_b64 s[18:19], 0x3000
	s_movk_i32 s22, 0x3000
	s_mov_b64 s[20:21], 0x4000
.LBB138_31:                             ; =>This Inner Loop Header: Depth=1
	v_add_co_u32_e32 v42, vcc, s13, v90
	v_ashrrev_i32_e32 v89, 31, v88
	s_nop 0
	v_addc_co_u32_e32 v43, vcc, 0, v91, vcc
	global_load_dwordx4 v[10:13], v[90:91], off offset:48
	global_load_dwordx4 v[14:17], v[90:91], off offset:32
	global_load_dwordx4 v[18:21], v[90:91], off offset:16
	global_load_dwordx4 v[22:25], v[90:91], off
	global_load_dwordx4 v[26:29], v[90:91], off offset:112
	global_load_dwordx4 v[30:33], v[90:91], off offset:96
	;; [unrolled: 1-line block ×4, first 2 shown]
	v_lshl_add_u64 v[52:53], v[88:89], 2, s[8:9]
	global_load_dwordx4 v[48:51], v[42:43], off offset:-4096
	global_load_dword v54, v[52:53], off
	global_load_dword v66, v[52:53], off offset:128
	global_load_dword v89, v[52:53], off offset:256
	;; [unrolled: 1-line block ×3, first 2 shown]
	v_lshl_add_u64 v[44:45], v[90:91], 0, s[14:15]
	global_load_dwordx4 v[56:59], v[44:45], off offset:112
	v_lshl_add_u64 v[46:47], v[90:91], 0, s[16:17]
	v_add_co_u32_e32 v60, vcc, s22, v90
	v_lshl_add_u64 v[62:63], v[90:91], 0, s[18:19]
	s_nop 0
	v_addc_co_u32_e32 v61, vcc, 0, v91, vcc
	v_add_u32_e32 v88, 0x80, v88
	v_cmp_ge_i32_e32 vcc, v88, v98
	v_lshl_add_u64 v[90:91], v[90:91], 0, s[20:21]
	s_or_b64 s[10:11], vcc, s[10:11]
	s_waitcnt vmcnt(4)
	v_subrev_u32_e32 v52, s12, v54
	v_lshlrev_b32_e32 v52, 2, v52
	v_ashrrev_i32_e32 v53, 31, v52
	s_waitcnt lgkmcnt(0)
	v_lshl_add_u64 v[64:65], v[52:53], 4, s[6:7]
	global_load_dwordx4 v[52:55], v[64:65], off
	s_waitcnt vmcnt(0)
	v_fmac_f64_e32 v[92:93], v[22:23], v[52:53]
	v_fmac_f64_e32 v[84:85], 0, v[52:53]
	;; [unrolled: 1-line block ×16, first 2 shown]
	global_load_dwordx4 v[52:55], v[64:65], off offset:16
	global_load_dwordx4 v[22:25], v[44:45], off offset:48
	;; [unrolled: 1-line block ×3, first 2 shown]
	s_waitcnt vmcnt(2)
	v_fmac_f64_e32 v[78:79], 0, v[52:53]
	v_fmac_f64_e32 v[0:1], 0, v[52:53]
	;; [unrolled: 1-line block ×6, first 2 shown]
	global_load_dwordx4 v[10:13], v[64:65], off offset:32
	v_fmac_f64_e32 v[92:93], v[14:15], v[52:53]
	v_fmac_f64_e32 v[84:85], 0, v[52:53]
	;; [unrolled: 1-line block ×10, first 2 shown]
	global_load_dwordx4 v[14:17], v[44:45], off offset:16
	s_waitcnt vmcnt(1)
	v_fmac_f64_e32 v[92:93], v[38:39], v[10:11]
	v_fmac_f64_e32 v[84:85], 0, v[10:11]
	;; [unrolled: 1-line block ×10, first 2 shown]
	global_load_dwordx4 v[38:41], v[44:45], off offset:96
	v_fmac_f64_e32 v[78:79], v[34:35], v[12:13]
	v_fmac_f64_e32 v[0:1], v[36:37], v[12:13]
	global_load_dwordx4 v[34:37], v[44:45], off offset:80
	v_fmac_f64_e32 v[92:93], 0x80000000, v[12:13]
	v_fmac_f64_e32 v[86:87], 0x80000000, v[12:13]
	;; [unrolled: 1-line block ×4, first 2 shown]
	global_load_dwordx4 v[10:13], v[44:45], off offset:64
	global_load_dwordx4 v[52:55], v[64:65], off offset:48
	;; [unrolled: 1-line block ×3, first 2 shown]
	s_waitcnt vmcnt(1)
	v_fmac_f64_e32 v[78:79], 0, v[52:53]
	v_fmac_f64_e32 v[80:81], v[26:27], v[52:53]
	;; [unrolled: 1-line block ×3, first 2 shown]
	v_subrev_u32_e32 v26, s12, v66
	v_lshlrev_b32_e32 v26, 2, v26
	v_ashrrev_i32_e32 v27, 31, v26
	v_fmac_f64_e32 v[0:1], 0, v[52:53]
	v_lshl_add_u64 v[72:73], v[26:27], 4, s[6:7]
	v_fmac_f64_e32 v[76:77], v[28:29], v[52:53]
	v_fmac_f64_e32 v[0:1], v[28:29], v[54:55]
	global_load_dwordx4 v[26:29], v[72:73], off
	v_fmac_f64_e32 v[92:93], v[30:31], v[52:53]
	v_fmac_f64_e32 v[84:85], 0, v[52:53]
	;; [unrolled: 1-line block ×10, first 2 shown]
	global_load_dwordx4 v[30:33], v[42:43], off
	global_load_dwordx4 v[64:67], v[46:47], off offset:112
	global_load_dwordx4 v[52:55], v[46:47], off offset:80
	s_waitcnt vmcnt(3)
	v_fmac_f64_e32 v[92:93], v[48:49], v[26:27]
	v_fmac_f64_e32 v[84:85], 0, v[26:27]
	;; [unrolled: 1-line block ×16, first 2 shown]
	global_load_dwordx4 v[26:29], v[72:73], off offset:16
	global_load_dwordx4 v[48:51], v[46:47], off offset:32
	;; [unrolled: 1-line block ×4, first 2 shown]
	s_waitcnt vmcnt(3)
	v_fmac_f64_e32 v[82:83], 0, v[26:27]
	v_fmac_f64_e32 v[78:79], 0, v[26:27]
	;; [unrolled: 1-line block ×6, first 2 shown]
	global_load_dwordx4 v[20:23], v[72:73], off offset:32
	v_fmac_f64_e32 v[92:93], v[18:19], v[26:27]
	v_fmac_f64_e32 v[84:85], 0, v[26:27]
	;; [unrolled: 1-line block ×10, first 2 shown]
	v_subrev_u32_e32 v28, s12, v89
	v_lshlrev_b32_e32 v28, 2, v28
	v_ashrrev_i32_e32 v29, 31, v28
	s_waitcnt vmcnt(0)
	v_fmac_f64_e32 v[92:93], v[10:11], v[20:21]
	v_fmac_f64_e32 v[84:85], 0, v[20:21]
	;; [unrolled: 1-line block ×8, first 2 shown]
	global_load_dwordx4 v[94:97], v[46:47], off offset:64
	global_load_dwordx4 v[18:21], v[60:61], off
	global_load_dwordx4 v[24:27], v[72:73], off offset:48
	v_fmac_f64_e32 v[84:85], v[10:11], v[22:23]
	v_fmac_f64_e32 v[82:83], v[12:13], v[22:23]
	;; [unrolled: 1-line block ×8, first 2 shown]
	v_lshl_add_u64 v[46:47], v[28:29], 4, s[6:7]
	global_load_dwordx4 v[34:37], v[62:63], off offset:16
	global_load_dwordx4 v[10:13], v[62:63], off offset:48
	s_waitcnt vmcnt(2)
	v_fmac_f64_e32 v[92:93], v[38:39], v[24:25]
	v_fmac_f64_e32 v[84:85], 0, v[24:25]
	;; [unrolled: 1-line block ×16, first 2 shown]
	global_load_dwordx4 v[26:29], v[46:47], off
	global_load_dwordx4 v[38:41], v[46:47], off offset:16
	global_load_dwordx4 v[58:61], v[46:47], off offset:48
	;; [unrolled: 1-line block ×3, first 2 shown]
	s_waitcnt vmcnt(3)
	v_fmac_f64_e32 v[92:93], v[30:31], v[26:27]
	v_fmac_f64_e32 v[84:85], 0, v[26:27]
	;; [unrolled: 1-line block ×16, first 2 shown]
	s_waitcnt vmcnt(2)
	v_fmac_f64_e32 v[92:93], v[48:49], v[38:39]
	v_fmac_f64_e32 v[84:85], 0, v[38:39]
	;; [unrolled: 1-line block ×8, first 2 shown]
	v_subrev_u32_e32 v38, s12, v99
	v_lshlrev_b32_e32 v38, 2, v38
	v_ashrrev_i32_e32 v39, 31, v38
	v_fmac_f64_e32 v[84:85], v[48:49], v[40:41]
	v_fmac_f64_e32 v[82:83], v[50:51], v[40:41]
	;; [unrolled: 1-line block ×4, first 2 shown]
	v_lshl_add_u64 v[42:43], v[38:39], 4, s[6:7]
	v_fmac_f64_e32 v[92:93], 0x80000000, v[40:41]
	v_fmac_f64_e32 v[86:87], 0x80000000, v[40:41]
	;; [unrolled: 1-line block ×4, first 2 shown]
	global_load_dwordx4 v[38:41], v[46:47], off offset:32
	global_load_dwordx4 v[14:17], v[62:63], off offset:96
	;; [unrolled: 1-line block ×4, first 2 shown]
	s_waitcnt vmcnt(3)
	v_fmac_f64_e32 v[0:1], 0, v[38:39]
	v_fmac_f64_e32 v[76:77], v[54:55], v[38:39]
	v_fmac_f64_e32 v[0:1], v[54:55], v[40:41]
	global_load_dwordx4 v[54:57], v[42:43], off
	v_fmac_f64_e32 v[78:79], 0, v[38:39]
	v_fmac_f64_e32 v[80:81], v[52:53], v[38:39]
	;; [unrolled: 1-line block ×3, first 2 shown]
	global_load_dwordx4 v[50:53], v[42:43], off offset:16
	v_fmac_f64_e32 v[92:93], v[94:95], v[38:39]
	v_fmac_f64_e32 v[84:85], 0, v[38:39]
	;; [unrolled: 1-line block ×10, first 2 shown]
	global_load_dwordx4 v[46:49], v[42:43], off offset:32
	global_load_dwordx4 v[38:41], v[42:43], off offset:48
	v_fmac_f64_e32 v[92:93], v[68:69], v[58:59]
	global_load_dwordx4 v[42:45], v[62:63], off offset:112
	v_fmac_f64_e32 v[84:85], 0, v[58:59]
	v_fmac_f64_e32 v[86:87], v[70:71], v[58:59]
	v_fmac_f64_e32 v[82:83], 0, v[58:59]
	v_fmac_f64_e32 v[80:81], v[64:65], v[58:59]
	v_fmac_f64_e32 v[78:79], 0, v[58:59]
	v_fmac_f64_e32 v[76:77], v[66:67], v[58:59]
	v_fmac_f64_e32 v[0:1], 0, v[58:59]
	v_fmac_f64_e32 v[84:85], v[68:69], v[60:61]
	v_fmac_f64_e32 v[82:83], v[70:71], v[60:61]
	v_fmac_f64_e32 v[78:79], v[64:65], v[60:61]
	v_fmac_f64_e32 v[0:1], v[66:67], v[60:61]
	v_fmac_f64_e32 v[92:93], 0x80000000, v[60:61]
	v_fmac_f64_e32 v[86:87], 0x80000000, v[60:61]
	v_fmac_f64_e32 v[80:81], 0x80000000, v[60:61]
	v_fmac_f64_e32 v[76:77], 0x80000000, v[60:61]
	s_waitcnt vmcnt(4)
	v_fmac_f64_e32 v[92:93], v[18:19], v[54:55]
	v_fmac_f64_e32 v[84:85], 0, v[54:55]
	v_fmac_f64_e32 v[86:87], v[20:21], v[54:55]
	v_fmac_f64_e32 v[82:83], 0, v[54:55]
	v_fmac_f64_e32 v[80:81], v[34:35], v[54:55]
	v_fmac_f64_e32 v[78:79], 0, v[54:55]
	v_fmac_f64_e32 v[76:77], v[36:37], v[54:55]
	v_fmac_f64_e32 v[0:1], 0, v[54:55]
	v_fmac_f64_e32 v[92:93], 0x80000000, v[56:57]
	v_fmac_f64_e32 v[84:85], v[18:19], v[56:57]
	v_fmac_f64_e32 v[86:87], 0x80000000, v[56:57]
	v_fmac_f64_e32 v[82:83], v[20:21], v[56:57]
	v_fmac_f64_e32 v[80:81], 0x80000000, v[56:57]
	v_fmac_f64_e32 v[78:79], v[34:35], v[56:57]
	v_fmac_f64_e32 v[76:77], 0x80000000, v[56:57]
	v_fmac_f64_e32 v[0:1], v[36:37], v[56:57]
	s_waitcnt vmcnt(3)
	v_fmac_f64_e32 v[92:93], v[22:23], v[50:51]
	;; [unrolled: 17-line block ×4, first 2 shown]
	v_fmac_f64_e32 v[84:85], 0, v[38:39]
	v_fmac_f64_e32 v[86:87], v[16:17], v[38:39]
	;; [unrolled: 1-line block ×3, first 2 shown]
	s_waitcnt vmcnt(0)
	v_fmac_f64_e32 v[80:81], v[42:43], v[38:39]
	v_fmac_f64_e32 v[78:79], 0, v[38:39]
	;; [unrolled: 1-line block ×12, first 2 shown]
	s_andn2_b64 exec, exec, s[10:11]
	s_cbranch_execnz .LBB138_31
; %bb.32:
	s_or_b64 exec, exec, s[10:11]
.LBB138_33:
	s_or_b64 exec, exec, s[2:3]
.LBB138_34:
	s_or_b64 exec, exec, s[4:5]
.LBB138_35:
	v_mov_b32_dpp v10, v92 row_shr:1 row_mask:0xf bank_mask:0xf
	v_mov_b32_dpp v11, v93 row_shr:1 row_mask:0xf bank_mask:0xf
	v_mov_b32_dpp v14, v84 row_shr:1 row_mask:0xf bank_mask:0xf
	v_mov_b32_dpp v15, v85 row_shr:1 row_mask:0xf bank_mask:0xf
	v_mov_b32_dpp v18, v86 row_shr:1 row_mask:0xf bank_mask:0xf
	v_mov_b32_dpp v19, v87 row_shr:1 row_mask:0xf bank_mask:0xf
	v_mov_b32_dpp v22, v82 row_shr:1 row_mask:0xf bank_mask:0xf
	v_mov_b32_dpp v23, v83 row_shr:1 row_mask:0xf bank_mask:0xf
	v_mov_b32_dpp v26, v80 row_shr:1 row_mask:0xf bank_mask:0xf
	v_mov_b32_dpp v27, v81 row_shr:1 row_mask:0xf bank_mask:0xf
	v_mov_b32_dpp v30, v78 row_shr:1 row_mask:0xf bank_mask:0xf
	v_mov_b32_dpp v31, v79 row_shr:1 row_mask:0xf bank_mask:0xf
	v_mov_b32_dpp v34, v76 row_shr:1 row_mask:0xf bank_mask:0xf
	v_mov_b32_dpp v35, v77 row_shr:1 row_mask:0xf bank_mask:0xf
	v_mov_b32_dpp v38, v0 row_shr:1 row_mask:0xf bank_mask:0xf
	v_mov_b32_dpp v39, v1 row_shr:1 row_mask:0xf bank_mask:0xf
	v_add_f64 v[10:11], v[92:93], v[10:11]
	v_add_f64 v[14:15], v[84:85], v[14:15]
	v_add_f64 v[18:19], v[86:87], v[18:19]
	v_add_f64 v[22:23], v[82:83], v[22:23]
	v_add_f64 v[26:27], v[80:81], v[26:27]
	v_add_f64 v[30:31], v[78:79], v[30:31]
	v_add_f64 v[34:35], v[76:77], v[34:35]
	v_add_f64 v[0:1], v[0:1], v[38:39]
	v_mov_b32_dpp v12, v10 row_shr:2 row_mask:0xf bank_mask:0xf
	v_mov_b32_dpp v13, v11 row_shr:2 row_mask:0xf bank_mask:0xf
	v_mov_b32_dpp v16, v14 row_shr:2 row_mask:0xf bank_mask:0xf
	v_mov_b32_dpp v17, v15 row_shr:2 row_mask:0xf bank_mask:0xf
	v_mov_b32_dpp v20, v18 row_shr:2 row_mask:0xf bank_mask:0xf
	v_mov_b32_dpp v21, v19 row_shr:2 row_mask:0xf bank_mask:0xf
	v_mov_b32_dpp v24, v22 row_shr:2 row_mask:0xf bank_mask:0xf
	v_mov_b32_dpp v25, v23 row_shr:2 row_mask:0xf bank_mask:0xf
	v_mov_b32_dpp v28, v26 row_shr:2 row_mask:0xf bank_mask:0xf
	v_mov_b32_dpp v29, v27 row_shr:2 row_mask:0xf bank_mask:0xf
	v_mov_b32_dpp v32, v30 row_shr:2 row_mask:0xf bank_mask:0xf
	v_mov_b32_dpp v33, v31 row_shr:2 row_mask:0xf bank_mask:0xf
	v_mov_b32_dpp v36, v34 row_shr:2 row_mask:0xf bank_mask:0xf
	v_mov_b32_dpp v37, v35 row_shr:2 row_mask:0xf bank_mask:0xf
	v_mov_b32_dpp v38, v0 row_shr:2 row_mask:0xf bank_mask:0xf
	v_mov_b32_dpp v39, v1 row_shr:2 row_mask:0xf bank_mask:0xf
	v_add_f64 v[10:11], v[10:11], v[12:13]
	v_add_f64 v[14:15], v[14:15], v[16:17]
	v_add_f64 v[18:19], v[18:19], v[20:21]
	v_add_f64 v[22:23], v[22:23], v[24:25]
	v_add_f64 v[26:27], v[26:27], v[28:29]
	v_add_f64 v[30:31], v[30:31], v[32:33]
	v_add_f64 v[34:35], v[34:35], v[36:37]
	v_add_f64 v[0:1], v[0:1], v[38:39]
	;; [unrolled: 24-line block ×4, first 2 shown]
	v_mov_b32_dpp v12, v10 row_bcast:15 row_mask:0xa bank_mask:0xf
	v_mov_b32_dpp v13, v11 row_bcast:15 row_mask:0xa bank_mask:0xf
	v_mov_b32_dpp v16, v14 row_bcast:15 row_mask:0xa bank_mask:0xf
	v_mov_b32_dpp v17, v15 row_bcast:15 row_mask:0xa bank_mask:0xf
	v_mov_b32_dpp v20, v18 row_bcast:15 row_mask:0xa bank_mask:0xf
	v_mov_b32_dpp v21, v19 row_bcast:15 row_mask:0xa bank_mask:0xf
	v_mov_b32_dpp v24, v22 row_bcast:15 row_mask:0xa bank_mask:0xf
	v_mov_b32_dpp v25, v23 row_bcast:15 row_mask:0xa bank_mask:0xf
	v_mov_b32_dpp v28, v26 row_bcast:15 row_mask:0xa bank_mask:0xf
	v_mov_b32_dpp v29, v27 row_bcast:15 row_mask:0xa bank_mask:0xf
	v_mov_b32_dpp v32, v30 row_bcast:15 row_mask:0xa bank_mask:0xf
	v_mov_b32_dpp v33, v31 row_bcast:15 row_mask:0xa bank_mask:0xf
	v_mov_b32_dpp v36, v34 row_bcast:15 row_mask:0xa bank_mask:0xf
	v_mov_b32_dpp v37, v35 row_bcast:15 row_mask:0xa bank_mask:0xf
	v_mov_b32_dpp v38, v0 row_bcast:15 row_mask:0xa bank_mask:0xf
	v_mov_b32_dpp v39, v1 row_bcast:15 row_mask:0xa bank_mask:0xf
	v_cmp_eq_u32_e32 vcc, 31, v75
	s_and_b64 exec, exec, vcc
	s_cbranch_execz .LBB138_8
; %bb.36:
	s_load_dwordx2 s[2:3], s[0:1], 0x60
	v_add_f64 v[40:41], v[10:11], v[12:13]
	v_add_f64 v[10:11], v[14:15], v[16:17]
	;; [unrolled: 1-line block ×8, first 2 shown]
	v_cmp_eq_f64_e32 vcc, 0, v[2:3]
	v_cmp_eq_f64_e64 s[0:1], 0, v[4:5]
	v_mul_f64 v[22:23], v[10:11], -v[8:9]
	v_mul_f64 v[24:25], v[6:7], v[10:11]
	v_mul_f64 v[18:19], v[12:13], -v[8:9]
	v_mul_f64 v[20:21], v[6:7], v[12:13]
	;; [unrolled: 2-line block ×4, first 2 shown]
	s_and_b64 s[0:1], vcc, s[0:1]
	v_fmac_f64_e32 v[22:23], v[6:7], v[40:41]
	v_fmac_f64_e32 v[24:25], v[8:9], v[40:41]
	v_lshlrev_b32_e32 v0, 2, v74
	v_fmac_f64_e32 v[18:19], v[6:7], v[42:43]
	v_fmac_f64_e32 v[20:21], v[8:9], v[42:43]
	;; [unrolled: 1-line block ×6, first 2 shown]
	s_and_saveexec_b64 s[4:5], s[0:1]
	s_xor_b64 s[0:1], exec, s[4:5]
	s_cbranch_execz .LBB138_38
; %bb.37:
	v_ashrrev_i32_e32 v1, 31, v0
	s_waitcnt lgkmcnt(0)
	v_lshl_add_u64 v[0:1], v[0:1], 4, s[2:3]
	global_store_dwordx4 v[0:1], v[22:25], off
	global_store_dwordx4 v[0:1], v[18:21], off offset:16
	global_store_dwordx4 v[0:1], v[14:17], off offset:32
	;; [unrolled: 1-line block ×3, first 2 shown]
                                        ; implicit-def: $vgpr4_vgpr5
                                        ; implicit-def: $vgpr22_vgpr23
                                        ; implicit-def: $vgpr0
                                        ; implicit-def: $vgpr18_vgpr19
                                        ; implicit-def: $vgpr14_vgpr15
                                        ; implicit-def: $vgpr10_vgpr11
.LBB138_38:
	s_andn2_saveexec_b64 s[0:1], s[0:1]
	s_cbranch_execz .LBB138_8
; %bb.39:
	v_ashrrev_i32_e32 v1, 31, v0
	s_waitcnt lgkmcnt(0)
	v_lshl_add_u64 v[0:1], v[0:1], 4, s[2:3]
	global_load_dwordx4 v[6:9], v[0:1], off
	global_load_dwordx4 v[26:29], v[0:1], off offset:16
	global_load_dwordx4 v[30:33], v[0:1], off offset:32
	global_load_dwordx4 v[34:37], v[0:1], off offset:48
	s_waitcnt vmcnt(3)
	v_fmac_f64_e32 v[22:23], v[2:3], v[6:7]
	v_fmac_f64_e32 v[24:25], v[4:5], v[6:7]
	s_waitcnt vmcnt(2)
	v_fmac_f64_e32 v[18:19], v[2:3], v[26:27]
	v_fmac_f64_e32 v[20:21], v[4:5], v[26:27]
	s_waitcnt vmcnt(1)
	v_fmac_f64_e32 v[14:15], v[2:3], v[30:31]
	v_fmac_f64_e32 v[16:17], v[4:5], v[30:31]
	s_waitcnt vmcnt(0)
	v_fmac_f64_e32 v[10:11], v[2:3], v[34:35]
	v_fmac_f64_e32 v[12:13], v[4:5], v[34:35]
	v_fma_f64 v[22:23], -v[4:5], v[8:9], v[22:23]
	v_fmac_f64_e32 v[24:25], v[2:3], v[8:9]
	v_fma_f64 v[18:19], -v[4:5], v[28:29], v[18:19]
	v_fmac_f64_e32 v[20:21], v[2:3], v[28:29]
	;; [unrolled: 2-line block ×4, first 2 shown]
	global_store_dwordx4 v[0:1], v[22:25], off
	global_store_dwordx4 v[0:1], v[18:21], off offset:16
	global_store_dwordx4 v[0:1], v[14:17], off offset:32
	;; [unrolled: 1-line block ×3, first 2 shown]
	s_endpgm
	.section	.rodata,"a",@progbits
	.p2align	6, 0x0
	.amdhsa_kernel _ZN9rocsparseL18bsrxmvn_4x4_kernelILj128ELj32E21rocsparse_complex_numIdEiidS2_S2_EEvT3_20rocsparse_direction_NS_24const_host_device_scalarIT1_EES3_PKS3_PKT2_SC_S9_PKT4_PKT5_S7_PT6_21rocsparse_index_base_b
		.amdhsa_group_segment_fixed_size 0
		.amdhsa_private_segment_fixed_size 0
		.amdhsa_kernarg_size 112
		.amdhsa_user_sgpr_count 2
		.amdhsa_user_sgpr_dispatch_ptr 0
		.amdhsa_user_sgpr_queue_ptr 0
		.amdhsa_user_sgpr_kernarg_segment_ptr 1
		.amdhsa_user_sgpr_dispatch_id 0
		.amdhsa_user_sgpr_kernarg_preload_length 0
		.amdhsa_user_sgpr_kernarg_preload_offset 0
		.amdhsa_user_sgpr_private_segment_size 0
		.amdhsa_uses_dynamic_stack 0
		.amdhsa_enable_private_segment 0
		.amdhsa_system_sgpr_workgroup_id_x 1
		.amdhsa_system_sgpr_workgroup_id_y 0
		.amdhsa_system_sgpr_workgroup_id_z 0
		.amdhsa_system_sgpr_workgroup_info 0
		.amdhsa_system_vgpr_workitem_id 0
		.amdhsa_next_free_vgpr 112
		.amdhsa_next_free_sgpr 27
		.amdhsa_accum_offset 112
		.amdhsa_reserve_vcc 1
		.amdhsa_float_round_mode_32 0
		.amdhsa_float_round_mode_16_64 0
		.amdhsa_float_denorm_mode_32 3
		.amdhsa_float_denorm_mode_16_64 3
		.amdhsa_dx10_clamp 1
		.amdhsa_ieee_mode 1
		.amdhsa_fp16_overflow 0
		.amdhsa_tg_split 0
		.amdhsa_exception_fp_ieee_invalid_op 0
		.amdhsa_exception_fp_denorm_src 0
		.amdhsa_exception_fp_ieee_div_zero 0
		.amdhsa_exception_fp_ieee_overflow 0
		.amdhsa_exception_fp_ieee_underflow 0
		.amdhsa_exception_fp_ieee_inexact 0
		.amdhsa_exception_int_div_zero 0
	.end_amdhsa_kernel
	.section	.text._ZN9rocsparseL18bsrxmvn_4x4_kernelILj128ELj32E21rocsparse_complex_numIdEiidS2_S2_EEvT3_20rocsparse_direction_NS_24const_host_device_scalarIT1_EES3_PKS3_PKT2_SC_S9_PKT4_PKT5_S7_PT6_21rocsparse_index_base_b,"axG",@progbits,_ZN9rocsparseL18bsrxmvn_4x4_kernelILj128ELj32E21rocsparse_complex_numIdEiidS2_S2_EEvT3_20rocsparse_direction_NS_24const_host_device_scalarIT1_EES3_PKS3_PKT2_SC_S9_PKT4_PKT5_S7_PT6_21rocsparse_index_base_b,comdat
.Lfunc_end138:
	.size	_ZN9rocsparseL18bsrxmvn_4x4_kernelILj128ELj32E21rocsparse_complex_numIdEiidS2_S2_EEvT3_20rocsparse_direction_NS_24const_host_device_scalarIT1_EES3_PKS3_PKT2_SC_S9_PKT4_PKT5_S7_PT6_21rocsparse_index_base_b, .Lfunc_end138-_ZN9rocsparseL18bsrxmvn_4x4_kernelILj128ELj32E21rocsparse_complex_numIdEiidS2_S2_EEvT3_20rocsparse_direction_NS_24const_host_device_scalarIT1_EES3_PKS3_PKT2_SC_S9_PKT4_PKT5_S7_PT6_21rocsparse_index_base_b
                                        ; -- End function
	.set _ZN9rocsparseL18bsrxmvn_4x4_kernelILj128ELj32E21rocsparse_complex_numIdEiidS2_S2_EEvT3_20rocsparse_direction_NS_24const_host_device_scalarIT1_EES3_PKS3_PKT2_SC_S9_PKT4_PKT5_S7_PT6_21rocsparse_index_base_b.num_vgpr, 112
	.set _ZN9rocsparseL18bsrxmvn_4x4_kernelILj128ELj32E21rocsparse_complex_numIdEiidS2_S2_EEvT3_20rocsparse_direction_NS_24const_host_device_scalarIT1_EES3_PKS3_PKT2_SC_S9_PKT4_PKT5_S7_PT6_21rocsparse_index_base_b.num_agpr, 0
	.set _ZN9rocsparseL18bsrxmvn_4x4_kernelILj128ELj32E21rocsparse_complex_numIdEiidS2_S2_EEvT3_20rocsparse_direction_NS_24const_host_device_scalarIT1_EES3_PKS3_PKT2_SC_S9_PKT4_PKT5_S7_PT6_21rocsparse_index_base_b.numbered_sgpr, 27
	.set _ZN9rocsparseL18bsrxmvn_4x4_kernelILj128ELj32E21rocsparse_complex_numIdEiidS2_S2_EEvT3_20rocsparse_direction_NS_24const_host_device_scalarIT1_EES3_PKS3_PKT2_SC_S9_PKT4_PKT5_S7_PT6_21rocsparse_index_base_b.num_named_barrier, 0
	.set _ZN9rocsparseL18bsrxmvn_4x4_kernelILj128ELj32E21rocsparse_complex_numIdEiidS2_S2_EEvT3_20rocsparse_direction_NS_24const_host_device_scalarIT1_EES3_PKS3_PKT2_SC_S9_PKT4_PKT5_S7_PT6_21rocsparse_index_base_b.private_seg_size, 0
	.set _ZN9rocsparseL18bsrxmvn_4x4_kernelILj128ELj32E21rocsparse_complex_numIdEiidS2_S2_EEvT3_20rocsparse_direction_NS_24const_host_device_scalarIT1_EES3_PKS3_PKT2_SC_S9_PKT4_PKT5_S7_PT6_21rocsparse_index_base_b.uses_vcc, 1
	.set _ZN9rocsparseL18bsrxmvn_4x4_kernelILj128ELj32E21rocsparse_complex_numIdEiidS2_S2_EEvT3_20rocsparse_direction_NS_24const_host_device_scalarIT1_EES3_PKS3_PKT2_SC_S9_PKT4_PKT5_S7_PT6_21rocsparse_index_base_b.uses_flat_scratch, 0
	.set _ZN9rocsparseL18bsrxmvn_4x4_kernelILj128ELj32E21rocsparse_complex_numIdEiidS2_S2_EEvT3_20rocsparse_direction_NS_24const_host_device_scalarIT1_EES3_PKS3_PKT2_SC_S9_PKT4_PKT5_S7_PT6_21rocsparse_index_base_b.has_dyn_sized_stack, 0
	.set _ZN9rocsparseL18bsrxmvn_4x4_kernelILj128ELj32E21rocsparse_complex_numIdEiidS2_S2_EEvT3_20rocsparse_direction_NS_24const_host_device_scalarIT1_EES3_PKS3_PKT2_SC_S9_PKT4_PKT5_S7_PT6_21rocsparse_index_base_b.has_recursion, 0
	.set _ZN9rocsparseL18bsrxmvn_4x4_kernelILj128ELj32E21rocsparse_complex_numIdEiidS2_S2_EEvT3_20rocsparse_direction_NS_24const_host_device_scalarIT1_EES3_PKS3_PKT2_SC_S9_PKT4_PKT5_S7_PT6_21rocsparse_index_base_b.has_indirect_call, 0
	.section	.AMDGPU.csdata,"",@progbits
; Kernel info:
; codeLenInByte = 7288
; TotalNumSgprs: 33
; NumVgprs: 112
; NumAgprs: 0
; TotalNumVgprs: 112
; ScratchSize: 0
; MemoryBound: 0
; FloatMode: 240
; IeeeMode: 1
; LDSByteSize: 0 bytes/workgroup (compile time only)
; SGPRBlocks: 4
; VGPRBlocks: 13
; NumSGPRsForWavesPerEU: 33
; NumVGPRsForWavesPerEU: 112
; AccumOffset: 112
; Occupancy: 4
; WaveLimiterHint : 1
; COMPUTE_PGM_RSRC2:SCRATCH_EN: 0
; COMPUTE_PGM_RSRC2:USER_SGPR: 2
; COMPUTE_PGM_RSRC2:TRAP_HANDLER: 0
; COMPUTE_PGM_RSRC2:TGID_X_EN: 1
; COMPUTE_PGM_RSRC2:TGID_Y_EN: 0
; COMPUTE_PGM_RSRC2:TGID_Z_EN: 0
; COMPUTE_PGM_RSRC2:TIDIG_COMP_CNT: 0
; COMPUTE_PGM_RSRC3_GFX90A:ACCUM_OFFSET: 27
; COMPUTE_PGM_RSRC3_GFX90A:TG_SPLIT: 0
	.section	.text._ZN9rocsparseL18bsrxmvn_4x4_kernelILj128ELj64E21rocsparse_complex_numIdEiidS2_S2_EEvT3_20rocsparse_direction_NS_24const_host_device_scalarIT1_EES3_PKS3_PKT2_SC_S9_PKT4_PKT5_S7_PT6_21rocsparse_index_base_b,"axG",@progbits,_ZN9rocsparseL18bsrxmvn_4x4_kernelILj128ELj64E21rocsparse_complex_numIdEiidS2_S2_EEvT3_20rocsparse_direction_NS_24const_host_device_scalarIT1_EES3_PKS3_PKT2_SC_S9_PKT4_PKT5_S7_PT6_21rocsparse_index_base_b,comdat
	.globl	_ZN9rocsparseL18bsrxmvn_4x4_kernelILj128ELj64E21rocsparse_complex_numIdEiidS2_S2_EEvT3_20rocsparse_direction_NS_24const_host_device_scalarIT1_EES3_PKS3_PKT2_SC_S9_PKT4_PKT5_S7_PT6_21rocsparse_index_base_b ; -- Begin function _ZN9rocsparseL18bsrxmvn_4x4_kernelILj128ELj64E21rocsparse_complex_numIdEiidS2_S2_EEvT3_20rocsparse_direction_NS_24const_host_device_scalarIT1_EES3_PKS3_PKT2_SC_S9_PKT4_PKT5_S7_PT6_21rocsparse_index_base_b
	.p2align	8
	.type	_ZN9rocsparseL18bsrxmvn_4x4_kernelILj128ELj64E21rocsparse_complex_numIdEiidS2_S2_EEvT3_20rocsparse_direction_NS_24const_host_device_scalarIT1_EES3_PKS3_PKT2_SC_S9_PKT4_PKT5_S7_PT6_21rocsparse_index_base_b,@function
_ZN9rocsparseL18bsrxmvn_4x4_kernelILj128ELj64E21rocsparse_complex_numIdEiidS2_S2_EEvT3_20rocsparse_direction_NS_24const_host_device_scalarIT1_EES3_PKS3_PKT2_SC_S9_PKT4_PKT5_S7_PT6_21rocsparse_index_base_b: ; @_ZN9rocsparseL18bsrxmvn_4x4_kernelILj128ELj64E21rocsparse_complex_numIdEiidS2_S2_EEvT3_20rocsparse_direction_NS_24const_host_device_scalarIT1_EES3_PKS3_PKT2_SC_S9_PKT4_PKT5_S7_PT6_21rocsparse_index_base_b
; %bb.0:
	s_load_dwordx2 s[4:5], s[0:1], 0x8
	s_load_dwordx2 s[12:13], s[0:1], 0x68
	s_add_u32 s3, s0, 8
	s_addc_u32 s8, s1, 0
	s_add_u32 s9, s0, 0x50
	s_load_dwordx2 s[6:7], s[0:1], 0x50
	s_addc_u32 s10, s1, 0
	s_waitcnt lgkmcnt(0)
	s_bitcmp1_b32 s13, 0
	s_cselect_b32 s5, s8, s5
	s_cselect_b32 s3, s3, s4
	v_mov_b32_e32 v2, s3
	v_mov_b32_e32 v3, s5
	flat_load_dwordx4 v[6:9], v[2:3]
	s_cselect_b32 s3, s10, s7
	s_cselect_b32 s4, s9, s6
	v_mov_b32_e32 v2, s4
	v_mov_b32_e32 v3, s3
	flat_load_dwordx4 v[2:5], v[2:3]
	s_waitcnt vmcnt(0) lgkmcnt(0)
	v_cmp_eq_f64_e32 vcc, 0, v[6:7]
	v_cmp_eq_f64_e64 s[4:5], 0, v[8:9]
	s_and_b64 s[8:9], vcc, s[4:5]
	s_mov_b64 s[4:5], -1
	s_and_saveexec_b64 s[6:7], s[8:9]
; %bb.1:
	v_cmp_neq_f64_e32 vcc, 1.0, v[2:3]
	v_cmp_neq_f64_e64 s[4:5], 0, v[4:5]
	s_or_b64 s[4:5], vcc, s[4:5]
	s_orn2_b64 s[4:5], s[4:5], exec
; %bb.2:
	s_or_b64 exec, exec, s[6:7]
	s_and_saveexec_b64 s[6:7], s[4:5]
	s_cbranch_execz .LBB139_8
; %bb.3:
	s_load_dwordx2 s[4:5], s[0:1], 0x20
	s_load_dwordx2 s[16:17], s[0:1], 0x0
	v_lshrrev_b32_e32 v1, 6, v0
	v_lshl_or_b32 v74, s2, 1, v1
	s_mov_b64 s[2:3], 0
	s_waitcnt lgkmcnt(0)
	s_cmp_lg_u64 s[4:5], 0
	s_cbranch_scc0 .LBB139_9
; %bb.4:
	s_load_dword s6, s[0:1], 0x18
                                        ; implicit-def: $vgpr1
	s_waitcnt lgkmcnt(0)
	v_cmp_gt_i32_e32 vcc, s6, v74
	s_and_saveexec_b64 s[6:7], vcc
	s_xor_b64 s[6:7], exec, s[6:7]
	s_cbranch_execz .LBB139_6
; %bb.5:
	v_ashrrev_i32_e32 v75, 31, v74
	v_lshl_add_u64 v[10:11], v[74:75], 2, s[4:5]
	global_load_dword v1, v[10:11], off
	s_mov_b64 s[2:3], exec
	s_waitcnt vmcnt(0)
	v_subrev_u32_e32 v1, s12, v1
.LBB139_6:
	s_or_b64 exec, exec, s[6:7]
	s_branch .LBB139_10
.LBB139_7:
	v_cmp_gt_i32_e32 vcc, s16, v74
	s_andn2_b64 s[2:3], s[2:3], exec
	s_and_b64 s[4:5], vcc, exec
	s_or_b64 s[2:3], s[2:3], s[4:5]
	s_and_b64 exec, exec, s[2:3]
	s_cbranch_execnz .LBB139_11
.LBB139_8:
	s_endpgm
.LBB139_9:
                                        ; implicit-def: $vgpr1
	s_cbranch_execnz .LBB139_7
.LBB139_10:
	v_mov_b32_e32 v74, v1
	s_and_b64 exec, exec, s[2:3]
	s_cbranch_execz .LBB139_8
.LBB139_11:
	s_load_dwordx8 s[4:11], s[0:1], 0x28
	v_ashrrev_i32_e32 v75, 31, v74
	v_lshlrev_b64 v[10:11], 2, v[74:75]
	s_load_dwordx2 s[14:15], s[0:1], 0x48
	v_and_b32_e32 v75, 63, v0
	s_waitcnt lgkmcnt(0)
	v_lshl_add_u64 v[12:13], s[4:5], 0, v[10:11]
	s_cmp_eq_u64 s[6:7], 0
	global_load_dword v99, v[12:13], off
	v_lshl_add_u64 v[12:13], v[12:13], 0, 4
	v_lshl_add_u64 v[10:11], s[6:7], 0, v[10:11]
	s_cselect_b64 vcc, -1, 0
	v_cndmask_b32_e32 v11, v11, v13, vcc
	v_cndmask_b32_e32 v10, v10, v12, vcc
	global_load_dword v1, v[10:11], off
	s_cmp_eq_u32 s17, 1
	s_waitcnt vmcnt(1)
	v_subrev_u32_e32 v0, s12, v99
	v_add_u32_e32 v88, v0, v75
	v_ashrrev_i32_e32 v89, 31, v88
	s_waitcnt vmcnt(0)
	v_subrev_u32_e32 v98, s12, v1
	v_lshlrev_b64 v[0:1], 7, v[88:89]
	v_lshl_add_u64 v[90:91], s[10:11], 0, v[0:1]
	v_cmp_lt_i32_e64 s[2:3], v88, v98
	s_cbranch_scc1 .LBB139_23
; %bb.12:
	v_mov_b64_e32 v[86:87], 0
	v_mov_b64_e32 v[92:93], 0
	;; [unrolled: 1-line block ×8, first 2 shown]
	s_and_saveexec_b64 s[10:11], s[2:3]
	s_cbranch_execz .LBB139_22
; %bb.13:
	v_add_u32_e32 v0, v99, v75
	v_subrev_u32_e32 v0, s12, v0
	v_add_u32_e32 v0, 64, v0
	v_max_i32_e32 v0, v0, v98
	v_not_b32_e32 v1, v99
	v_add3_u32 v0, s12, v0, v1
	v_sub_u32_e32 v10, v0, v75
	s_movk_i32 s4, 0xc0
	v_and_b32_e32 v0, 0xc0, v10
	v_cmp_ne_u32_e32 vcc, s4, v0
	v_mov_b64_e32 v[76:77], 0
	v_mov_b64_e32 v[0:1], 0
	;; [unrolled: 1-line block ×9, first 2 shown]
	v_mov_b32_e32 v94, v88
	s_and_saveexec_b64 s[4:5], vcc
	s_cbranch_execz .LBB139_17
; %bb.14:
	v_lshrrev_b32_e32 v0, 6, v10
	v_add_u32_e32 v0, 1, v0
	v_and_b32_e32 v0, 3, v0
	v_sub_u32_e32 v11, 0, v0
	v_mov_b64_e32 v[86:87], 0
	s_mov_b64 s[6:7], 0
	s_mov_b64 s[16:17], 0x2000
	v_mov_b32_e32 v94, v88
	v_mov_b64_e32 v[96:97], v[90:91]
	v_mov_b64_e32 v[92:93], 0
	;; [unrolled: 1-line block ×8, first 2 shown]
.LBB139_15:                             ; =>This Inner Loop Header: Depth=1
	v_ashrrev_i32_e32 v95, 31, v94
	v_lshl_add_u64 v[44:45], v[94:95], 2, s[8:9]
	global_load_dword v46, v[44:45], off
	global_load_dwordx4 v[12:15], v[96:97], off offset:48
	global_load_dwordx4 v[16:19], v[96:97], off offset:32
	;; [unrolled: 1-line block ×3, first 2 shown]
	global_load_dwordx4 v[24:27], v[96:97], off
	global_load_dwordx4 v[28:31], v[96:97], off offset:112
	global_load_dwordx4 v[32:35], v[96:97], off offset:96
	;; [unrolled: 1-line block ×4, first 2 shown]
	v_add_co_u32_e32 v11, vcc, 1, v11
	v_lshl_add_u64 v[96:97], v[96:97], 0, s[16:17]
	v_add_u32_e32 v94, 64, v94
	s_or_b64 s[6:7], vcc, s[6:7]
	s_waitcnt vmcnt(8)
	v_subrev_u32_e32 v44, s12, v46
	v_lshlrev_b32_e32 v44, 2, v44
	v_ashrrev_i32_e32 v45, 31, v44
	v_lshl_add_u64 v[60:61], v[44:45], 4, s[14:15]
	global_load_dwordx4 v[44:47], v[60:61], off
	global_load_dwordx4 v[48:51], v[60:61], off offset:16
	global_load_dwordx4 v[52:55], v[60:61], off offset:32
	;; [unrolled: 1-line block ×3, first 2 shown]
	s_waitcnt vmcnt(3)
	v_fmac_f64_e32 v[92:93], v[24:25], v[44:45]
	v_fmac_f64_e32 v[86:87], 0, v[44:45]
	v_fmac_f64_e32 v[84:85], v[16:17], v[44:45]
	v_fmac_f64_e32 v[82:83], 0, v[44:45]
	v_fmac_f64_e32 v[80:81], v[40:41], v[44:45]
	v_fmac_f64_e32 v[78:79], 0, v[44:45]
	v_fmac_f64_e32 v[76:77], v[32:33], v[44:45]
	v_fmac_f64_e32 v[0:1], 0, v[44:45]
	v_fmac_f64_e32 v[92:93], 0x80000000, v[46:47]
	v_fmac_f64_e32 v[86:87], v[24:25], v[46:47]
	v_fmac_f64_e32 v[84:85], 0x80000000, v[46:47]
	v_fmac_f64_e32 v[82:83], v[16:17], v[46:47]
	v_fmac_f64_e32 v[80:81], 0x80000000, v[46:47]
	v_fmac_f64_e32 v[78:79], v[40:41], v[46:47]
	v_fmac_f64_e32 v[76:77], 0x80000000, v[46:47]
	v_fmac_f64_e32 v[0:1], v[32:33], v[46:47]
	s_waitcnt vmcnt(2)
	v_fmac_f64_e32 v[92:93], v[26:27], v[48:49]
	v_fmac_f64_e32 v[86:87], 0, v[48:49]
	v_fmac_f64_e32 v[84:85], v[18:19], v[48:49]
	v_fmac_f64_e32 v[82:83], 0, v[48:49]
	v_fmac_f64_e32 v[80:81], v[42:43], v[48:49]
	v_fmac_f64_e32 v[78:79], 0, v[48:49]
	v_fmac_f64_e32 v[76:77], v[34:35], v[48:49]
	v_fmac_f64_e32 v[0:1], 0, v[48:49]
	v_fmac_f64_e32 v[86:87], v[26:27], v[50:51]
	v_fmac_f64_e32 v[82:83], v[18:19], v[50:51]
	v_fmac_f64_e32 v[92:93], 0x80000000, v[50:51]
	v_fmac_f64_e32 v[84:85], 0x80000000, v[50:51]
	v_fmac_f64_e32 v[80:81], 0x80000000, v[50:51]
	v_fmac_f64_e32 v[78:79], v[42:43], v[50:51]
	v_fmac_f64_e32 v[76:77], 0x80000000, v[50:51]
	v_fmac_f64_e32 v[0:1], v[34:35], v[50:51]
	;; [unrolled: 17-line block ×4, first 2 shown]
	s_andn2_b64 exec, exec, s[6:7]
	s_cbranch_execnz .LBB139_15
; %bb.16:
	s_or_b64 exec, exec, s[6:7]
.LBB139_17:
	s_or_b64 exec, exec, s[4:5]
	s_movk_i32 s4, 0xbf
	v_cmp_lt_u32_e32 vcc, s4, v10
	s_and_saveexec_b64 s[16:17], vcc
	s_cbranch_execz .LBB139_21
; %bb.18:
	s_mov_b64 s[18:19], 0
	s_mov_b64 s[20:21], 0x2000
	s_movk_i32 s13, 0x2000
	s_mov_b64 s[22:23], 0x4000
	s_movk_i32 s28, 0x4000
	;; [unrolled: 2-line block ×3, first 2 shown]
	s_mov_b64 s[26:27], 0x8000
.LBB139_19:                             ; =>This Inner Loop Header: Depth=1
	v_ashrrev_i32_e32 v95, 31, v94
	v_lshl_add_u64 v[10:11], v[96:97], 0, s[20:21]
	global_load_dwordx4 v[12:15], v[96:97], off offset:48
	global_load_dwordx4 v[20:23], v[96:97], off offset:32
	;; [unrolled: 1-line block ×3, first 2 shown]
	global_load_dwordx4 v[24:27], v[96:97], off
	global_load_dwordx4 v[28:31], v[96:97], off offset:112
	global_load_dwordx4 v[36:39], v[96:97], off offset:96
	;; [unrolled: 1-line block ×4, first 2 shown]
	v_lshl_add_u64 v[108:109], v[94:95], 2, s[8:9]
	global_load_dwordx4 v[50:53], v[10:11], off offset:48
	global_load_dwordx4 v[54:57], v[10:11], off offset:32
	;; [unrolled: 1-line block ×3, first 2 shown]
	global_load_dword v62, v[108:109], off
	v_lshl_add_u64 v[48:49], v[96:97], 0, s[22:23]
	global_load_dwordx4 v[66:69], v[10:11], off offset:112
	v_add_co_u32_e32 v44, vcc, s13, v96
	v_lshl_add_u64 v[104:105], v[96:97], 0, s[24:25]
	s_nop 0
	v_addc_co_u32_e32 v45, vcc, 0, v97, vcc
	v_add_co_u32_e64 v46, s[4:5], s28, v96
	v_add_co_u32_e64 v106, s[6:7], s29, v96
	s_nop 0
	v_addc_co_u32_e64 v47, vcc, 0, v97, s[4:5]
	v_addc_co_u32_e64 v107, vcc, 0, v97, s[6:7]
	v_add_u32_e32 v94, 0x100, v94
	v_cmp_ge_i32_e32 vcc, v94, v98
	v_lshl_add_u64 v[96:97], v[96:97], 0, s[26:27]
	s_or_b64 s[18:19], vcc, s[18:19]
	s_waitcnt vmcnt(1)
	v_subrev_u32_e32 v62, s12, v62
	v_lshlrev_b32_e32 v62, 2, v62
	v_ashrrev_i32_e32 v63, 31, v62
	v_lshl_add_u64 v[70:71], v[62:63], 4, s[14:15]
	global_load_dwordx4 v[62:65], v[70:71], off
	s_waitcnt vmcnt(0)
	v_fmac_f64_e32 v[92:93], v[24:25], v[62:63]
	v_fmac_f64_e32 v[86:87], 0, v[62:63]
	;; [unrolled: 1-line block ×16, first 2 shown]
	global_load_dwordx4 v[62:65], v[70:71], off offset:16
	s_waitcnt vmcnt(0)
	v_fmac_f64_e32 v[0:1], 0, v[62:63]
	v_fmac_f64_e32 v[76:77], v[38:39], v[62:63]
	;; [unrolled: 1-line block ×3, first 2 shown]
	global_load_dwordx4 v[36:39], v[70:71], off offset:32
	v_fmac_f64_e32 v[92:93], v[26:27], v[62:63]
	v_fmac_f64_e32 v[86:87], 0, v[62:63]
	;; [unrolled: 1-line block ×13, first 2 shown]
	global_load_dwordx4 v[20:23], v[10:11], off offset:96
	global_load_dwordx4 v[40:43], v[10:11], off offset:80
	;; [unrolled: 1-line block ×3, first 2 shown]
	s_waitcnt vmcnt(3)
	v_fmac_f64_e32 v[92:93], v[16:17], v[36:37]
	v_fmac_f64_e32 v[86:87], 0, v[36:37]
	v_fmac_f64_e32 v[84:85], v[12:13], v[36:37]
	v_fmac_f64_e32 v[82:83], 0, v[36:37]
	v_fmac_f64_e32 v[80:81], v[32:33], v[36:37]
	v_fmac_f64_e32 v[78:79], 0, v[36:37]
	v_fmac_f64_e32 v[76:77], v[28:29], v[36:37]
	v_fmac_f64_e32 v[0:1], 0, v[36:37]
	v_fmac_f64_e32 v[92:93], 0x80000000, v[38:39]
	v_fmac_f64_e32 v[86:87], v[16:17], v[38:39]
	v_fmac_f64_e32 v[84:85], 0x80000000, v[38:39]
	v_fmac_f64_e32 v[82:83], v[12:13], v[38:39]
	v_fmac_f64_e32 v[80:81], 0x80000000, v[38:39]
	v_fmac_f64_e32 v[78:79], v[32:33], v[38:39]
	v_fmac_f64_e32 v[76:77], 0x80000000, v[38:39]
	v_fmac_f64_e32 v[0:1], v[28:29], v[38:39]
	global_load_dwordx4 v[10:13], v[48:49], off offset:48
	global_load_dwordx4 v[36:39], v[70:71], off offset:48
	;; [unrolled: 1-line block ×4, first 2 shown]
	s_waitcnt vmcnt(2)
	v_fmac_f64_e32 v[86:87], 0, v[36:37]
	v_fmac_f64_e32 v[82:83], 0, v[36:37]
	v_fmac_f64_e32 v[0:1], 0, v[36:37]
	v_fmac_f64_e32 v[92:93], v[18:19], v[36:37]
	v_fmac_f64_e32 v[86:87], v[18:19], v[38:39]
	v_fmac_f64_e32 v[84:85], v[14:15], v[36:37]
	v_fmac_f64_e32 v[82:83], v[14:15], v[38:39]
	global_load_dwordx4 v[14:17], v[48:49], off offset:112
	v_fmac_f64_e32 v[76:77], v[30:31], v[36:37]
	v_fmac_f64_e32 v[0:1], v[30:31], v[38:39]
	global_load_dword v18, v[108:109], off offset:256
	global_load_dwordx4 v[28:31], v[44:45], off
	v_fmac_f64_e32 v[78:79], 0, v[36:37]
	v_fmac_f64_e32 v[80:81], v[34:35], v[36:37]
	;; [unrolled: 1-line block ×7, first 2 shown]
	global_load_dwordx4 v[70:73], v[48:49], off offset:96
	s_waitcnt vmcnt(2)
	v_subrev_u32_e32 v18, s12, v18
	v_lshlrev_b32_e32 v18, 2, v18
	v_ashrrev_i32_e32 v19, 31, v18
	v_lshl_add_u64 v[44:45], v[18:19], 4, s[14:15]
	global_load_dwordx4 v[32:35], v[44:45], off
	s_waitcnt vmcnt(0)
	v_fmac_f64_e32 v[0:1], 0, v[32:33]
	v_fmac_f64_e32 v[76:77], v[20:21], v[32:33]
	;; [unrolled: 1-line block ×3, first 2 shown]
	global_load_dwordx4 v[18:21], v[44:45], off offset:16
	v_fmac_f64_e32 v[92:93], v[28:29], v[32:33]
	v_fmac_f64_e32 v[86:87], 0, v[32:33]
	;; [unrolled: 1-line block ×13, first 2 shown]
	global_load_dwordx4 v[34:37], v[48:49], off offset:80
	s_waitcnt vmcnt(1)
	v_fmac_f64_e32 v[92:93], v[30:31], v[18:19]
	v_fmac_f64_e32 v[86:87], 0, v[18:19]
	;; [unrolled: 1-line block ×16, first 2 shown]
	global_load_dwordx4 v[18:21], v[44:45], off offset:32
	global_load_dwordx4 v[54:57], v[48:49], off offset:64
	;; [unrolled: 1-line block ×3, first 2 shown]
	s_waitcnt vmcnt(2)
	v_fmac_f64_e32 v[92:93], v[58:59], v[18:19]
	v_fmac_f64_e32 v[86:87], 0, v[18:19]
	;; [unrolled: 1-line block ×16, first 2 shown]
	global_load_dwordx4 v[18:21], v[104:105], off offset:16
	global_load_dwordx4 v[48:51], v[44:45], off offset:48
	;; [unrolled: 1-line block ×5, first 2 shown]
	s_waitcnt vmcnt(3)
	v_fmac_f64_e32 v[78:79], 0, v[48:49]
	v_fmac_f64_e32 v[92:93], v[60:61], v[48:49]
	;; [unrolled: 1-line block ×9, first 2 shown]
	global_load_dword v48, v[108:109], off offset:512
	global_load_dwordx4 v[42:45], v[46:47], off
	v_fmac_f64_e32 v[86:87], v[60:61], v[50:51]
	v_fmac_f64_e32 v[92:93], 0x80000000, v[50:51]
	;; [unrolled: 1-line block ×7, first 2 shown]
	s_waitcnt vmcnt(1)
	v_subrev_u32_e32 v46, s12, v48
	v_lshlrev_b32_e32 v46, 2, v46
	v_ashrrev_i32_e32 v47, 31, v46
	v_lshl_add_u64 v[66:67], v[46:47], 4, s[14:15]
	global_load_dwordx4 v[46:49], v[66:67], off
	global_load_dwordx4 v[58:61], v[66:67], off offset:16
	s_waitcnt vmcnt(1)
	v_fmac_f64_e32 v[86:87], 0, v[46:47]
	v_fmac_f64_e32 v[92:93], v[42:43], v[46:47]
	;; [unrolled: 1-line block ×10, first 2 shown]
	s_waitcnt vmcnt(0)
	v_fmac_f64_e32 v[86:87], 0, v[58:59]
	v_fmac_f64_e32 v[84:85], 0x80000000, v[48:49]
	;; [unrolled: 1-line block ×9, first 2 shown]
	global_load_dwordx4 v[42:45], v[104:105], off offset:48
	global_load_dwordx4 v[46:49], v[104:105], off offset:64
	global_load_dword v54, v[108:109], off offset:768
	global_load_dwordx4 v[50:53], v[106:107], off
	v_fmac_f64_e32 v[78:79], 0, v[58:59]
	v_fmac_f64_e32 v[80:81], v[56:57], v[58:59]
	;; [unrolled: 1-line block ×6, first 2 shown]
	global_load_dwordx4 v[70:73], v[66:67], off offset:48
	v_fmac_f64_e32 v[82:83], 0, v[58:59]
	v_fmac_f64_e32 v[84:85], v[64:65], v[58:59]
	;; [unrolled: 1-line block ×7, first 2 shown]
	s_waitcnt vmcnt(2)
	v_subrev_u32_e32 v54, s12, v54
	v_lshlrev_b32_e32 v54, 2, v54
	v_ashrrev_i32_e32 v55, 31, v54
	v_lshl_add_u64 v[104:105], v[54:55], 4, s[14:15]
	global_load_dwordx4 v[54:57], v[66:67], off offset:32
	global_load_dwordx4 v[62:65], v[104:105], off
	s_waitcnt vmcnt(1)
	v_fmac_f64_e32 v[92:93], v[100:101], v[54:55]
	global_load_dwordx4 v[66:69], v[104:105], off offset:16
	v_fmac_f64_e32 v[86:87], 0, v[54:55]
	v_fmac_f64_e32 v[84:85], v[10:11], v[54:55]
	;; [unrolled: 1-line block ×15, first 2 shown]
	global_load_dwordx4 v[58:61], v[104:105], off offset:32
	global_load_dwordx4 v[54:57], v[104:105], off offset:48
	v_fmac_f64_e32 v[92:93], v[102:103], v[70:71]
	v_fmac_f64_e32 v[86:87], 0, v[70:71]
	v_fmac_f64_e32 v[84:85], v[12:13], v[70:71]
	v_fmac_f64_e32 v[82:83], 0, v[70:71]
	v_fmac_f64_e32 v[80:81], v[36:37], v[70:71]
	v_fmac_f64_e32 v[78:79], 0, v[70:71]
	v_fmac_f64_e32 v[76:77], v[16:17], v[70:71]
	v_fmac_f64_e32 v[0:1], 0, v[70:71]
	v_fmac_f64_e32 v[86:87], v[102:103], v[72:73]
	v_fmac_f64_e32 v[92:93], 0x80000000, v[72:73]
	v_fmac_f64_e32 v[84:85], 0x80000000, v[72:73]
	v_fmac_f64_e32 v[82:83], v[12:13], v[72:73]
	v_fmac_f64_e32 v[80:81], 0x80000000, v[72:73]
	v_fmac_f64_e32 v[78:79], v[36:37], v[72:73]
	v_fmac_f64_e32 v[76:77], 0x80000000, v[72:73]
	v_fmac_f64_e32 v[0:1], v[16:17], v[72:73]
	s_waitcnt vmcnt(3)
	v_fmac_f64_e32 v[92:93], v[50:51], v[62:63]
	v_fmac_f64_e32 v[86:87], 0, v[62:63]
	v_fmac_f64_e32 v[84:85], v[26:27], v[62:63]
	v_fmac_f64_e32 v[82:83], 0, v[62:63]
	v_fmac_f64_e32 v[80:81], v[46:47], v[62:63]
	v_fmac_f64_e32 v[78:79], 0, v[62:63]
	v_fmac_f64_e32 v[76:77], v[38:39], v[62:63]
	v_fmac_f64_e32 v[0:1], 0, v[62:63]
	v_fmac_f64_e32 v[92:93], 0x80000000, v[64:65]
	v_fmac_f64_e32 v[86:87], v[50:51], v[64:65]
	v_fmac_f64_e32 v[84:85], 0x80000000, v[64:65]
	v_fmac_f64_e32 v[82:83], v[26:27], v[64:65]
	v_fmac_f64_e32 v[80:81], 0x80000000, v[64:65]
	v_fmac_f64_e32 v[78:79], v[46:47], v[64:65]
	v_fmac_f64_e32 v[76:77], 0x80000000, v[64:65]
	v_fmac_f64_e32 v[0:1], v[38:39], v[64:65]
	s_waitcnt vmcnt(2)
	;; [unrolled: 17-line block ×4, first 2 shown]
	v_fmac_f64_e32 v[92:93], v[20:21], v[54:55]
	v_fmac_f64_e32 v[86:87], 0, v[54:55]
	;; [unrolled: 1-line block ×16, first 2 shown]
	s_andn2_b64 exec, exec, s[18:19]
	s_cbranch_execnz .LBB139_19
; %bb.20:
	s_or_b64 exec, exec, s[18:19]
.LBB139_21:
	s_or_b64 exec, exec, s[16:17]
.LBB139_22:
	s_or_b64 exec, exec, s[10:11]
	s_cbranch_execz .LBB139_24
	s_branch .LBB139_35
.LBB139_23:
                                        ; implicit-def: $vgpr86_vgpr87
                                        ; implicit-def: $vgpr92_vgpr93
                                        ; implicit-def: $vgpr82_vgpr83
                                        ; implicit-def: $vgpr84_vgpr85
                                        ; implicit-def: $vgpr78_vgpr79
                                        ; implicit-def: $vgpr80_vgpr81
                                        ; implicit-def: $vgpr0_vgpr1
                                        ; implicit-def: $vgpr76_vgpr77
.LBB139_24:
	v_mov_b64_e32 v[86:87], 0
	v_mov_b64_e32 v[92:93], 0
	;; [unrolled: 1-line block ×8, first 2 shown]
	s_and_saveexec_b64 s[4:5], s[2:3]
	s_cbranch_execz .LBB139_34
; %bb.25:
	v_add_u32_e32 v0, v99, v75
	v_subrev_u32_e32 v0, s12, v0
	v_add_u32_e32 v0, 64, v0
	v_max_i32_e32 v0, v0, v98
	v_not_b32_e32 v1, v99
	v_add3_u32 v0, s12, v0, v1
	v_sub_u32_e32 v10, v0, v75
	s_movk_i32 s2, 0xc0
	v_and_b32_e32 v0, 0xc0, v10
	v_cmp_ne_u32_e32 vcc, s2, v0
	v_mov_b64_e32 v[76:77], 0
	v_mov_b64_e32 v[0:1], 0
	;; [unrolled: 1-line block ×8, first 2 shown]
	s_and_saveexec_b64 s[2:3], vcc
	s_cbranch_execz .LBB139_29
; %bb.26:
	v_lshrrev_b32_e32 v0, 6, v10
	v_add_u32_e32 v0, 1, v0
	v_and_b32_e32 v0, 3, v0
	v_sub_u32_e32 v11, 0, v0
	v_mov_b64_e32 v[86:87], 0
	s_mov_b64 s[6:7], 0
	s_mov_b64 s[10:11], 0x2000
	v_mov_b64_e32 v[92:93], 0
	v_mov_b64_e32 v[82:83], 0
	;; [unrolled: 1-line block ×7, first 2 shown]
.LBB139_27:                             ; =>This Inner Loop Header: Depth=1
	v_ashrrev_i32_e32 v89, 31, v88
	v_lshl_add_u64 v[40:41], v[88:89], 2, s[8:9]
	global_load_dword v42, v[40:41], off
	global_load_dwordx4 v[12:15], v[90:91], off offset:48
	global_load_dwordx4 v[16:19], v[90:91], off offset:32
	;; [unrolled: 1-line block ×3, first 2 shown]
	global_load_dwordx4 v[24:27], v[90:91], off
	global_load_dwordx4 v[28:31], v[90:91], off offset:96
	global_load_dwordx4 v[32:35], v[90:91], off offset:80
	;; [unrolled: 1-line block ×3, first 2 shown]
	v_add_co_u32_e32 v11, vcc, 1, v11
	v_add_u32_e32 v88, 64, v88
	s_or_b64 s[6:7], vcc, s[6:7]
	s_waitcnt vmcnt(7)
	v_subrev_u32_e32 v40, s12, v42
	v_lshlrev_b32_e32 v40, 2, v40
	v_ashrrev_i32_e32 v41, 31, v40
	v_lshl_add_u64 v[60:61], v[40:41], 4, s[14:15]
	global_load_dwordx4 v[40:43], v[60:61], off
	global_load_dwordx4 v[44:47], v[60:61], off offset:16
	global_load_dwordx4 v[48:51], v[60:61], off offset:32
	;; [unrolled: 1-line block ×4, first 2 shown]
	v_lshl_add_u64 v[90:91], v[90:91], 0, s[10:11]
	s_waitcnt vmcnt(4)
	v_fmac_f64_e32 v[92:93], v[24:25], v[40:41]
	v_fmac_f64_e32 v[86:87], 0, v[40:41]
	v_fmac_f64_e32 v[84:85], v[26:27], v[40:41]
	v_fmac_f64_e32 v[82:83], 0, v[40:41]
	v_fmac_f64_e32 v[80:81], v[20:21], v[40:41]
	v_fmac_f64_e32 v[78:79], 0, v[40:41]
	v_fmac_f64_e32 v[76:77], v[22:23], v[40:41]
	v_fmac_f64_e32 v[0:1], 0, v[40:41]
	v_fmac_f64_e32 v[92:93], 0x80000000, v[42:43]
	v_fmac_f64_e32 v[86:87], v[24:25], v[42:43]
	v_fmac_f64_e32 v[84:85], 0x80000000, v[42:43]
	v_fmac_f64_e32 v[82:83], v[26:27], v[42:43]
	v_fmac_f64_e32 v[80:81], 0x80000000, v[42:43]
	v_fmac_f64_e32 v[78:79], v[20:21], v[42:43]
	v_fmac_f64_e32 v[76:77], 0x80000000, v[42:43]
	v_fmac_f64_e32 v[0:1], v[22:23], v[42:43]
	s_waitcnt vmcnt(3)
	v_fmac_f64_e32 v[92:93], v[16:17], v[44:45]
	v_fmac_f64_e32 v[86:87], 0, v[44:45]
	v_fmac_f64_e32 v[84:85], v[18:19], v[44:45]
	v_fmac_f64_e32 v[82:83], 0, v[44:45]
	v_fmac_f64_e32 v[80:81], v[12:13], v[44:45]
	v_fmac_f64_e32 v[78:79], 0, v[44:45]
	v_fmac_f64_e32 v[76:77], v[14:15], v[44:45]
	v_fmac_f64_e32 v[0:1], 0, v[44:45]
	v_fmac_f64_e32 v[92:93], 0x80000000, v[46:47]
	v_fmac_f64_e32 v[86:87], v[16:17], v[46:47]
	v_fmac_f64_e32 v[84:85], 0x80000000, v[46:47]
	v_fmac_f64_e32 v[82:83], v[18:19], v[46:47]
	v_fmac_f64_e32 v[80:81], 0x80000000, v[46:47]
	v_fmac_f64_e32 v[78:79], v[12:13], v[46:47]
	v_fmac_f64_e32 v[76:77], 0x80000000, v[46:47]
	v_fmac_f64_e32 v[0:1], v[14:15], v[46:47]
	;; [unrolled: 17-line block ×3, first 2 shown]
	s_waitcnt vmcnt(1)
	v_fmac_f64_e32 v[92:93], v[28:29], v[52:53]
	v_fmac_f64_e32 v[86:87], 0, v[52:53]
	v_fmac_f64_e32 v[84:85], v[30:31], v[52:53]
	v_fmac_f64_e32 v[82:83], 0, v[52:53]
	s_waitcnt vmcnt(0)
	v_fmac_f64_e32 v[80:81], v[56:57], v[52:53]
	v_fmac_f64_e32 v[78:79], 0, v[52:53]
	;; [unrolled: 1-line block ×12, first 2 shown]
	s_andn2_b64 exec, exec, s[6:7]
	s_cbranch_execnz .LBB139_27
; %bb.28:
	s_or_b64 exec, exec, s[6:7]
.LBB139_29:
	s_or_b64 exec, exec, s[2:3]
	s_movk_i32 s2, 0xbf
	v_cmp_lt_u32_e32 vcc, s2, v10
	s_and_saveexec_b64 s[2:3], vcc
	s_cbranch_execz .LBB139_33
; %bb.30:
	s_mov_b64 s[6:7], 0
	s_mov_b64 s[10:11], 0x2000
	s_movk_i32 s13, 0x2000
	s_mov_b64 s[16:17], 0x4000
	s_movk_i32 s22, 0x4000
	;; [unrolled: 2-line block ×3, first 2 shown]
	s_mov_b64 s[20:21], 0x8000
.LBB139_31:                             ; =>This Inner Loop Header: Depth=1
	v_add_co_u32_e32 v44, vcc, s13, v90
	v_ashrrev_i32_e32 v89, 31, v88
	s_nop 0
	v_addc_co_u32_e32 v45, vcc, 0, v91, vcc
	global_load_dwordx4 v[10:13], v[90:91], off offset:48
	global_load_dwordx4 v[14:17], v[90:91], off offset:32
	;; [unrolled: 1-line block ×3, first 2 shown]
	global_load_dwordx4 v[22:25], v[90:91], off
	global_load_dwordx4 v[26:29], v[90:91], off offset:112
	global_load_dwordx4 v[30:33], v[90:91], off offset:96
	;; [unrolled: 1-line block ×4, first 2 shown]
	v_lshl_add_u64 v[54:55], v[88:89], 2, s[8:9]
	global_load_dwordx4 v[50:53], v[44:45], off
	global_load_dword v56, v[54:55], off
	global_load_dword v64, v[54:55], off offset:256
	global_load_dword v89, v[54:55], off offset:512
	global_load_dword v99, v[54:55], off offset:768
	v_lshl_add_u64 v[42:43], v[90:91], 0, s[10:11]
	global_load_dwordx4 v[58:61], v[42:43], off offset:112
	v_add_co_u32_e32 v48, vcc, s22, v90
	v_lshl_add_u64 v[46:47], v[90:91], 0, s[16:17]
	s_nop 0
	v_addc_co_u32_e32 v49, vcc, 0, v91, vcc
	v_add_co_u32_e32 v72, vcc, s23, v90
	v_lshl_add_u64 v[62:63], v[90:91], 0, s[18:19]
	s_nop 0
	v_addc_co_u32_e32 v73, vcc, 0, v91, vcc
	v_add_u32_e32 v88, 0x100, v88
	v_cmp_ge_i32_e32 vcc, v88, v98
	v_lshl_add_u64 v[90:91], v[90:91], 0, s[20:21]
	s_or_b64 s[6:7], vcc, s[6:7]
	s_waitcnt vmcnt(4)
	v_subrev_u32_e32 v44, s12, v56
	v_lshlrev_b32_e32 v44, 2, v44
	v_ashrrev_i32_e32 v45, 31, v44
	v_lshl_add_u64 v[44:45], v[44:45], 4, s[14:15]
	global_load_dwordx4 v[54:57], v[44:45], off
	s_waitcnt vmcnt(0)
	v_fmac_f64_e32 v[92:93], v[22:23], v[54:55]
	v_fmac_f64_e32 v[86:87], 0, v[54:55]
	;; [unrolled: 1-line block ×16, first 2 shown]
	global_load_dwordx4 v[54:57], v[44:45], off offset:16
	global_load_dwordx4 v[22:25], v[42:43], off offset:48
	;; [unrolled: 1-line block ×3, first 2 shown]
	s_waitcnt vmcnt(2)
	v_fmac_f64_e32 v[78:79], 0, v[54:55]
	v_fmac_f64_e32 v[0:1], 0, v[54:55]
	;; [unrolled: 1-line block ×6, first 2 shown]
	global_load_dwordx4 v[10:13], v[44:45], off offset:32
	v_fmac_f64_e32 v[92:93], v[14:15], v[54:55]
	v_fmac_f64_e32 v[86:87], 0, v[54:55]
	;; [unrolled: 1-line block ×10, first 2 shown]
	global_load_dwordx4 v[14:17], v[42:43], off offset:16
	s_waitcnt vmcnt(1)
	v_fmac_f64_e32 v[92:93], v[38:39], v[10:11]
	v_fmac_f64_e32 v[86:87], 0, v[10:11]
	;; [unrolled: 1-line block ×10, first 2 shown]
	global_load_dwordx4 v[38:41], v[42:43], off offset:96
	v_fmac_f64_e32 v[78:79], v[34:35], v[12:13]
	v_fmac_f64_e32 v[0:1], v[36:37], v[12:13]
	global_load_dwordx4 v[34:37], v[42:43], off offset:80
	v_fmac_f64_e32 v[92:93], 0x80000000, v[12:13]
	v_fmac_f64_e32 v[84:85], 0x80000000, v[12:13]
	;; [unrolled: 1-line block ×4, first 2 shown]
	global_load_dwordx4 v[10:13], v[42:43], off offset:64
	global_load_dwordx4 v[54:57], v[44:45], off offset:48
	global_load_dwordx4 v[68:71], v[46:47], off offset:96
	s_waitcnt vmcnt(1)
	v_fmac_f64_e32 v[78:79], 0, v[54:55]
	v_fmac_f64_e32 v[80:81], v[26:27], v[54:55]
	;; [unrolled: 1-line block ×3, first 2 shown]
	v_subrev_u32_e32 v26, s12, v64
	v_lshlrev_b32_e32 v26, 2, v26
	v_ashrrev_i32_e32 v27, 31, v26
	v_fmac_f64_e32 v[0:1], 0, v[54:55]
	v_lshl_add_u64 v[100:101], v[26:27], 4, s[14:15]
	v_fmac_f64_e32 v[76:77], v[28:29], v[54:55]
	v_fmac_f64_e32 v[0:1], v[28:29], v[56:57]
	global_load_dwordx4 v[26:29], v[100:101], off
	v_fmac_f64_e32 v[92:93], v[30:31], v[54:55]
	v_fmac_f64_e32 v[86:87], 0, v[54:55]
	;; [unrolled: 1-line block ×10, first 2 shown]
	global_load_dwordx4 v[30:33], v[48:49], off
	global_load_dwordx4 v[42:45], v[46:47], off offset:48
	global_load_dwordx4 v[64:67], v[46:47], off offset:112
	s_waitcnt vmcnt(3)
	v_fmac_f64_e32 v[92:93], v[50:51], v[26:27]
	v_fmac_f64_e32 v[86:87], 0, v[26:27]
	;; [unrolled: 1-line block ×16, first 2 shown]
	global_load_dwordx4 v[26:29], v[100:101], off offset:16
	global_load_dwordx4 v[48:51], v[46:47], off offset:32
	;; [unrolled: 1-line block ×4, first 2 shown]
	s_waitcnt vmcnt(3)
	v_fmac_f64_e32 v[82:83], 0, v[26:27]
	v_fmac_f64_e32 v[78:79], 0, v[26:27]
	;; [unrolled: 1-line block ×6, first 2 shown]
	global_load_dwordx4 v[20:23], v[100:101], off offset:32
	v_fmac_f64_e32 v[92:93], v[18:19], v[26:27]
	v_fmac_f64_e32 v[86:87], 0, v[26:27]
	;; [unrolled: 1-line block ×10, first 2 shown]
	v_subrev_u32_e32 v28, s12, v89
	v_lshlrev_b32_e32 v28, 2, v28
	v_ashrrev_i32_e32 v29, 31, v28
	s_waitcnt vmcnt(0)
	v_fmac_f64_e32 v[92:93], v[10:11], v[20:21]
	v_fmac_f64_e32 v[86:87], 0, v[20:21]
	v_fmac_f64_e32 v[84:85], v[12:13], v[20:21]
	v_fmac_f64_e32 v[82:83], 0, v[20:21]
	v_fmac_f64_e32 v[80:81], v[34:35], v[20:21]
	v_fmac_f64_e32 v[78:79], 0, v[20:21]
	v_fmac_f64_e32 v[76:77], v[36:37], v[20:21]
	v_fmac_f64_e32 v[0:1], 0, v[20:21]
	global_load_dwordx4 v[94:97], v[46:47], off offset:64
	global_load_dwordx4 v[18:21], v[72:73], off
	global_load_dwordx4 v[24:27], v[100:101], off offset:48
	v_fmac_f64_e32 v[86:87], v[10:11], v[22:23]
	v_fmac_f64_e32 v[82:83], v[12:13], v[22:23]
	;; [unrolled: 1-line block ×8, first 2 shown]
	v_lshl_add_u64 v[46:47], v[28:29], 4, s[14:15]
	global_load_dwordx4 v[34:37], v[62:63], off offset:16
	global_load_dwordx4 v[10:13], v[62:63], off offset:48
	s_waitcnt vmcnt(2)
	v_fmac_f64_e32 v[92:93], v[38:39], v[24:25]
	v_fmac_f64_e32 v[86:87], 0, v[24:25]
	v_fmac_f64_e32 v[84:85], v[40:41], v[24:25]
	v_fmac_f64_e32 v[82:83], 0, v[24:25]
	v_fmac_f64_e32 v[80:81], v[58:59], v[24:25]
	v_fmac_f64_e32 v[78:79], 0, v[24:25]
	v_fmac_f64_e32 v[76:77], v[60:61], v[24:25]
	v_fmac_f64_e32 v[0:1], 0, v[24:25]
	v_fmac_f64_e32 v[86:87], v[38:39], v[26:27]
	v_fmac_f64_e32 v[82:83], v[40:41], v[26:27]
	v_fmac_f64_e32 v[78:79], v[58:59], v[26:27]
	v_fmac_f64_e32 v[0:1], v[60:61], v[26:27]
	v_fmac_f64_e32 v[92:93], 0x80000000, v[26:27]
	v_fmac_f64_e32 v[84:85], 0x80000000, v[26:27]
	v_fmac_f64_e32 v[80:81], 0x80000000, v[26:27]
	v_fmac_f64_e32 v[76:77], 0x80000000, v[26:27]
	global_load_dwordx4 v[26:29], v[46:47], off
	global_load_dwordx4 v[38:41], v[46:47], off offset:16
	global_load_dwordx4 v[58:61], v[46:47], off offset:48
	;; [unrolled: 1-line block ×3, first 2 shown]
	s_waitcnt vmcnt(3)
	v_fmac_f64_e32 v[92:93], v[30:31], v[26:27]
	v_fmac_f64_e32 v[86:87], 0, v[26:27]
	;; [unrolled: 1-line block ×16, first 2 shown]
	s_waitcnt vmcnt(2)
	v_fmac_f64_e32 v[92:93], v[48:49], v[38:39]
	v_fmac_f64_e32 v[86:87], 0, v[38:39]
	;; [unrolled: 1-line block ×8, first 2 shown]
	v_subrev_u32_e32 v38, s12, v99
	v_lshlrev_b32_e32 v38, 2, v38
	v_ashrrev_i32_e32 v39, 31, v38
	v_fmac_f64_e32 v[86:87], v[48:49], v[40:41]
	v_fmac_f64_e32 v[82:83], v[50:51], v[40:41]
	;; [unrolled: 1-line block ×4, first 2 shown]
	v_lshl_add_u64 v[42:43], v[38:39], 4, s[14:15]
	v_fmac_f64_e32 v[92:93], 0x80000000, v[40:41]
	v_fmac_f64_e32 v[84:85], 0x80000000, v[40:41]
	;; [unrolled: 1-line block ×4, first 2 shown]
	global_load_dwordx4 v[38:41], v[46:47], off offset:32
	global_load_dwordx4 v[14:17], v[62:63], off offset:96
	;; [unrolled: 1-line block ×4, first 2 shown]
	s_waitcnt vmcnt(3)
	v_fmac_f64_e32 v[0:1], 0, v[38:39]
	v_fmac_f64_e32 v[76:77], v[54:55], v[38:39]
	;; [unrolled: 1-line block ×3, first 2 shown]
	global_load_dwordx4 v[54:57], v[42:43], off
	v_fmac_f64_e32 v[78:79], 0, v[38:39]
	v_fmac_f64_e32 v[80:81], v[52:53], v[38:39]
	;; [unrolled: 1-line block ×3, first 2 shown]
	global_load_dwordx4 v[50:53], v[42:43], off offset:16
	v_fmac_f64_e32 v[92:93], v[94:95], v[38:39]
	v_fmac_f64_e32 v[86:87], 0, v[38:39]
	;; [unrolled: 1-line block ×10, first 2 shown]
	global_load_dwordx4 v[46:49], v[42:43], off offset:32
	global_load_dwordx4 v[38:41], v[42:43], off offset:48
	v_fmac_f64_e32 v[92:93], v[68:69], v[58:59]
	global_load_dwordx4 v[42:45], v[62:63], off offset:112
	v_fmac_f64_e32 v[86:87], 0, v[58:59]
	v_fmac_f64_e32 v[84:85], v[70:71], v[58:59]
	v_fmac_f64_e32 v[82:83], 0, v[58:59]
	v_fmac_f64_e32 v[80:81], v[64:65], v[58:59]
	v_fmac_f64_e32 v[78:79], 0, v[58:59]
	v_fmac_f64_e32 v[76:77], v[66:67], v[58:59]
	v_fmac_f64_e32 v[0:1], 0, v[58:59]
	v_fmac_f64_e32 v[86:87], v[68:69], v[60:61]
	v_fmac_f64_e32 v[82:83], v[70:71], v[60:61]
	v_fmac_f64_e32 v[78:79], v[64:65], v[60:61]
	v_fmac_f64_e32 v[0:1], v[66:67], v[60:61]
	v_fmac_f64_e32 v[92:93], 0x80000000, v[60:61]
	v_fmac_f64_e32 v[84:85], 0x80000000, v[60:61]
	v_fmac_f64_e32 v[80:81], 0x80000000, v[60:61]
	v_fmac_f64_e32 v[76:77], 0x80000000, v[60:61]
	s_waitcnt vmcnt(4)
	v_fmac_f64_e32 v[92:93], v[18:19], v[54:55]
	v_fmac_f64_e32 v[86:87], 0, v[54:55]
	v_fmac_f64_e32 v[84:85], v[20:21], v[54:55]
	v_fmac_f64_e32 v[82:83], 0, v[54:55]
	v_fmac_f64_e32 v[80:81], v[34:35], v[54:55]
	v_fmac_f64_e32 v[78:79], 0, v[54:55]
	v_fmac_f64_e32 v[76:77], v[36:37], v[54:55]
	v_fmac_f64_e32 v[0:1], 0, v[54:55]
	v_fmac_f64_e32 v[92:93], 0x80000000, v[56:57]
	v_fmac_f64_e32 v[86:87], v[18:19], v[56:57]
	v_fmac_f64_e32 v[84:85], 0x80000000, v[56:57]
	v_fmac_f64_e32 v[82:83], v[20:21], v[56:57]
	v_fmac_f64_e32 v[80:81], 0x80000000, v[56:57]
	v_fmac_f64_e32 v[78:79], v[34:35], v[56:57]
	v_fmac_f64_e32 v[76:77], 0x80000000, v[56:57]
	v_fmac_f64_e32 v[0:1], v[36:37], v[56:57]
	s_waitcnt vmcnt(3)
	v_fmac_f64_e32 v[92:93], v[22:23], v[50:51]
	;; [unrolled: 17-line block ×4, first 2 shown]
	v_fmac_f64_e32 v[86:87], 0, v[38:39]
	v_fmac_f64_e32 v[84:85], v[16:17], v[38:39]
	;; [unrolled: 1-line block ×3, first 2 shown]
	s_waitcnt vmcnt(0)
	v_fmac_f64_e32 v[80:81], v[42:43], v[38:39]
	v_fmac_f64_e32 v[78:79], 0, v[38:39]
	v_fmac_f64_e32 v[76:77], v[44:45], v[38:39]
	v_fmac_f64_e32 v[0:1], 0, v[38:39]
	v_fmac_f64_e32 v[92:93], 0x80000000, v[40:41]
	v_fmac_f64_e32 v[86:87], v[14:15], v[40:41]
	v_fmac_f64_e32 v[84:85], 0x80000000, v[40:41]
	v_fmac_f64_e32 v[82:83], v[16:17], v[40:41]
	v_fmac_f64_e32 v[80:81], 0x80000000, v[40:41]
	v_fmac_f64_e32 v[78:79], v[42:43], v[40:41]
	v_fmac_f64_e32 v[76:77], 0x80000000, v[40:41]
	v_fmac_f64_e32 v[0:1], v[44:45], v[40:41]
	s_andn2_b64 exec, exec, s[6:7]
	s_cbranch_execnz .LBB139_31
; %bb.32:
	s_or_b64 exec, exec, s[6:7]
.LBB139_33:
	s_or_b64 exec, exec, s[2:3]
.LBB139_34:
	s_or_b64 exec, exec, s[4:5]
.LBB139_35:
	v_mov_b32_dpp v10, v92 row_shr:1 row_mask:0xf bank_mask:0xf
	v_mov_b32_dpp v11, v93 row_shr:1 row_mask:0xf bank_mask:0xf
	v_mov_b32_dpp v14, v86 row_shr:1 row_mask:0xf bank_mask:0xf
	v_mov_b32_dpp v15, v87 row_shr:1 row_mask:0xf bank_mask:0xf
	v_mov_b32_dpp v18, v84 row_shr:1 row_mask:0xf bank_mask:0xf
	v_mov_b32_dpp v19, v85 row_shr:1 row_mask:0xf bank_mask:0xf
	v_mov_b32_dpp v22, v82 row_shr:1 row_mask:0xf bank_mask:0xf
	v_mov_b32_dpp v23, v83 row_shr:1 row_mask:0xf bank_mask:0xf
	v_mov_b32_dpp v26, v80 row_shr:1 row_mask:0xf bank_mask:0xf
	v_mov_b32_dpp v27, v81 row_shr:1 row_mask:0xf bank_mask:0xf
	v_mov_b32_dpp v30, v78 row_shr:1 row_mask:0xf bank_mask:0xf
	v_mov_b32_dpp v31, v79 row_shr:1 row_mask:0xf bank_mask:0xf
	v_mov_b32_dpp v34, v76 row_shr:1 row_mask:0xf bank_mask:0xf
	v_mov_b32_dpp v35, v77 row_shr:1 row_mask:0xf bank_mask:0xf
	v_mov_b32_dpp v38, v0 row_shr:1 row_mask:0xf bank_mask:0xf
	v_mov_b32_dpp v39, v1 row_shr:1 row_mask:0xf bank_mask:0xf
	v_add_f64 v[10:11], v[92:93], v[10:11]
	v_add_f64 v[14:15], v[86:87], v[14:15]
	v_add_f64 v[18:19], v[84:85], v[18:19]
	v_add_f64 v[22:23], v[82:83], v[22:23]
	v_add_f64 v[26:27], v[80:81], v[26:27]
	v_add_f64 v[30:31], v[78:79], v[30:31]
	v_add_f64 v[34:35], v[76:77], v[34:35]
	v_add_f64 v[0:1], v[0:1], v[38:39]
	v_mov_b32_dpp v12, v10 row_shr:2 row_mask:0xf bank_mask:0xf
	v_mov_b32_dpp v13, v11 row_shr:2 row_mask:0xf bank_mask:0xf
	v_mov_b32_dpp v16, v14 row_shr:2 row_mask:0xf bank_mask:0xf
	v_mov_b32_dpp v17, v15 row_shr:2 row_mask:0xf bank_mask:0xf
	v_mov_b32_dpp v20, v18 row_shr:2 row_mask:0xf bank_mask:0xf
	v_mov_b32_dpp v21, v19 row_shr:2 row_mask:0xf bank_mask:0xf
	v_mov_b32_dpp v24, v22 row_shr:2 row_mask:0xf bank_mask:0xf
	v_mov_b32_dpp v25, v23 row_shr:2 row_mask:0xf bank_mask:0xf
	v_mov_b32_dpp v28, v26 row_shr:2 row_mask:0xf bank_mask:0xf
	v_mov_b32_dpp v29, v27 row_shr:2 row_mask:0xf bank_mask:0xf
	v_mov_b32_dpp v32, v30 row_shr:2 row_mask:0xf bank_mask:0xf
	v_mov_b32_dpp v33, v31 row_shr:2 row_mask:0xf bank_mask:0xf
	v_mov_b32_dpp v36, v34 row_shr:2 row_mask:0xf bank_mask:0xf
	v_mov_b32_dpp v37, v35 row_shr:2 row_mask:0xf bank_mask:0xf
	v_mov_b32_dpp v38, v0 row_shr:2 row_mask:0xf bank_mask:0xf
	v_mov_b32_dpp v39, v1 row_shr:2 row_mask:0xf bank_mask:0xf
	v_add_f64 v[10:11], v[10:11], v[12:13]
	v_add_f64 v[14:15], v[14:15], v[16:17]
	v_add_f64 v[18:19], v[18:19], v[20:21]
	v_add_f64 v[22:23], v[22:23], v[24:25]
	v_add_f64 v[26:27], v[26:27], v[28:29]
	v_add_f64 v[30:31], v[30:31], v[32:33]
	v_add_f64 v[34:35], v[34:35], v[36:37]
	v_add_f64 v[0:1], v[0:1], v[38:39]
	;; [unrolled: 24-line block ×4, first 2 shown]
	v_mov_b32_dpp v12, v10 row_bcast:15 row_mask:0xa bank_mask:0xf
	v_mov_b32_dpp v13, v11 row_bcast:15 row_mask:0xa bank_mask:0xf
	;; [unrolled: 1-line block ×16, first 2 shown]
	v_add_f64 v[10:11], v[10:11], v[12:13]
	v_add_f64 v[14:15], v[14:15], v[16:17]
	;; [unrolled: 1-line block ×8, first 2 shown]
	v_mov_b32_dpp v12, v10 row_bcast:31 row_mask:0xc bank_mask:0xf
	v_mov_b32_dpp v13, v11 row_bcast:31 row_mask:0xc bank_mask:0xf
	;; [unrolled: 1-line block ×16, first 2 shown]
	v_cmp_eq_u32_e32 vcc, 63, v75
	s_and_b64 exec, exec, vcc
	s_cbranch_execz .LBB139_8
; %bb.36:
	s_load_dwordx2 s[2:3], s[0:1], 0x60
	v_add_f64 v[40:41], v[10:11], v[12:13]
	v_add_f64 v[10:11], v[14:15], v[16:17]
	;; [unrolled: 1-line block ×8, first 2 shown]
	v_cmp_eq_f64_e32 vcc, 0, v[2:3]
	v_cmp_eq_f64_e64 s[0:1], 0, v[4:5]
	v_mul_f64 v[22:23], v[10:11], -v[8:9]
	v_mul_f64 v[24:25], v[6:7], v[10:11]
	v_mul_f64 v[18:19], v[12:13], -v[8:9]
	v_mul_f64 v[20:21], v[6:7], v[12:13]
	;; [unrolled: 2-line block ×4, first 2 shown]
	s_and_b64 s[0:1], vcc, s[0:1]
	v_fmac_f64_e32 v[22:23], v[6:7], v[40:41]
	v_fmac_f64_e32 v[24:25], v[8:9], v[40:41]
	v_lshlrev_b32_e32 v0, 2, v74
	v_fmac_f64_e32 v[18:19], v[6:7], v[42:43]
	v_fmac_f64_e32 v[20:21], v[8:9], v[42:43]
	;; [unrolled: 1-line block ×6, first 2 shown]
	s_and_saveexec_b64 s[4:5], s[0:1]
	s_xor_b64 s[0:1], exec, s[4:5]
	s_cbranch_execz .LBB139_38
; %bb.37:
	v_ashrrev_i32_e32 v1, 31, v0
	s_waitcnt lgkmcnt(0)
	v_lshl_add_u64 v[0:1], v[0:1], 4, s[2:3]
	global_store_dwordx4 v[0:1], v[22:25], off
	global_store_dwordx4 v[0:1], v[18:21], off offset:16
	global_store_dwordx4 v[0:1], v[14:17], off offset:32
	;; [unrolled: 1-line block ×3, first 2 shown]
                                        ; implicit-def: $vgpr4_vgpr5
                                        ; implicit-def: $vgpr22_vgpr23
                                        ; implicit-def: $vgpr0
                                        ; implicit-def: $vgpr18_vgpr19
                                        ; implicit-def: $vgpr14_vgpr15
                                        ; implicit-def: $vgpr10_vgpr11
.LBB139_38:
	s_andn2_saveexec_b64 s[0:1], s[0:1]
	s_cbranch_execz .LBB139_8
; %bb.39:
	v_ashrrev_i32_e32 v1, 31, v0
	s_waitcnt lgkmcnt(0)
	v_lshl_add_u64 v[0:1], v[0:1], 4, s[2:3]
	global_load_dwordx4 v[6:9], v[0:1], off
	global_load_dwordx4 v[26:29], v[0:1], off offset:16
	global_load_dwordx4 v[30:33], v[0:1], off offset:32
	;; [unrolled: 1-line block ×3, first 2 shown]
	s_waitcnt vmcnt(3)
	v_fmac_f64_e32 v[22:23], v[2:3], v[6:7]
	v_fmac_f64_e32 v[24:25], v[4:5], v[6:7]
	s_waitcnt vmcnt(2)
	v_fmac_f64_e32 v[18:19], v[2:3], v[26:27]
	v_fmac_f64_e32 v[20:21], v[4:5], v[26:27]
	;; [unrolled: 3-line block ×4, first 2 shown]
	v_fma_f64 v[22:23], -v[4:5], v[8:9], v[22:23]
	v_fmac_f64_e32 v[24:25], v[2:3], v[8:9]
	v_fma_f64 v[18:19], -v[4:5], v[28:29], v[18:19]
	v_fmac_f64_e32 v[20:21], v[2:3], v[28:29]
	;; [unrolled: 2-line block ×4, first 2 shown]
	global_store_dwordx4 v[0:1], v[22:25], off
	global_store_dwordx4 v[0:1], v[18:21], off offset:16
	global_store_dwordx4 v[0:1], v[14:17], off offset:32
	;; [unrolled: 1-line block ×3, first 2 shown]
	s_endpgm
	.section	.rodata,"a",@progbits
	.p2align	6, 0x0
	.amdhsa_kernel _ZN9rocsparseL18bsrxmvn_4x4_kernelILj128ELj64E21rocsparse_complex_numIdEiidS2_S2_EEvT3_20rocsparse_direction_NS_24const_host_device_scalarIT1_EES3_PKS3_PKT2_SC_S9_PKT4_PKT5_S7_PT6_21rocsparse_index_base_b
		.amdhsa_group_segment_fixed_size 0
		.amdhsa_private_segment_fixed_size 0
		.amdhsa_kernarg_size 112
		.amdhsa_user_sgpr_count 2
		.amdhsa_user_sgpr_dispatch_ptr 0
		.amdhsa_user_sgpr_queue_ptr 0
		.amdhsa_user_sgpr_kernarg_segment_ptr 1
		.amdhsa_user_sgpr_dispatch_id 0
		.amdhsa_user_sgpr_kernarg_preload_length 0
		.amdhsa_user_sgpr_kernarg_preload_offset 0
		.amdhsa_user_sgpr_private_segment_size 0
		.amdhsa_uses_dynamic_stack 0
		.amdhsa_enable_private_segment 0
		.amdhsa_system_sgpr_workgroup_id_x 1
		.amdhsa_system_sgpr_workgroup_id_y 0
		.amdhsa_system_sgpr_workgroup_id_z 0
		.amdhsa_system_sgpr_workgroup_info 0
		.amdhsa_system_vgpr_workitem_id 0
		.amdhsa_next_free_vgpr 110
		.amdhsa_next_free_sgpr 30
		.amdhsa_accum_offset 112
		.amdhsa_reserve_vcc 1
		.amdhsa_float_round_mode_32 0
		.amdhsa_float_round_mode_16_64 0
		.amdhsa_float_denorm_mode_32 3
		.amdhsa_float_denorm_mode_16_64 3
		.amdhsa_dx10_clamp 1
		.amdhsa_ieee_mode 1
		.amdhsa_fp16_overflow 0
		.amdhsa_tg_split 0
		.amdhsa_exception_fp_ieee_invalid_op 0
		.amdhsa_exception_fp_denorm_src 0
		.amdhsa_exception_fp_ieee_div_zero 0
		.amdhsa_exception_fp_ieee_overflow 0
		.amdhsa_exception_fp_ieee_underflow 0
		.amdhsa_exception_fp_ieee_inexact 0
		.amdhsa_exception_int_div_zero 0
	.end_amdhsa_kernel
	.section	.text._ZN9rocsparseL18bsrxmvn_4x4_kernelILj128ELj64E21rocsparse_complex_numIdEiidS2_S2_EEvT3_20rocsparse_direction_NS_24const_host_device_scalarIT1_EES3_PKS3_PKT2_SC_S9_PKT4_PKT5_S7_PT6_21rocsparse_index_base_b,"axG",@progbits,_ZN9rocsparseL18bsrxmvn_4x4_kernelILj128ELj64E21rocsparse_complex_numIdEiidS2_S2_EEvT3_20rocsparse_direction_NS_24const_host_device_scalarIT1_EES3_PKS3_PKT2_SC_S9_PKT4_PKT5_S7_PT6_21rocsparse_index_base_b,comdat
.Lfunc_end139:
	.size	_ZN9rocsparseL18bsrxmvn_4x4_kernelILj128ELj64E21rocsparse_complex_numIdEiidS2_S2_EEvT3_20rocsparse_direction_NS_24const_host_device_scalarIT1_EES3_PKS3_PKT2_SC_S9_PKT4_PKT5_S7_PT6_21rocsparse_index_base_b, .Lfunc_end139-_ZN9rocsparseL18bsrxmvn_4x4_kernelILj128ELj64E21rocsparse_complex_numIdEiidS2_S2_EEvT3_20rocsparse_direction_NS_24const_host_device_scalarIT1_EES3_PKS3_PKT2_SC_S9_PKT4_PKT5_S7_PT6_21rocsparse_index_base_b
                                        ; -- End function
	.set _ZN9rocsparseL18bsrxmvn_4x4_kernelILj128ELj64E21rocsparse_complex_numIdEiidS2_S2_EEvT3_20rocsparse_direction_NS_24const_host_device_scalarIT1_EES3_PKS3_PKT2_SC_S9_PKT4_PKT5_S7_PT6_21rocsparse_index_base_b.num_vgpr, 110
	.set _ZN9rocsparseL18bsrxmvn_4x4_kernelILj128ELj64E21rocsparse_complex_numIdEiidS2_S2_EEvT3_20rocsparse_direction_NS_24const_host_device_scalarIT1_EES3_PKS3_PKT2_SC_S9_PKT4_PKT5_S7_PT6_21rocsparse_index_base_b.num_agpr, 0
	.set _ZN9rocsparseL18bsrxmvn_4x4_kernelILj128ELj64E21rocsparse_complex_numIdEiidS2_S2_EEvT3_20rocsparse_direction_NS_24const_host_device_scalarIT1_EES3_PKS3_PKT2_SC_S9_PKT4_PKT5_S7_PT6_21rocsparse_index_base_b.numbered_sgpr, 30
	.set _ZN9rocsparseL18bsrxmvn_4x4_kernelILj128ELj64E21rocsparse_complex_numIdEiidS2_S2_EEvT3_20rocsparse_direction_NS_24const_host_device_scalarIT1_EES3_PKS3_PKT2_SC_S9_PKT4_PKT5_S7_PT6_21rocsparse_index_base_b.num_named_barrier, 0
	.set _ZN9rocsparseL18bsrxmvn_4x4_kernelILj128ELj64E21rocsparse_complex_numIdEiidS2_S2_EEvT3_20rocsparse_direction_NS_24const_host_device_scalarIT1_EES3_PKS3_PKT2_SC_S9_PKT4_PKT5_S7_PT6_21rocsparse_index_base_b.private_seg_size, 0
	.set _ZN9rocsparseL18bsrxmvn_4x4_kernelILj128ELj64E21rocsparse_complex_numIdEiidS2_S2_EEvT3_20rocsparse_direction_NS_24const_host_device_scalarIT1_EES3_PKS3_PKT2_SC_S9_PKT4_PKT5_S7_PT6_21rocsparse_index_base_b.uses_vcc, 1
	.set _ZN9rocsparseL18bsrxmvn_4x4_kernelILj128ELj64E21rocsparse_complex_numIdEiidS2_S2_EEvT3_20rocsparse_direction_NS_24const_host_device_scalarIT1_EES3_PKS3_PKT2_SC_S9_PKT4_PKT5_S7_PT6_21rocsparse_index_base_b.uses_flat_scratch, 0
	.set _ZN9rocsparseL18bsrxmvn_4x4_kernelILj128ELj64E21rocsparse_complex_numIdEiidS2_S2_EEvT3_20rocsparse_direction_NS_24const_host_device_scalarIT1_EES3_PKS3_PKT2_SC_S9_PKT4_PKT5_S7_PT6_21rocsparse_index_base_b.has_dyn_sized_stack, 0
	.set _ZN9rocsparseL18bsrxmvn_4x4_kernelILj128ELj64E21rocsparse_complex_numIdEiidS2_S2_EEvT3_20rocsparse_direction_NS_24const_host_device_scalarIT1_EES3_PKS3_PKT2_SC_S9_PKT4_PKT5_S7_PT6_21rocsparse_index_base_b.has_recursion, 0
	.set _ZN9rocsparseL18bsrxmvn_4x4_kernelILj128ELj64E21rocsparse_complex_numIdEiidS2_S2_EEvT3_20rocsparse_direction_NS_24const_host_device_scalarIT1_EES3_PKS3_PKT2_SC_S9_PKT4_PKT5_S7_PT6_21rocsparse_index_base_b.has_indirect_call, 0
	.section	.AMDGPU.csdata,"",@progbits
; Kernel info:
; codeLenInByte = 7496
; TotalNumSgprs: 36
; NumVgprs: 110
; NumAgprs: 0
; TotalNumVgprs: 110
; ScratchSize: 0
; MemoryBound: 0
; FloatMode: 240
; IeeeMode: 1
; LDSByteSize: 0 bytes/workgroup (compile time only)
; SGPRBlocks: 4
; VGPRBlocks: 13
; NumSGPRsForWavesPerEU: 36
; NumVGPRsForWavesPerEU: 110
; AccumOffset: 112
; Occupancy: 4
; WaveLimiterHint : 1
; COMPUTE_PGM_RSRC2:SCRATCH_EN: 0
; COMPUTE_PGM_RSRC2:USER_SGPR: 2
; COMPUTE_PGM_RSRC2:TRAP_HANDLER: 0
; COMPUTE_PGM_RSRC2:TGID_X_EN: 1
; COMPUTE_PGM_RSRC2:TGID_Y_EN: 0
; COMPUTE_PGM_RSRC2:TGID_Z_EN: 0
; COMPUTE_PGM_RSRC2:TIDIG_COMP_CNT: 0
; COMPUTE_PGM_RSRC3_GFX90A:ACCUM_OFFSET: 27
; COMPUTE_PGM_RSRC3_GFX90A:TG_SPLIT: 0
	.section	.text._ZN9rocsparseL18bsrxmvn_4x4_kernelILj128ELj4E21rocsparse_complex_numIdElidS2_S2_EEvT3_20rocsparse_direction_NS_24const_host_device_scalarIT1_EES3_PKS3_PKT2_SC_S9_PKT4_PKT5_S7_PT6_21rocsparse_index_base_b,"axG",@progbits,_ZN9rocsparseL18bsrxmvn_4x4_kernelILj128ELj4E21rocsparse_complex_numIdElidS2_S2_EEvT3_20rocsparse_direction_NS_24const_host_device_scalarIT1_EES3_PKS3_PKT2_SC_S9_PKT4_PKT5_S7_PT6_21rocsparse_index_base_b,comdat
	.globl	_ZN9rocsparseL18bsrxmvn_4x4_kernelILj128ELj4E21rocsparse_complex_numIdElidS2_S2_EEvT3_20rocsparse_direction_NS_24const_host_device_scalarIT1_EES3_PKS3_PKT2_SC_S9_PKT4_PKT5_S7_PT6_21rocsparse_index_base_b ; -- Begin function _ZN9rocsparseL18bsrxmvn_4x4_kernelILj128ELj4E21rocsparse_complex_numIdElidS2_S2_EEvT3_20rocsparse_direction_NS_24const_host_device_scalarIT1_EES3_PKS3_PKT2_SC_S9_PKT4_PKT5_S7_PT6_21rocsparse_index_base_b
	.p2align	8
	.type	_ZN9rocsparseL18bsrxmvn_4x4_kernelILj128ELj4E21rocsparse_complex_numIdElidS2_S2_EEvT3_20rocsparse_direction_NS_24const_host_device_scalarIT1_EES3_PKS3_PKT2_SC_S9_PKT4_PKT5_S7_PT6_21rocsparse_index_base_b,@function
_ZN9rocsparseL18bsrxmvn_4x4_kernelILj128ELj4E21rocsparse_complex_numIdElidS2_S2_EEvT3_20rocsparse_direction_NS_24const_host_device_scalarIT1_EES3_PKS3_PKT2_SC_S9_PKT4_PKT5_S7_PT6_21rocsparse_index_base_b: ; @_ZN9rocsparseL18bsrxmvn_4x4_kernelILj128ELj4E21rocsparse_complex_numIdElidS2_S2_EEvT3_20rocsparse_direction_NS_24const_host_device_scalarIT1_EES3_PKS3_PKT2_SC_S9_PKT4_PKT5_S7_PT6_21rocsparse_index_base_b
; %bb.0:
	s_load_dwordx2 s[4:5], s[0:1], 0x8
	s_load_dwordx2 s[12:13], s[0:1], 0x68
	s_add_u32 s3, s0, 8
	s_addc_u32 s8, s1, 0
	s_add_u32 s9, s0, 0x50
	s_load_dwordx2 s[6:7], s[0:1], 0x50
	s_addc_u32 s10, s1, 0
	s_waitcnt lgkmcnt(0)
	s_bitcmp1_b32 s13, 0
	s_cselect_b32 s5, s8, s5
	s_cselect_b32 s3, s3, s4
	v_mov_b32_e32 v2, s3
	v_mov_b32_e32 v3, s5
	flat_load_dwordx4 v[6:9], v[2:3]
	s_cselect_b32 s3, s10, s7
	s_cselect_b32 s4, s9, s6
	v_mov_b32_e32 v2, s4
	v_mov_b32_e32 v3, s3
	flat_load_dwordx4 v[2:5], v[2:3]
	s_waitcnt vmcnt(0) lgkmcnt(0)
	v_cmp_eq_f64_e32 vcc, 0, v[6:7]
	v_cmp_eq_f64_e64 s[4:5], 0, v[8:9]
	s_and_b64 s[8:9], vcc, s[4:5]
	s_mov_b64 s[4:5], -1
	s_and_saveexec_b64 s[6:7], s[8:9]
; %bb.1:
	v_cmp_neq_f64_e32 vcc, 1.0, v[2:3]
	v_cmp_neq_f64_e64 s[4:5], 0, v[4:5]
	s_or_b64 s[4:5], vcc, s[4:5]
	s_orn2_b64 s[4:5], s[4:5], exec
; %bb.2:
	s_or_b64 exec, exec, s[6:7]
	s_and_saveexec_b64 s[6:7], s[4:5]
	s_cbranch_execz .LBB140_8
; %bb.3:
	s_load_dwordx2 s[4:5], s[0:1], 0x20
	s_load_dwordx2 s[14:15], s[0:1], 0x0
	v_lshrrev_b32_e32 v1, 2, v0
	v_lshl_or_b32 v78, s2, 5, v1
	s_mov_b64 s[2:3], 0
	s_waitcnt lgkmcnt(0)
	s_cmp_lg_u64 s[4:5], 0
	s_cbranch_scc0 .LBB140_9
; %bb.4:
	s_load_dword s6, s[0:1], 0x18
                                        ; implicit-def: $vgpr1
	s_waitcnt lgkmcnt(0)
	v_cmp_gt_i32_e32 vcc, s6, v78
	s_and_saveexec_b64 s[6:7], vcc
	s_xor_b64 s[6:7], exec, s[6:7]
	s_cbranch_execz .LBB140_6
; %bb.5:
	v_ashrrev_i32_e32 v79, 31, v78
	v_lshl_add_u64 v[10:11], v[78:79], 2, s[4:5]
	global_load_dword v1, v[10:11], off
	s_mov_b64 s[2:3], exec
	s_waitcnt vmcnt(0)
	v_subrev_u32_e32 v1, s12, v1
.LBB140_6:
	s_or_b64 exec, exec, s[6:7]
	s_branch .LBB140_10
.LBB140_7:
	v_cmp_gt_i32_e32 vcc, s14, v78
	s_andn2_b64 s[2:3], s[2:3], exec
	s_and_b64 s[4:5], vcc, exec
	s_or_b64 s[2:3], s[2:3], s[4:5]
	s_and_b64 exec, exec, s[2:3]
	s_cbranch_execnz .LBB140_11
.LBB140_8:
	s_endpgm
.LBB140_9:
                                        ; implicit-def: $vgpr1
	s_cbranch_execnz .LBB140_7
.LBB140_10:
	v_mov_b32_e32 v78, v1
	s_and_b64 exec, exec, s[2:3]
	s_cbranch_execz .LBB140_8
.LBB140_11:
	s_load_dwordx8 s[4:11], s[0:1], 0x28
	v_ashrrev_i32_e32 v79, 31, v78
	v_lshlrev_b64 v[10:11], 3, v[78:79]
	v_and_b32_e32 v0, 3, v0
	v_mov_b32_e32 v1, 0
	s_waitcnt lgkmcnt(0)
	v_lshl_add_u64 v[12:13], s[4:5], 0, v[10:11]
	s_cmp_eq_u64 s[6:7], 0
	v_lshl_add_u64 v[10:11], s[6:7], 0, v[10:11]
	global_load_dwordx2 v[26:27], v[12:13], off
	v_lshl_add_u64 v[12:13], v[12:13], 0, 8
	s_cselect_b64 vcc, -1, 0
	v_cndmask_b32_e32 v11, v11, v13, vcc
	v_cndmask_b32_e32 v10, v10, v12, vcc
	global_load_dwordx2 v[10:11], v[10:11], off
	s_load_dwordx2 s[4:5], s[0:1], 0x48
	s_cmp_eq_u32 s15, 1
	s_waitcnt vmcnt(1)
	v_subrev_co_u32_e32 v12, vcc, s12, v26
	s_nop 1
	v_subbrev_co_u32_e32 v13, vcc, 0, v27, vcc
	v_lshl_add_u64 v[80:81], v[12:13], 0, v[0:1]
	s_waitcnt vmcnt(0)
	v_subrev_co_u32_e32 v82, vcc, s12, v10
	s_nop 1
	v_subbrev_co_u32_e32 v83, vcc, 0, v11, vcc
	v_lshlrev_b64 v[10:11], 7, v[80:81]
	v_lshl_add_u64 v[84:85], s[10:11], 0, v[10:11]
	v_cmp_lt_i64_e64 s[2:3], v[80:81], v[82:83]
	s_cbranch_scc1 .LBB140_23
; %bb.12:
	v_mov_b64_e32 v[90:91], 0
	v_mov_b64_e32 v[100:101], 0
	;; [unrolled: 1-line block ×8, first 2 shown]
	s_and_saveexec_b64 s[6:7], s[2:3]
	s_cbranch_execz .LBB140_22
; %bb.13:
	v_or_b32_e32 v1, 4, v0
	v_subrev_co_u32_e32 v10, vcc, s12, v1
	v_not_b32_e32 v13, v27
	s_nop 0
	v_subb_co_u32_e64 v11, s[10:11], 0, 0, vcc
	v_lshl_add_u64 v[10:11], v[10:11], 0, v[26:27]
	v_cmp_gt_i64_e32 vcc, v[10:11], v[82:83]
	v_not_b32_e32 v12, v26
	v_mov_b64_e32 v[86:87], 0
	v_cndmask_b32_e32 v11, v83, v11, vcc
	v_cndmask_b32_e32 v10, v82, v10, vcc
	v_sub_co_u32_e32 v14, vcc, s12, v0
	v_mov_b64_e32 v[88:89], 0
	s_nop 0
	v_subb_co_u32_e64 v15, s[10:11], 0, 0, vcc
	v_lshl_add_u64 v[12:13], v[14:15], 0, v[12:13]
	v_lshl_add_u64 v[22:23], v[12:13], 0, v[10:11]
	v_and_b32_e32 v10, 12, v22
	v_mov_b32_e32 v11, 0
	v_cmp_ne_u64_e32 vcc, 12, v[10:11]
	v_mov_b64_e32 v[96:97], 0
	v_mov_b64_e32 v[92:93], 0
	v_mov_b64_e32 v[98:99], 0
	v_mov_b64_e32 v[94:95], 0
	v_mov_b64_e32 v[100:101], 0
	v_mov_b64_e32 v[90:91], 0
	v_mov_b64_e32 v[28:29], v[84:85]
	v_mov_b64_e32 v[30:31], v[80:81]
	s_and_saveexec_b64 s[10:11], vcc
	s_cbranch_execz .LBB140_17
; %bb.14:
	v_lshrrev_b32_e32 v1, 2, v22
	v_add_u32_e32 v1, 1, v1
	v_and_b32_e32 v1, 3, v1
	v_sub_co_u32_e32 v32, vcc, 0, v1
	v_lshl_add_u64 v[24:25], v[80:81], 2, s[8:9]
	s_nop 0
	v_subb_co_u32_e64 v33, s[16:17], 0, 0, vcc
	s_mov_b64 s[14:15], 0
	v_mov_b64_e32 v[90:91], 0
	s_mov_b64 s[16:17], 0x200
	v_mov_b64_e32 v[30:31], v[80:81]
	v_mov_b64_e32 v[28:29], v[84:85]
	;; [unrolled: 1-line block ×9, first 2 shown]
.LBB140_15:                             ; =>This Inner Loop Header: Depth=1
	global_load_dword v1, v[24:25], off
	global_load_dwordx4 v[10:13], v[28:29], off offset:48
	global_load_dwordx4 v[18:21], v[28:29], off offset:32
	;; [unrolled: 1-line block ×3, first 2 shown]
	global_load_dwordx4 v[34:37], v[28:29], off
	global_load_dwordx4 v[38:41], v[28:29], off offset:112
	global_load_dwordx4 v[42:45], v[28:29], off offset:96
	;; [unrolled: 1-line block ×4, first 2 shown]
	v_lshl_add_u64 v[32:33], v[32:33], 0, 1
	v_cmp_eq_u64_e32 vcc, 0, v[32:33]
	v_lshl_add_u64 v[28:29], v[28:29], 0, s[16:17]
	v_lshl_add_u64 v[30:31], v[30:31], 0, 4
	;; [unrolled: 1-line block ×3, first 2 shown]
	s_or_b64 s[14:15], vcc, s[14:15]
	s_waitcnt vmcnt(8)
	v_subrev_u32_e32 v1, s12, v1
	v_lshlrev_b32_e32 v54, 2, v1
	v_ashrrev_i32_e32 v55, 31, v54
	s_waitcnt lgkmcnt(0)
	v_lshl_add_u64 v[70:71], v[54:55], 4, s[4:5]
	global_load_dwordx4 v[54:57], v[70:71], off
	global_load_dwordx4 v[58:61], v[70:71], off offset:16
	global_load_dwordx4 v[62:65], v[70:71], off offset:32
	;; [unrolled: 1-line block ×3, first 2 shown]
	s_waitcnt vmcnt(3)
	v_fmac_f64_e32 v[100:101], v[34:35], v[54:55]
	v_fmac_f64_e32 v[90:91], 0, v[54:55]
	v_fmac_f64_e32 v[98:99], v[18:19], v[54:55]
	v_fmac_f64_e32 v[94:95], 0, v[54:55]
	v_fmac_f64_e32 v[96:97], v[46:47], v[54:55]
	v_fmac_f64_e32 v[92:93], 0, v[54:55]
	v_fmac_f64_e32 v[86:87], v[42:43], v[54:55]
	v_fmac_f64_e32 v[88:89], 0, v[54:55]
	v_fmac_f64_e32 v[100:101], 0x80000000, v[56:57]
	v_fmac_f64_e32 v[90:91], v[34:35], v[56:57]
	v_fmac_f64_e32 v[98:99], 0x80000000, v[56:57]
	v_fmac_f64_e32 v[94:95], v[18:19], v[56:57]
	v_fmac_f64_e32 v[96:97], 0x80000000, v[56:57]
	v_fmac_f64_e32 v[92:93], v[46:47], v[56:57]
	v_fmac_f64_e32 v[86:87], 0x80000000, v[56:57]
	v_fmac_f64_e32 v[88:89], v[42:43], v[56:57]
	s_waitcnt vmcnt(2)
	v_fmac_f64_e32 v[100:101], v[36:37], v[58:59]
	v_fmac_f64_e32 v[90:91], 0, v[58:59]
	v_fmac_f64_e32 v[98:99], v[20:21], v[58:59]
	v_fmac_f64_e32 v[94:95], 0, v[58:59]
	v_fmac_f64_e32 v[96:97], v[48:49], v[58:59]
	v_fmac_f64_e32 v[92:93], 0, v[58:59]
	v_fmac_f64_e32 v[86:87], v[44:45], v[58:59]
	v_fmac_f64_e32 v[88:89], 0, v[58:59]
	v_fmac_f64_e32 v[90:91], v[36:37], v[60:61]
	v_fmac_f64_e32 v[94:95], v[20:21], v[60:61]
	v_fmac_f64_e32 v[100:101], 0x80000000, v[60:61]
	v_fmac_f64_e32 v[98:99], 0x80000000, v[60:61]
	v_fmac_f64_e32 v[96:97], 0x80000000, v[60:61]
	v_fmac_f64_e32 v[92:93], v[48:49], v[60:61]
	v_fmac_f64_e32 v[86:87], 0x80000000, v[60:61]
	v_fmac_f64_e32 v[88:89], v[44:45], v[60:61]
	s_waitcnt vmcnt(1)
	v_fmac_f64_e32 v[100:101], v[14:15], v[62:63]
	v_fmac_f64_e32 v[90:91], 0, v[62:63]
	v_fmac_f64_e32 v[98:99], v[10:11], v[62:63]
	v_fmac_f64_e32 v[94:95], 0, v[62:63]
	v_fmac_f64_e32 v[96:97], v[50:51], v[62:63]
	v_fmac_f64_e32 v[92:93], 0, v[62:63]
	v_fmac_f64_e32 v[86:87], v[38:39], v[62:63]
	v_fmac_f64_e32 v[88:89], 0, v[62:63]
	v_fmac_f64_e32 v[100:101], 0x80000000, v[64:65]
	v_fmac_f64_e32 v[90:91], v[14:15], v[64:65]
	v_fmac_f64_e32 v[98:99], 0x80000000, v[64:65]
	v_fmac_f64_e32 v[94:95], v[10:11], v[64:65]
	v_fmac_f64_e32 v[96:97], 0x80000000, v[64:65]
	v_fmac_f64_e32 v[92:93], v[50:51], v[64:65]
	v_fmac_f64_e32 v[86:87], 0x80000000, v[64:65]
	v_fmac_f64_e32 v[88:89], v[38:39], v[64:65]
	s_waitcnt vmcnt(0)
	v_fmac_f64_e32 v[100:101], v[16:17], v[66:67]
	v_fmac_f64_e32 v[90:91], 0, v[66:67]
	v_fmac_f64_e32 v[98:99], v[12:13], v[66:67]
	v_fmac_f64_e32 v[94:95], 0, v[66:67]
	v_fmac_f64_e32 v[96:97], v[52:53], v[66:67]
	v_fmac_f64_e32 v[92:93], 0, v[66:67]
	v_fmac_f64_e32 v[86:87], v[40:41], v[66:67]
	v_fmac_f64_e32 v[88:89], 0, v[66:67]
	v_fmac_f64_e32 v[100:101], 0x80000000, v[68:69]
	v_fmac_f64_e32 v[90:91], v[16:17], v[68:69]
	v_fmac_f64_e32 v[98:99], 0x80000000, v[68:69]
	v_fmac_f64_e32 v[94:95], v[12:13], v[68:69]
	v_fmac_f64_e32 v[96:97], 0x80000000, v[68:69]
	v_fmac_f64_e32 v[92:93], v[52:53], v[68:69]
	v_fmac_f64_e32 v[86:87], 0x80000000, v[68:69]
	v_fmac_f64_e32 v[88:89], v[40:41], v[68:69]
	s_andn2_b64 exec, exec, s[14:15]
	s_cbranch_execnz .LBB140_15
; %bb.16:
	s_or_b64 exec, exec, s[14:15]
.LBB140_17:
	s_or_b64 exec, exec, s[10:11]
	v_cmp_lt_u64_e32 vcc, 11, v[22:23]
	s_and_saveexec_b64 s[10:11], vcc
	s_cbranch_execz .LBB140_21
; %bb.18:
	v_lshl_add_u64 v[10:11], v[30:31], 2, s[8:9]
	v_lshl_add_u64 v[32:33], v[10:11], 0, 32
	s_mov_b64 s[14:15], 0
	s_mov_b64 s[16:17], 0x800
.LBB140_19:                             ; =>This Inner Loop Header: Depth=1
	global_load_dword v1, v[32:33], off offset:-32
	global_load_dwordx4 v[10:13], v[28:29], off offset:48
	global_load_dwordx4 v[14:17], v[28:29], off offset:32
	;; [unrolled: 1-line block ×3, first 2 shown]
	global_load_dwordx4 v[22:25], v[28:29], off
	v_lshl_add_u64 v[30:31], v[30:31], 0, 16
	v_cmp_ge_i64_e32 vcc, v[30:31], v[82:83]
	s_or_b64 s[14:15], vcc, s[14:15]
	s_waitcnt vmcnt(4)
	v_subrev_u32_e32 v1, s12, v1
	v_lshlrev_b32_e32 v34, 2, v1
	v_ashrrev_i32_e32 v35, 31, v34
	s_waitcnt lgkmcnt(0)
	v_lshl_add_u64 v[50:51], v[34:35], 4, s[4:5]
	global_load_dwordx4 v[34:37], v[50:51], off offset:48
	global_load_dwordx4 v[38:41], v[50:51], off offset:32
	;; [unrolled: 1-line block ×3, first 2 shown]
	global_load_dwordx4 v[46:49], v[50:51], off
	s_waitcnt vmcnt(0)
	v_fmac_f64_e32 v[90:91], 0, v[46:47]
	v_fmac_f64_e32 v[94:95], 0, v[46:47]
	;; [unrolled: 1-line block ×30, first 2 shown]
	global_load_dwordx4 v[10:13], v[28:29], off offset:112
	global_load_dwordx4 v[14:17], v[28:29], off offset:96
	global_load_dwordx4 v[18:21], v[28:29], off offset:80
	global_load_dwordx4 v[22:25], v[28:29], off offset:64
	global_load_dword v1, v[32:33], off offset:-16
	v_fmac_f64_e32 v[92:93], 0, v[46:47]
	v_fmac_f64_e32 v[88:89], 0, v[46:47]
	;; [unrolled: 1-line block ×4, first 2 shown]
	s_waitcnt vmcnt(3)
	v_fmac_f64_e32 v[86:87], v[14:15], v[46:47]
	v_fmac_f64_e32 v[86:87], 0x80000000, v[48:49]
	s_waitcnt vmcnt(1)
	v_fmac_f64_e32 v[96:97], v[22:23], v[46:47]
	v_fmac_f64_e32 v[96:97], 0x80000000, v[48:49]
	;; [unrolled: 1-line block ×20, first 2 shown]
	s_waitcnt vmcnt(0)
	v_subrev_u32_e32 v1, s12, v1
	v_fmac_f64_e32 v[96:97], v[20:21], v[34:35]
	v_fmac_f64_e32 v[92:93], 0, v[34:35]
	;; [unrolled: 1-line block ×4, first 2 shown]
	v_lshlrev_b32_e32 v34, 2, v1
	v_ashrrev_i32_e32 v35, 31, v34
	v_lshl_add_u64 v[50:51], v[34:35], 4, s[4:5]
	v_fmac_f64_e32 v[96:97], 0x80000000, v[36:37]
	v_fmac_f64_e32 v[92:93], v[20:21], v[36:37]
	;; [unrolled: 1-line block ×4, first 2 shown]
	global_load_dwordx4 v[10:13], v[28:29], off offset:560
	global_load_dwordx4 v[14:17], v[28:29], off offset:544
	;; [unrolled: 1-line block ×7, first 2 shown]
	global_load_dwordx4 v[46:49], v[50:51], off
	s_waitcnt vmcnt(0)
	v_fmac_f64_e32 v[90:91], 0, v[46:47]
	v_fmac_f64_e32 v[94:95], 0, v[46:47]
	;; [unrolled: 1-line block ×30, first 2 shown]
	global_load_dwordx4 v[10:13], v[28:29], off offset:624
	global_load_dwordx4 v[14:17], v[28:29], off offset:608
	;; [unrolled: 1-line block ×4, first 2 shown]
	global_load_dword v1, v[32:33], off
	v_fmac_f64_e32 v[92:93], 0, v[46:47]
	v_fmac_f64_e32 v[88:89], 0, v[46:47]
	;; [unrolled: 1-line block ×4, first 2 shown]
	s_waitcnt vmcnt(3)
	v_fmac_f64_e32 v[86:87], v[14:15], v[46:47]
	v_fmac_f64_e32 v[86:87], 0x80000000, v[48:49]
	s_waitcnt vmcnt(1)
	v_fmac_f64_e32 v[96:97], v[22:23], v[46:47]
	v_fmac_f64_e32 v[96:97], 0x80000000, v[48:49]
	;; [unrolled: 1-line block ×20, first 2 shown]
	s_waitcnt vmcnt(0)
	v_subrev_u32_e32 v1, s12, v1
	v_fmac_f64_e32 v[96:97], v[20:21], v[34:35]
	v_fmac_f64_e32 v[92:93], 0, v[34:35]
	;; [unrolled: 1-line block ×4, first 2 shown]
	v_lshlrev_b32_e32 v34, 2, v1
	v_ashrrev_i32_e32 v35, 31, v34
	v_lshl_add_u64 v[50:51], v[34:35], 4, s[4:5]
	v_fmac_f64_e32 v[96:97], 0x80000000, v[36:37]
	v_fmac_f64_e32 v[92:93], v[20:21], v[36:37]
	;; [unrolled: 1-line block ×4, first 2 shown]
	global_load_dwordx4 v[10:13], v[28:29], off offset:1072
	global_load_dwordx4 v[14:17], v[28:29], off offset:1056
	;; [unrolled: 1-line block ×7, first 2 shown]
	global_load_dwordx4 v[46:49], v[50:51], off
	s_waitcnt vmcnt(0)
	v_fmac_f64_e32 v[90:91], 0, v[46:47]
	v_fmac_f64_e32 v[94:95], 0, v[46:47]
	;; [unrolled: 1-line block ×30, first 2 shown]
	global_load_dwordx4 v[10:13], v[28:29], off offset:1136
	global_load_dwordx4 v[14:17], v[28:29], off offset:1120
	global_load_dwordx4 v[18:21], v[28:29], off offset:1104
	global_load_dwordx4 v[22:25], v[28:29], off offset:1088
	global_load_dword v1, v[32:33], off offset:16
	v_fmac_f64_e32 v[88:89], 0, v[46:47]
	v_fmac_f64_e32 v[92:93], 0, v[46:47]
	v_fmac_f64_e32 v[100:101], 0x80000000, v[36:37]
	v_fmac_f64_e32 v[98:99], 0x80000000, v[36:37]
	v_lshl_add_u64 v[32:33], v[32:33], 0, 64
	s_waitcnt vmcnt(3)
	v_fmac_f64_e32 v[86:87], v[14:15], v[46:47]
	v_fmac_f64_e32 v[88:89], v[14:15], v[48:49]
	s_waitcnt vmcnt(1)
	v_fmac_f64_e32 v[96:97], v[22:23], v[46:47]
	v_fmac_f64_e32 v[96:97], 0x80000000, v[48:49]
	;; [unrolled: 1-line block ×13, first 2 shown]
	s_waitcnt vmcnt(0)
	v_subrev_u32_e32 v1, s12, v1
	v_fmac_f64_e32 v[96:97], v[18:19], v[38:39]
	v_fmac_f64_e32 v[92:93], 0, v[38:39]
	;; [unrolled: 1-line block ×4, first 2 shown]
	v_lshlrev_b32_e32 v10, 2, v1
	v_fmac_f64_e32 v[96:97], 0x80000000, v[40:41]
	v_fmac_f64_e32 v[92:93], v[18:19], v[40:41]
	;; [unrolled: 1-line block ×3, first 2 shown]
	v_ashrrev_i32_e32 v11, 31, v10
	v_fmac_f64_e32 v[96:97], v[20:21], v[34:35]
	v_fmac_f64_e32 v[92:93], 0, v[34:35]
	;; [unrolled: 1-line block ×4, first 2 shown]
	v_lshl_add_u64 v[50:51], v[10:11], 4, s[4:5]
	v_fmac_f64_e32 v[96:97], 0x80000000, v[36:37]
	v_fmac_f64_e32 v[92:93], v[20:21], v[36:37]
	;; [unrolled: 1-line block ×4, first 2 shown]
	global_load_dwordx4 v[34:37], v[28:29], off offset:1584
	global_load_dwordx4 v[38:41], v[28:29], off offset:1568
	;; [unrolled: 1-line block ×7, first 2 shown]
	global_load_dwordx4 v[22:25], v[50:51], off
	s_waitcnt vmcnt(0)
	v_fmac_f64_e32 v[90:91], 0, v[22:23]
	v_fmac_f64_e32 v[94:95], 0, v[22:23]
	;; [unrolled: 1-line block ×30, first 2 shown]
	global_load_dwordx4 v[34:37], v[28:29], off offset:1648
	global_load_dwordx4 v[38:41], v[28:29], off offset:1632
	;; [unrolled: 1-line block ×4, first 2 shown]
	v_fmac_f64_e32 v[92:93], 0, v[22:23]
	v_fmac_f64_e32 v[88:89], 0, v[22:23]
	;; [unrolled: 1-line block ×4, first 2 shown]
	v_lshl_add_u64 v[28:29], v[28:29], 0, s[16:17]
	s_waitcnt vmcnt(2)
	v_fmac_f64_e32 v[86:87], v[38:39], v[22:23]
	v_fmac_f64_e32 v[86:87], 0x80000000, v[24:25]
	s_waitcnt vmcnt(0)
	v_fmac_f64_e32 v[96:97], v[46:47], v[22:23]
	v_fmac_f64_e32 v[96:97], 0x80000000, v[24:25]
	;; [unrolled: 1-line block ×28, first 2 shown]
	s_andn2_b64 exec, exec, s[14:15]
	s_cbranch_execnz .LBB140_19
; %bb.20:
	s_or_b64 exec, exec, s[14:15]
.LBB140_21:
	s_or_b64 exec, exec, s[10:11]
.LBB140_22:
	s_or_b64 exec, exec, s[6:7]
	s_cbranch_execz .LBB140_24
	s_branch .LBB140_35
.LBB140_23:
                                        ; implicit-def: $vgpr90_vgpr91
                                        ; implicit-def: $vgpr100_vgpr101
                                        ; implicit-def: $vgpr94_vgpr95
                                        ; implicit-def: $vgpr98_vgpr99
                                        ; implicit-def: $vgpr92_vgpr93
                                        ; implicit-def: $vgpr96_vgpr97
                                        ; implicit-def: $vgpr88_vgpr89
                                        ; implicit-def: $vgpr86_vgpr87
.LBB140_24:
	v_mov_b64_e32 v[90:91], 0
	v_mov_b64_e32 v[100:101], 0
	;; [unrolled: 1-line block ×8, first 2 shown]
	s_and_saveexec_b64 s[6:7], s[2:3]
	s_cbranch_execz .LBB140_34
; %bb.25:
	v_or_b32_e32 v1, 4, v0
	v_subrev_co_u32_e32 v10, vcc, s12, v1
	v_not_b32_e32 v13, v27
	s_nop 0
	v_subb_co_u32_e64 v11, s[2:3], 0, 0, vcc
	v_lshl_add_u64 v[10:11], v[10:11], 0, v[26:27]
	v_cmp_gt_i64_e32 vcc, v[10:11], v[82:83]
	v_not_b32_e32 v12, v26
	v_mov_b64_e32 v[86:87], 0
	v_cndmask_b32_e32 v11, v83, v11, vcc
	v_cndmask_b32_e32 v10, v82, v10, vcc
	v_sub_co_u32_e32 v14, vcc, s12, v0
	v_mov_b64_e32 v[88:89], 0
	s_nop 0
	v_subb_co_u32_e64 v15, s[2:3], 0, 0, vcc
	v_lshl_add_u64 v[12:13], v[14:15], 0, v[12:13]
	v_lshl_add_u64 v[10:11], v[12:13], 0, v[10:11]
	v_and_b32_e32 v12, 12, v10
	v_mov_b32_e32 v13, 0
	v_cmp_ne_u64_e32 vcc, 12, v[12:13]
	v_mov_b64_e32 v[96:97], 0
	v_mov_b64_e32 v[92:93], 0
	;; [unrolled: 1-line block ×6, first 2 shown]
	s_and_saveexec_b64 s[2:3], vcc
	s_cbranch_execz .LBB140_29
; %bb.26:
	v_lshrrev_b32_e32 v1, 2, v10
	v_add_u32_e32 v1, 1, v1
	v_and_b32_e32 v1, 3, v1
	v_sub_co_u32_e32 v14, vcc, 0, v1
	v_lshl_add_u64 v[12:13], v[80:81], 2, s[8:9]
	s_nop 0
	v_subb_co_u32_e64 v15, s[14:15], 0, 0, vcc
	s_mov_b64 s[10:11], 0
	v_mov_b64_e32 v[90:91], 0
	s_mov_b64 s[14:15], 0x200
	v_mov_b64_e32 v[100:101], 0
	v_mov_b64_e32 v[94:95], 0
	;; [unrolled: 1-line block ×7, first 2 shown]
.LBB140_27:                             ; =>This Inner Loop Header: Depth=1
	global_load_dword v1, v[12:13], off
	global_load_dwordx4 v[16:19], v[84:85], off offset:48
	global_load_dwordx4 v[20:23], v[84:85], off offset:32
	;; [unrolled: 1-line block ×3, first 2 shown]
	global_load_dwordx4 v[28:31], v[84:85], off
	global_load_dwordx4 v[32:35], v[84:85], off offset:96
	global_load_dwordx4 v[36:39], v[84:85], off offset:80
	global_load_dwordx4 v[40:43], v[84:85], off offset:64
	v_lshl_add_u64 v[14:15], v[14:15], 0, 1
	v_cmp_eq_u64_e32 vcc, 0, v[14:15]
	v_lshl_add_u64 v[80:81], v[80:81], 0, 4
	v_lshl_add_u64 v[12:13], v[12:13], 0, 16
	s_or_b64 s[10:11], vcc, s[10:11]
	s_waitcnt vmcnt(7)
	v_subrev_u32_e32 v1, s12, v1
	v_lshlrev_b32_e32 v44, 2, v1
	v_ashrrev_i32_e32 v45, 31, v44
	s_waitcnt lgkmcnt(0)
	v_lshl_add_u64 v[64:65], v[44:45], 4, s[4:5]
	global_load_dwordx4 v[44:47], v[64:65], off
	global_load_dwordx4 v[48:51], v[64:65], off offset:16
	global_load_dwordx4 v[52:55], v[64:65], off offset:32
	;; [unrolled: 1-line block ×4, first 2 shown]
	v_lshl_add_u64 v[84:85], v[84:85], 0, s[14:15]
	s_waitcnt vmcnt(4)
	v_fmac_f64_e32 v[100:101], v[28:29], v[44:45]
	v_fmac_f64_e32 v[90:91], 0, v[44:45]
	v_fmac_f64_e32 v[98:99], v[30:31], v[44:45]
	v_fmac_f64_e32 v[94:95], 0, v[44:45]
	v_fmac_f64_e32 v[96:97], v[24:25], v[44:45]
	v_fmac_f64_e32 v[92:93], 0, v[44:45]
	v_fmac_f64_e32 v[86:87], v[26:27], v[44:45]
	v_fmac_f64_e32 v[88:89], 0, v[44:45]
	v_fmac_f64_e32 v[100:101], 0x80000000, v[46:47]
	v_fmac_f64_e32 v[90:91], v[28:29], v[46:47]
	v_fmac_f64_e32 v[98:99], 0x80000000, v[46:47]
	v_fmac_f64_e32 v[94:95], v[30:31], v[46:47]
	v_fmac_f64_e32 v[96:97], 0x80000000, v[46:47]
	v_fmac_f64_e32 v[92:93], v[24:25], v[46:47]
	v_fmac_f64_e32 v[86:87], 0x80000000, v[46:47]
	v_fmac_f64_e32 v[88:89], v[26:27], v[46:47]
	s_waitcnt vmcnt(3)
	v_fmac_f64_e32 v[100:101], v[20:21], v[48:49]
	v_fmac_f64_e32 v[90:91], 0, v[48:49]
	v_fmac_f64_e32 v[98:99], v[22:23], v[48:49]
	v_fmac_f64_e32 v[94:95], 0, v[48:49]
	v_fmac_f64_e32 v[96:97], v[16:17], v[48:49]
	v_fmac_f64_e32 v[92:93], 0, v[48:49]
	v_fmac_f64_e32 v[86:87], v[18:19], v[48:49]
	v_fmac_f64_e32 v[88:89], 0, v[48:49]
	v_fmac_f64_e32 v[100:101], 0x80000000, v[50:51]
	v_fmac_f64_e32 v[90:91], v[20:21], v[50:51]
	v_fmac_f64_e32 v[98:99], 0x80000000, v[50:51]
	v_fmac_f64_e32 v[94:95], v[22:23], v[50:51]
	v_fmac_f64_e32 v[96:97], 0x80000000, v[50:51]
	v_fmac_f64_e32 v[92:93], v[16:17], v[50:51]
	v_fmac_f64_e32 v[86:87], 0x80000000, v[50:51]
	v_fmac_f64_e32 v[88:89], v[18:19], v[50:51]
	;; [unrolled: 17-line block ×3, first 2 shown]
	s_waitcnt vmcnt(1)
	v_fmac_f64_e32 v[100:101], v[32:33], v[56:57]
	v_fmac_f64_e32 v[90:91], 0, v[56:57]
	;; [unrolled: 1-line block ×4, first 2 shown]
	s_waitcnt vmcnt(0)
	v_fmac_f64_e32 v[96:97], v[60:61], v[56:57]
	v_fmac_f64_e32 v[92:93], 0, v[56:57]
	;; [unrolled: 1-line block ×12, first 2 shown]
	s_andn2_b64 exec, exec, s[10:11]
	s_cbranch_execnz .LBB140_27
; %bb.28:
	s_or_b64 exec, exec, s[10:11]
.LBB140_29:
	s_or_b64 exec, exec, s[2:3]
	v_cmp_lt_u64_e32 vcc, 11, v[10:11]
	s_and_saveexec_b64 s[2:3], vcc
	s_cbranch_execz .LBB140_33
; %bb.30:
	v_lshl_add_u64 v[10:11], v[80:81], 2, s[8:9]
	v_lshl_add_u64 v[102:103], v[10:11], 0, 32
	s_mov_b64 s[8:9], 0
	s_mov_b64 s[10:11], 0x800
.LBB140_31:                             ; =>This Inner Loop Header: Depth=1
	global_load_dword v62, v[102:103], off offset:-32
	global_load_dwordx4 v[14:17], v[84:85], off offset:48
	global_load_dwordx4 v[22:25], v[84:85], off offset:32
	;; [unrolled: 1-line block ×3, first 2 shown]
	global_load_dwordx4 v[42:45], v[84:85], off
	global_load_dwordx4 v[18:21], v[84:85], off offset:112
	global_load_dwordx4 v[34:37], v[84:85], off offset:96
	;; [unrolled: 1-line block ×9, first 2 shown]
	global_load_dword v79, v[102:103], off offset:-16
	global_load_dword v110, v[102:103], off
	global_load_dword v1, v[102:103], off offset:16
	v_lshl_add_u64 v[80:81], v[80:81], 0, 16
	v_cmp_ge_i64_e32 vcc, v[80:81], v[82:83]
	v_lshl_add_u64 v[102:103], v[102:103], 0, 64
	s_or_b64 s[8:9], vcc, s[8:9]
	s_waitcnt vmcnt(16)
	v_subrev_u32_e32 v62, s12, v62
	v_lshlrev_b32_e32 v62, 2, v62
	v_ashrrev_i32_e32 v63, 31, v62
	s_waitcnt lgkmcnt(0)
	v_lshl_add_u64 v[108:109], v[62:63], 4, s[4:5]
	global_load_dwordx4 v[62:65], v[108:109], off
	global_load_dwordx4 v[104:107], v[108:109], off offset:16
	global_load_dwordx4 v[66:69], v[84:85], off offset:608
	;; [unrolled: 1-line block ×4, first 2 shown]
	s_waitcnt vmcnt(5)
	v_subrev_u32_e32 v1, s12, v1
	s_waitcnt vmcnt(4)
	v_fmac_f64_e32 v[90:91], 0, v[62:63]
	v_fmac_f64_e32 v[94:95], 0, v[62:63]
	;; [unrolled: 1-line block ×16, first 2 shown]
	s_waitcnt vmcnt(3)
	v_fmac_f64_e32 v[90:91], 0, v[104:105]
	v_fmac_f64_e32 v[94:95], 0, v[104:105]
	v_fmac_f64_e32 v[92:93], 0, v[104:105]
	v_fmac_f64_e32 v[88:89], 0, v[104:105]
	v_fmac_f64_e32 v[100:101], v[22:23], v[104:105]
	v_fmac_f64_e32 v[98:99], v[24:25], v[104:105]
	v_fmac_f64_e32 v[90:91], v[22:23], v[106:107]
	v_fmac_f64_e32 v[94:95], v[24:25], v[106:107]
	global_load_dwordx4 v[22:25], v[84:85], off offset:1072
	v_fmac_f64_e32 v[96:97], v[14:15], v[104:105]
	v_fmac_f64_e32 v[86:87], v[16:17], v[104:105]
	v_fmac_f64_e32 v[92:93], v[14:15], v[106:107]
	v_fmac_f64_e32 v[88:89], v[16:17], v[106:107]
	global_load_dwordx4 v[14:17], v[84:85], off offset:1056
	global_load_dwordx4 v[30:33], v[108:109], off offset:32
	;; [unrolled: 1-line block ×3, first 2 shown]
	v_fmac_f64_e32 v[96:97], 0x80000000, v[106:107]
	v_fmac_f64_e32 v[86:87], 0x80000000, v[106:107]
	;; [unrolled: 1-line block ×4, first 2 shown]
	global_load_dwordx4 v[62:65], v[84:85], off offset:1024
	s_waitcnt vmcnt(2)
	v_fmac_f64_e32 v[92:93], 0, v[30:31]
	v_fmac_f64_e32 v[96:97], v[46:47], v[30:31]
	;; [unrolled: 1-line block ×3, first 2 shown]
	v_subrev_u32_e32 v46, s12, v79
	v_fmac_f64_e32 v[88:89], 0, v[30:31]
	v_lshlrev_b32_e32 v46, 2, v46
	v_fmac_f64_e32 v[86:87], v[48:49], v[30:31]
	v_fmac_f64_e32 v[88:89], v[48:49], v[32:33]
	v_ashrrev_i32_e32 v47, 31, v46
	v_fmac_f64_e32 v[96:97], 0x80000000, v[32:33]
	v_fmac_f64_e32 v[86:87], 0x80000000, v[32:33]
	v_lshl_add_u64 v[108:109], v[46:47], 4, s[4:5]
	s_waitcnt vmcnt(1)
	v_fmac_f64_e32 v[92:93], 0, v[42:43]
	v_fmac_f64_e32 v[88:89], 0, v[42:43]
	;; [unrolled: 1-line block ×6, first 2 shown]
	global_load_dwordx4 v[18:21], v[108:109], off
	global_load_dwordx4 v[104:107], v[108:109], off offset:16
	v_fmac_f64_e32 v[100:101], v[54:55], v[30:31]
	v_fmac_f64_e32 v[90:91], 0, v[30:31]
	;; [unrolled: 1-line block ×18, first 2 shown]
	global_load_dwordx4 v[54:57], v[84:85], off offset:1040
	global_load_dwordx4 v[42:45], v[84:85], off offset:1104
	;; [unrolled: 1-line block ×5, first 2 shown]
	s_waitcnt vmcnt(6)
	v_fmac_f64_e32 v[92:93], 0, v[18:19]
	v_fmac_f64_e32 v[88:89], 0, v[18:19]
	;; [unrolled: 1-line block ×12, first 2 shown]
	s_waitcnt vmcnt(5)
	v_fmac_f64_e32 v[92:93], 0, v[104:105]
	v_fmac_f64_e32 v[88:89], 0, v[104:105]
	;; [unrolled: 1-line block ×10, first 2 shown]
	global_load_dwordx4 v[26:29], v[108:109], off offset:32
	v_fmac_f64_e32 v[100:101], v[38:39], v[104:105]
	v_fmac_f64_e32 v[90:91], 0, v[104:105]
	;; [unrolled: 1-line block ×10, first 2 shown]
	global_load_dwordx4 v[104:107], v[108:109], off offset:48
	global_load_dwordx4 v[50:53], v[84:85], off offset:1552
	;; [unrolled: 1-line block ×5, first 2 shown]
	s_waitcnt vmcnt(5)
	v_fmac_f64_e32 v[90:91], 0, v[26:27]
	v_fmac_f64_e32 v[100:101], v[74:75], v[26:27]
	;; [unrolled: 1-line block ×11, first 2 shown]
	s_waitcnt vmcnt(4)
	v_fmac_f64_e32 v[90:91], 0, v[104:105]
	v_fmac_f64_e32 v[100:101], v[66:67], v[104:105]
	;; [unrolled: 1-line block ×3, first 2 shown]
	v_subrev_u32_e32 v66, s12, v110
	v_lshlrev_b32_e32 v66, 2, v66
	v_ashrrev_i32_e32 v67, 31, v66
	v_fmac_f64_e32 v[86:87], 0x80000000, v[28:29]
	v_lshl_add_u64 v[74:75], v[66:67], 4, s[4:5]
	v_fmac_f64_e32 v[92:93], 0, v[104:105]
	v_fmac_f64_e32 v[88:89], 0, v[104:105]
	;; [unrolled: 1-line block ×6, first 2 shown]
	global_load_dwordx4 v[10:13], v[74:75], off
	v_fmac_f64_e32 v[94:95], 0, v[26:27]
	v_fmac_f64_e32 v[98:99], v[76:77], v[26:27]
	v_fmac_f64_e32 v[94:95], v[76:77], v[28:29]
	v_fmac_f64_e32 v[98:99], 0x80000000, v[28:29]
	v_fmac_f64_e32 v[94:95], 0, v[104:105]
	v_fmac_f64_e32 v[98:99], v[68:69], v[104:105]
	v_fmac_f64_e32 v[94:95], v[68:69], v[106:107]
	global_load_dwordx4 v[66:69], v[74:75], off offset:16
	v_fmac_f64_e32 v[100:101], 0x80000000, v[106:107]
	v_fmac_f64_e32 v[98:99], 0x80000000, v[106:107]
	;; [unrolled: 1-line block ×4, first 2 shown]
	global_load_dwordx4 v[70:73], v[84:85], off offset:1536
	global_load_dwordx4 v[26:29], v[84:85], off offset:1648
	s_waitcnt vmcnt(3)
	v_fmac_f64_e32 v[100:101], v[62:63], v[10:11]
	v_fmac_f64_e32 v[90:91], 0, v[10:11]
	;; [unrolled: 1-line block ×8, first 2 shown]
	v_lshlrev_b32_e32 v10, 2, v1
	v_ashrrev_i32_e32 v11, 31, v10
	v_fmac_f64_e32 v[90:91], v[62:63], v[12:13]
	v_fmac_f64_e32 v[94:95], v[64:65], v[12:13]
	;; [unrolled: 1-line block ×4, first 2 shown]
	v_lshl_add_u64 v[104:105], v[10:11], 4, s[4:5]
	v_fmac_f64_e32 v[100:101], 0x80000000, v[12:13]
	v_fmac_f64_e32 v[98:99], 0x80000000, v[12:13]
	;; [unrolled: 1-line block ×4, first 2 shown]
	global_load_dwordx4 v[10:13], v[74:75], off offset:32
	s_waitcnt vmcnt(3)
	v_fmac_f64_e32 v[90:91], 0, v[66:67]
	v_fmac_f64_e32 v[94:95], 0, v[66:67]
	;; [unrolled: 1-line block ×6, first 2 shown]
	global_load_dwordx4 v[14:17], v[74:75], off offset:48
	v_fmac_f64_e32 v[92:93], 0, v[66:67]
	v_fmac_f64_e32 v[88:89], 0, v[66:67]
	;; [unrolled: 1-line block ×6, first 2 shown]
	global_load_dwordx4 v[22:25], v[104:105], off
	v_fmac_f64_e32 v[100:101], 0x80000000, v[68:69]
	v_fmac_f64_e32 v[98:99], 0x80000000, v[68:69]
	;; [unrolled: 1-line block ×4, first 2 shown]
	global_load_dwordx4 v[66:69], v[104:105], off offset:16
	global_load_dwordx4 v[62:65], v[84:85], off offset:1616
	;; [unrolled: 1-line block ×3, first 2 shown]
	v_lshl_add_u64 v[84:85], v[84:85], 0, s[10:11]
	s_waitcnt vmcnt(5)
	v_fmac_f64_e32 v[90:91], 0, v[10:11]
	v_fmac_f64_e32 v[94:95], 0, v[10:11]
	;; [unrolled: 1-line block ×6, first 2 shown]
	global_load_dwordx4 v[46:49], v[104:105], off offset:32
	global_load_dwordx4 v[74:77], v[104:105], off offset:48
	v_fmac_f64_e32 v[96:97], v[42:43], v[10:11]
	v_fmac_f64_e32 v[92:93], 0, v[10:11]
	v_fmac_f64_e32 v[86:87], v[44:45], v[10:11]
	v_fmac_f64_e32 v[88:89], 0, v[10:11]
	v_fmac_f64_e32 v[92:93], v[42:43], v[12:13]
	v_fmac_f64_e32 v[88:89], v[44:45], v[12:13]
	v_fmac_f64_e32 v[100:101], 0x80000000, v[12:13]
	v_fmac_f64_e32 v[98:99], 0x80000000, v[12:13]
	v_fmac_f64_e32 v[96:97], 0x80000000, v[12:13]
	v_fmac_f64_e32 v[86:87], 0x80000000, v[12:13]
	s_waitcnt vmcnt(6)
	v_fmac_f64_e32 v[100:101], v[34:35], v[14:15]
	v_fmac_f64_e32 v[90:91], 0, v[14:15]
	v_fmac_f64_e32 v[98:99], v[36:37], v[14:15]
	v_fmac_f64_e32 v[94:95], 0, v[14:15]
	v_fmac_f64_e32 v[96:97], v[30:31], v[14:15]
	v_fmac_f64_e32 v[92:93], 0, v[14:15]
	v_fmac_f64_e32 v[86:87], v[32:33], v[14:15]
	v_fmac_f64_e32 v[88:89], 0, v[14:15]
	v_fmac_f64_e32 v[100:101], 0x80000000, v[16:17]
	v_fmac_f64_e32 v[90:91], v[34:35], v[16:17]
	v_fmac_f64_e32 v[98:99], 0x80000000, v[16:17]
	v_fmac_f64_e32 v[94:95], v[36:37], v[16:17]
	v_fmac_f64_e32 v[96:97], 0x80000000, v[16:17]
	v_fmac_f64_e32 v[92:93], v[30:31], v[16:17]
	v_fmac_f64_e32 v[86:87], 0x80000000, v[16:17]
	v_fmac_f64_e32 v[88:89], v[32:33], v[16:17]
	s_waitcnt vmcnt(5)
	v_fmac_f64_e32 v[100:101], v[70:71], v[22:23]
	v_fmac_f64_e32 v[90:91], 0, v[22:23]
	v_fmac_f64_e32 v[98:99], v[72:73], v[22:23]
	v_fmac_f64_e32 v[94:95], 0, v[22:23]
	v_fmac_f64_e32 v[96:97], v[50:51], v[22:23]
	v_fmac_f64_e32 v[92:93], 0, v[22:23]
	v_fmac_f64_e32 v[86:87], v[52:53], v[22:23]
	v_fmac_f64_e32 v[88:89], 0, v[22:23]
	v_fmac_f64_e32 v[100:101], 0x80000000, v[24:25]
	v_fmac_f64_e32 v[90:91], v[70:71], v[24:25]
	v_fmac_f64_e32 v[98:99], 0x80000000, v[24:25]
	v_fmac_f64_e32 v[94:95], v[72:73], v[24:25]
	v_fmac_f64_e32 v[96:97], 0x80000000, v[24:25]
	v_fmac_f64_e32 v[92:93], v[50:51], v[24:25]
	v_fmac_f64_e32 v[86:87], 0x80000000, v[24:25]
	v_fmac_f64_e32 v[88:89], v[52:53], v[24:25]
	s_waitcnt vmcnt(4)
	v_fmac_f64_e32 v[100:101], v[38:39], v[66:67]
	v_fmac_f64_e32 v[90:91], 0, v[66:67]
	v_fmac_f64_e32 v[98:99], v[40:41], v[66:67]
	v_fmac_f64_e32 v[94:95], 0, v[66:67]
	v_fmac_f64_e32 v[96:97], v[18:19], v[66:67]
	v_fmac_f64_e32 v[92:93], 0, v[66:67]
	v_fmac_f64_e32 v[86:87], v[20:21], v[66:67]
	v_fmac_f64_e32 v[88:89], 0, v[66:67]
	v_fmac_f64_e32 v[100:101], 0x80000000, v[68:69]
	v_fmac_f64_e32 v[90:91], v[38:39], v[68:69]
	v_fmac_f64_e32 v[98:99], 0x80000000, v[68:69]
	v_fmac_f64_e32 v[94:95], v[40:41], v[68:69]
	v_fmac_f64_e32 v[96:97], 0x80000000, v[68:69]
	v_fmac_f64_e32 v[92:93], v[18:19], v[68:69]
	v_fmac_f64_e32 v[86:87], 0x80000000, v[68:69]
	v_fmac_f64_e32 v[88:89], v[20:21], v[68:69]
	s_waitcnt vmcnt(1)
	v_fmac_f64_e32 v[100:101], v[54:55], v[46:47]
	v_fmac_f64_e32 v[90:91], 0, v[46:47]
	v_fmac_f64_e32 v[98:99], v[56:57], v[46:47]
	v_fmac_f64_e32 v[94:95], 0, v[46:47]
	v_fmac_f64_e32 v[96:97], v[62:63], v[46:47]
	v_fmac_f64_e32 v[92:93], 0, v[46:47]
	v_fmac_f64_e32 v[86:87], v[64:65], v[46:47]
	v_fmac_f64_e32 v[88:89], 0, v[46:47]
	v_fmac_f64_e32 v[100:101], 0x80000000, v[48:49]
	v_fmac_f64_e32 v[90:91], v[54:55], v[48:49]
	v_fmac_f64_e32 v[98:99], 0x80000000, v[48:49]
	v_fmac_f64_e32 v[94:95], v[56:57], v[48:49]
	v_fmac_f64_e32 v[96:97], 0x80000000, v[48:49]
	v_fmac_f64_e32 v[92:93], v[62:63], v[48:49]
	v_fmac_f64_e32 v[86:87], 0x80000000, v[48:49]
	v_fmac_f64_e32 v[88:89], v[64:65], v[48:49]
	s_waitcnt vmcnt(0)
	v_fmac_f64_e32 v[100:101], v[58:59], v[74:75]
	v_fmac_f64_e32 v[90:91], 0, v[74:75]
	v_fmac_f64_e32 v[98:99], v[60:61], v[74:75]
	v_fmac_f64_e32 v[94:95], 0, v[74:75]
	v_fmac_f64_e32 v[96:97], v[26:27], v[74:75]
	v_fmac_f64_e32 v[92:93], 0, v[74:75]
	v_fmac_f64_e32 v[86:87], v[28:29], v[74:75]
	v_fmac_f64_e32 v[88:89], 0, v[74:75]
	;; [unrolled: 1-line block ×10, first 2 shown]
	s_andn2_b64 exec, exec, s[8:9]
	s_cbranch_execnz .LBB140_31
; %bb.32:
	s_or_b64 exec, exec, s[8:9]
.LBB140_33:
	s_or_b64 exec, exec, s[2:3]
.LBB140_34:
	s_or_b64 exec, exec, s[6:7]
.LBB140_35:
	v_mov_b32_dpp v10, v100 row_shr:1 row_mask:0xf bank_mask:0xf
	v_mov_b32_dpp v11, v101 row_shr:1 row_mask:0xf bank_mask:0xf
	;; [unrolled: 1-line block ×16, first 2 shown]
	v_add_f64 v[10:11], v[100:101], v[10:11]
	v_add_f64 v[14:15], v[90:91], v[14:15]
	;; [unrolled: 1-line block ×8, first 2 shown]
	v_mov_b32_dpp v12, v10 row_shr:2 row_mask:0xf bank_mask:0xf
	v_mov_b32_dpp v13, v11 row_shr:2 row_mask:0xf bank_mask:0xf
	;; [unrolled: 1-line block ×16, first 2 shown]
	v_cmp_eq_u32_e32 vcc, 3, v0
	s_and_b64 exec, exec, vcc
	s_cbranch_execz .LBB140_8
; %bb.36:
	s_load_dwordx2 s[2:3], s[0:1], 0x60
	v_add_f64 v[0:1], v[10:11], v[12:13]
	v_add_f64 v[10:11], v[14:15], v[16:17]
	v_add_f64 v[12:13], v[22:23], v[24:25]
	v_add_f64 v[16:17], v[30:31], v[32:33]
	v_add_f64 v[30:31], v[38:39], v[40:41]
	v_add_f64 v[42:43], v[18:19], v[20:21]
	v_add_f64 v[26:27], v[26:27], v[28:29]
	v_add_f64 v[28:29], v[34:35], v[36:37]
	v_cmp_eq_f64_e32 vcc, 0, v[2:3]
	v_cmp_eq_f64_e64 s[0:1], 0, v[4:5]
	v_mul_f64 v[22:23], v[10:11], -v[8:9]
	v_mul_f64 v[24:25], v[6:7], v[10:11]
	v_mul_f64 v[18:19], v[12:13], -v[8:9]
	v_mul_f64 v[20:21], v[6:7], v[12:13]
	;; [unrolled: 2-line block ×4, first 2 shown]
	s_and_b64 s[0:1], vcc, s[0:1]
	v_fmac_f64_e32 v[22:23], v[6:7], v[0:1]
	v_fmac_f64_e32 v[24:25], v[8:9], v[0:1]
	v_lshlrev_b32_e32 v0, 2, v78
	v_fmac_f64_e32 v[18:19], v[6:7], v[42:43]
	v_fmac_f64_e32 v[20:21], v[8:9], v[42:43]
	;; [unrolled: 1-line block ×6, first 2 shown]
	s_waitcnt lgkmcnt(0)
	s_and_saveexec_b64 s[4:5], s[0:1]
	s_xor_b64 s[0:1], exec, s[4:5]
	s_cbranch_execz .LBB140_38
; %bb.37:
	v_ashrrev_i32_e32 v1, 31, v0
	v_lshl_add_u64 v[0:1], v[0:1], 4, s[2:3]
	global_store_dwordx4 v[0:1], v[22:25], off
	global_store_dwordx4 v[0:1], v[18:21], off offset:16
	global_store_dwordx4 v[0:1], v[14:17], off offset:32
	;; [unrolled: 1-line block ×3, first 2 shown]
                                        ; implicit-def: $vgpr4_vgpr5
                                        ; implicit-def: $vgpr22_vgpr23
                                        ; implicit-def: $vgpr0
                                        ; implicit-def: $vgpr18_vgpr19
                                        ; implicit-def: $vgpr14_vgpr15
                                        ; implicit-def: $vgpr10_vgpr11
.LBB140_38:
	s_andn2_saveexec_b64 s[0:1], s[0:1]
	s_cbranch_execz .LBB140_8
; %bb.39:
	v_ashrrev_i32_e32 v1, 31, v0
	v_lshl_add_u64 v[0:1], v[0:1], 4, s[2:3]
	global_load_dwordx4 v[6:9], v[0:1], off
	global_load_dwordx4 v[26:29], v[0:1], off offset:16
	global_load_dwordx4 v[30:33], v[0:1], off offset:32
	;; [unrolled: 1-line block ×3, first 2 shown]
	s_waitcnt vmcnt(3)
	v_fmac_f64_e32 v[22:23], v[2:3], v[6:7]
	v_fmac_f64_e32 v[24:25], v[4:5], v[6:7]
	s_waitcnt vmcnt(2)
	v_fmac_f64_e32 v[18:19], v[2:3], v[26:27]
	v_fmac_f64_e32 v[20:21], v[4:5], v[26:27]
	;; [unrolled: 3-line block ×4, first 2 shown]
	v_fma_f64 v[22:23], -v[4:5], v[8:9], v[22:23]
	v_fmac_f64_e32 v[24:25], v[2:3], v[8:9]
	v_fma_f64 v[18:19], -v[4:5], v[28:29], v[18:19]
	v_fmac_f64_e32 v[20:21], v[2:3], v[28:29]
	;; [unrolled: 2-line block ×4, first 2 shown]
	global_store_dwordx4 v[0:1], v[22:25], off
	global_store_dwordx4 v[0:1], v[18:21], off offset:16
	global_store_dwordx4 v[0:1], v[14:17], off offset:32
	;; [unrolled: 1-line block ×3, first 2 shown]
	s_endpgm
	.section	.rodata,"a",@progbits
	.p2align	6, 0x0
	.amdhsa_kernel _ZN9rocsparseL18bsrxmvn_4x4_kernelILj128ELj4E21rocsparse_complex_numIdElidS2_S2_EEvT3_20rocsparse_direction_NS_24const_host_device_scalarIT1_EES3_PKS3_PKT2_SC_S9_PKT4_PKT5_S7_PT6_21rocsparse_index_base_b
		.amdhsa_group_segment_fixed_size 0
		.amdhsa_private_segment_fixed_size 0
		.amdhsa_kernarg_size 112
		.amdhsa_user_sgpr_count 2
		.amdhsa_user_sgpr_dispatch_ptr 0
		.amdhsa_user_sgpr_queue_ptr 0
		.amdhsa_user_sgpr_kernarg_segment_ptr 1
		.amdhsa_user_sgpr_dispatch_id 0
		.amdhsa_user_sgpr_kernarg_preload_length 0
		.amdhsa_user_sgpr_kernarg_preload_offset 0
		.amdhsa_user_sgpr_private_segment_size 0
		.amdhsa_uses_dynamic_stack 0
		.amdhsa_enable_private_segment 0
		.amdhsa_system_sgpr_workgroup_id_x 1
		.amdhsa_system_sgpr_workgroup_id_y 0
		.amdhsa_system_sgpr_workgroup_id_z 0
		.amdhsa_system_sgpr_workgroup_info 0
		.amdhsa_system_vgpr_workitem_id 0
		.amdhsa_next_free_vgpr 111
		.amdhsa_next_free_sgpr 18
		.amdhsa_accum_offset 112
		.amdhsa_reserve_vcc 1
		.amdhsa_float_round_mode_32 0
		.amdhsa_float_round_mode_16_64 0
		.amdhsa_float_denorm_mode_32 3
		.amdhsa_float_denorm_mode_16_64 3
		.amdhsa_dx10_clamp 1
		.amdhsa_ieee_mode 1
		.amdhsa_fp16_overflow 0
		.amdhsa_tg_split 0
		.amdhsa_exception_fp_ieee_invalid_op 0
		.amdhsa_exception_fp_denorm_src 0
		.amdhsa_exception_fp_ieee_div_zero 0
		.amdhsa_exception_fp_ieee_overflow 0
		.amdhsa_exception_fp_ieee_underflow 0
		.amdhsa_exception_fp_ieee_inexact 0
		.amdhsa_exception_int_div_zero 0
	.end_amdhsa_kernel
	.section	.text._ZN9rocsparseL18bsrxmvn_4x4_kernelILj128ELj4E21rocsparse_complex_numIdElidS2_S2_EEvT3_20rocsparse_direction_NS_24const_host_device_scalarIT1_EES3_PKS3_PKT2_SC_S9_PKT4_PKT5_S7_PT6_21rocsparse_index_base_b,"axG",@progbits,_ZN9rocsparseL18bsrxmvn_4x4_kernelILj128ELj4E21rocsparse_complex_numIdElidS2_S2_EEvT3_20rocsparse_direction_NS_24const_host_device_scalarIT1_EES3_PKS3_PKT2_SC_S9_PKT4_PKT5_S7_PT6_21rocsparse_index_base_b,comdat
.Lfunc_end140:
	.size	_ZN9rocsparseL18bsrxmvn_4x4_kernelILj128ELj4E21rocsparse_complex_numIdElidS2_S2_EEvT3_20rocsparse_direction_NS_24const_host_device_scalarIT1_EES3_PKS3_PKT2_SC_S9_PKT4_PKT5_S7_PT6_21rocsparse_index_base_b, .Lfunc_end140-_ZN9rocsparseL18bsrxmvn_4x4_kernelILj128ELj4E21rocsparse_complex_numIdElidS2_S2_EEvT3_20rocsparse_direction_NS_24const_host_device_scalarIT1_EES3_PKS3_PKT2_SC_S9_PKT4_PKT5_S7_PT6_21rocsparse_index_base_b
                                        ; -- End function
	.set _ZN9rocsparseL18bsrxmvn_4x4_kernelILj128ELj4E21rocsparse_complex_numIdElidS2_S2_EEvT3_20rocsparse_direction_NS_24const_host_device_scalarIT1_EES3_PKS3_PKT2_SC_S9_PKT4_PKT5_S7_PT6_21rocsparse_index_base_b.num_vgpr, 111
	.set _ZN9rocsparseL18bsrxmvn_4x4_kernelILj128ELj4E21rocsparse_complex_numIdElidS2_S2_EEvT3_20rocsparse_direction_NS_24const_host_device_scalarIT1_EES3_PKS3_PKT2_SC_S9_PKT4_PKT5_S7_PT6_21rocsparse_index_base_b.num_agpr, 0
	.set _ZN9rocsparseL18bsrxmvn_4x4_kernelILj128ELj4E21rocsparse_complex_numIdElidS2_S2_EEvT3_20rocsparse_direction_NS_24const_host_device_scalarIT1_EES3_PKS3_PKT2_SC_S9_PKT4_PKT5_S7_PT6_21rocsparse_index_base_b.numbered_sgpr, 18
	.set _ZN9rocsparseL18bsrxmvn_4x4_kernelILj128ELj4E21rocsparse_complex_numIdElidS2_S2_EEvT3_20rocsparse_direction_NS_24const_host_device_scalarIT1_EES3_PKS3_PKT2_SC_S9_PKT4_PKT5_S7_PT6_21rocsparse_index_base_b.num_named_barrier, 0
	.set _ZN9rocsparseL18bsrxmvn_4x4_kernelILj128ELj4E21rocsparse_complex_numIdElidS2_S2_EEvT3_20rocsparse_direction_NS_24const_host_device_scalarIT1_EES3_PKS3_PKT2_SC_S9_PKT4_PKT5_S7_PT6_21rocsparse_index_base_b.private_seg_size, 0
	.set _ZN9rocsparseL18bsrxmvn_4x4_kernelILj128ELj4E21rocsparse_complex_numIdElidS2_S2_EEvT3_20rocsparse_direction_NS_24const_host_device_scalarIT1_EES3_PKS3_PKT2_SC_S9_PKT4_PKT5_S7_PT6_21rocsparse_index_base_b.uses_vcc, 1
	.set _ZN9rocsparseL18bsrxmvn_4x4_kernelILj128ELj4E21rocsparse_complex_numIdElidS2_S2_EEvT3_20rocsparse_direction_NS_24const_host_device_scalarIT1_EES3_PKS3_PKT2_SC_S9_PKT4_PKT5_S7_PT6_21rocsparse_index_base_b.uses_flat_scratch, 0
	.set _ZN9rocsparseL18bsrxmvn_4x4_kernelILj128ELj4E21rocsparse_complex_numIdElidS2_S2_EEvT3_20rocsparse_direction_NS_24const_host_device_scalarIT1_EES3_PKS3_PKT2_SC_S9_PKT4_PKT5_S7_PT6_21rocsparse_index_base_b.has_dyn_sized_stack, 0
	.set _ZN9rocsparseL18bsrxmvn_4x4_kernelILj128ELj4E21rocsparse_complex_numIdElidS2_S2_EEvT3_20rocsparse_direction_NS_24const_host_device_scalarIT1_EES3_PKS3_PKT2_SC_S9_PKT4_PKT5_S7_PT6_21rocsparse_index_base_b.has_recursion, 0
	.set _ZN9rocsparseL18bsrxmvn_4x4_kernelILj128ELj4E21rocsparse_complex_numIdElidS2_S2_EEvT3_20rocsparse_direction_NS_24const_host_device_scalarIT1_EES3_PKS3_PKT2_SC_S9_PKT4_PKT5_S7_PT6_21rocsparse_index_base_b.has_indirect_call, 0
	.section	.AMDGPU.csdata,"",@progbits
; Kernel info:
; codeLenInByte = 6708
; TotalNumSgprs: 24
; NumVgprs: 111
; NumAgprs: 0
; TotalNumVgprs: 111
; ScratchSize: 0
; MemoryBound: 0
; FloatMode: 240
; IeeeMode: 1
; LDSByteSize: 0 bytes/workgroup (compile time only)
; SGPRBlocks: 2
; VGPRBlocks: 13
; NumSGPRsForWavesPerEU: 24
; NumVGPRsForWavesPerEU: 111
; AccumOffset: 112
; Occupancy: 4
; WaveLimiterHint : 1
; COMPUTE_PGM_RSRC2:SCRATCH_EN: 0
; COMPUTE_PGM_RSRC2:USER_SGPR: 2
; COMPUTE_PGM_RSRC2:TRAP_HANDLER: 0
; COMPUTE_PGM_RSRC2:TGID_X_EN: 1
; COMPUTE_PGM_RSRC2:TGID_Y_EN: 0
; COMPUTE_PGM_RSRC2:TGID_Z_EN: 0
; COMPUTE_PGM_RSRC2:TIDIG_COMP_CNT: 0
; COMPUTE_PGM_RSRC3_GFX90A:ACCUM_OFFSET: 27
; COMPUTE_PGM_RSRC3_GFX90A:TG_SPLIT: 0
	.section	.text._ZN9rocsparseL18bsrxmvn_4x4_kernelILj128ELj8E21rocsparse_complex_numIdElidS2_S2_EEvT3_20rocsparse_direction_NS_24const_host_device_scalarIT1_EES3_PKS3_PKT2_SC_S9_PKT4_PKT5_S7_PT6_21rocsparse_index_base_b,"axG",@progbits,_ZN9rocsparseL18bsrxmvn_4x4_kernelILj128ELj8E21rocsparse_complex_numIdElidS2_S2_EEvT3_20rocsparse_direction_NS_24const_host_device_scalarIT1_EES3_PKS3_PKT2_SC_S9_PKT4_PKT5_S7_PT6_21rocsparse_index_base_b,comdat
	.globl	_ZN9rocsparseL18bsrxmvn_4x4_kernelILj128ELj8E21rocsparse_complex_numIdElidS2_S2_EEvT3_20rocsparse_direction_NS_24const_host_device_scalarIT1_EES3_PKS3_PKT2_SC_S9_PKT4_PKT5_S7_PT6_21rocsparse_index_base_b ; -- Begin function _ZN9rocsparseL18bsrxmvn_4x4_kernelILj128ELj8E21rocsparse_complex_numIdElidS2_S2_EEvT3_20rocsparse_direction_NS_24const_host_device_scalarIT1_EES3_PKS3_PKT2_SC_S9_PKT4_PKT5_S7_PT6_21rocsparse_index_base_b
	.p2align	8
	.type	_ZN9rocsparseL18bsrxmvn_4x4_kernelILj128ELj8E21rocsparse_complex_numIdElidS2_S2_EEvT3_20rocsparse_direction_NS_24const_host_device_scalarIT1_EES3_PKS3_PKT2_SC_S9_PKT4_PKT5_S7_PT6_21rocsparse_index_base_b,@function
_ZN9rocsparseL18bsrxmvn_4x4_kernelILj128ELj8E21rocsparse_complex_numIdElidS2_S2_EEvT3_20rocsparse_direction_NS_24const_host_device_scalarIT1_EES3_PKS3_PKT2_SC_S9_PKT4_PKT5_S7_PT6_21rocsparse_index_base_b: ; @_ZN9rocsparseL18bsrxmvn_4x4_kernelILj128ELj8E21rocsparse_complex_numIdElidS2_S2_EEvT3_20rocsparse_direction_NS_24const_host_device_scalarIT1_EES3_PKS3_PKT2_SC_S9_PKT4_PKT5_S7_PT6_21rocsparse_index_base_b
; %bb.0:
	s_load_dwordx2 s[4:5], s[0:1], 0x8
	s_load_dwordx2 s[12:13], s[0:1], 0x68
	s_add_u32 s3, s0, 8
	s_addc_u32 s8, s1, 0
	s_add_u32 s9, s0, 0x50
	s_load_dwordx2 s[6:7], s[0:1], 0x50
	s_addc_u32 s10, s1, 0
	s_waitcnt lgkmcnt(0)
	s_bitcmp1_b32 s13, 0
	s_cselect_b32 s5, s8, s5
	s_cselect_b32 s3, s3, s4
	v_mov_b32_e32 v2, s3
	v_mov_b32_e32 v3, s5
	flat_load_dwordx4 v[6:9], v[2:3]
	s_cselect_b32 s3, s10, s7
	s_cselect_b32 s4, s9, s6
	v_mov_b32_e32 v2, s4
	v_mov_b32_e32 v3, s3
	flat_load_dwordx4 v[2:5], v[2:3]
	s_waitcnt vmcnt(0) lgkmcnt(0)
	v_cmp_eq_f64_e32 vcc, 0, v[6:7]
	v_cmp_eq_f64_e64 s[4:5], 0, v[8:9]
	s_and_b64 s[8:9], vcc, s[4:5]
	s_mov_b64 s[4:5], -1
	s_and_saveexec_b64 s[6:7], s[8:9]
; %bb.1:
	v_cmp_neq_f64_e32 vcc, 1.0, v[2:3]
	v_cmp_neq_f64_e64 s[4:5], 0, v[4:5]
	s_or_b64 s[4:5], vcc, s[4:5]
	s_orn2_b64 s[4:5], s[4:5], exec
; %bb.2:
	s_or_b64 exec, exec, s[6:7]
	s_and_saveexec_b64 s[6:7], s[4:5]
	s_cbranch_execz .LBB141_8
; %bb.3:
	s_load_dwordx2 s[4:5], s[0:1], 0x20
	s_load_dwordx2 s[14:15], s[0:1], 0x0
	v_lshrrev_b32_e32 v1, 3, v0
	v_lshl_or_b32 v78, s2, 4, v1
	s_mov_b64 s[2:3], 0
	s_waitcnt lgkmcnt(0)
	s_cmp_lg_u64 s[4:5], 0
	s_cbranch_scc0 .LBB141_9
; %bb.4:
	s_load_dword s6, s[0:1], 0x18
                                        ; implicit-def: $vgpr1
	s_waitcnt lgkmcnt(0)
	v_cmp_gt_i32_e32 vcc, s6, v78
	s_and_saveexec_b64 s[6:7], vcc
	s_xor_b64 s[6:7], exec, s[6:7]
	s_cbranch_execz .LBB141_6
; %bb.5:
	v_ashrrev_i32_e32 v79, 31, v78
	v_lshl_add_u64 v[10:11], v[78:79], 2, s[4:5]
	global_load_dword v1, v[10:11], off
	s_mov_b64 s[2:3], exec
	s_waitcnt vmcnt(0)
	v_subrev_u32_e32 v1, s12, v1
.LBB141_6:
	s_or_b64 exec, exec, s[6:7]
	s_branch .LBB141_10
.LBB141_7:
	v_cmp_gt_i32_e32 vcc, s14, v78
	s_andn2_b64 s[2:3], s[2:3], exec
	s_and_b64 s[4:5], vcc, exec
	s_or_b64 s[2:3], s[2:3], s[4:5]
	s_and_b64 exec, exec, s[2:3]
	s_cbranch_execnz .LBB141_11
.LBB141_8:
	s_endpgm
.LBB141_9:
                                        ; implicit-def: $vgpr1
	s_cbranch_execnz .LBB141_7
.LBB141_10:
	v_mov_b32_e32 v78, v1
	s_and_b64 exec, exec, s[2:3]
	s_cbranch_execz .LBB141_8
.LBB141_11:
	s_load_dwordx8 s[4:11], s[0:1], 0x28
	v_ashrrev_i32_e32 v79, 31, v78
	v_lshlrev_b64 v[10:11], 3, v[78:79]
	v_and_b32_e32 v0, 7, v0
	v_mov_b32_e32 v1, 0
	s_waitcnt lgkmcnt(0)
	v_lshl_add_u64 v[12:13], s[4:5], 0, v[10:11]
	s_cmp_eq_u64 s[6:7], 0
	v_lshl_add_u64 v[10:11], s[6:7], 0, v[10:11]
	global_load_dwordx2 v[26:27], v[12:13], off
	v_lshl_add_u64 v[12:13], v[12:13], 0, 8
	s_cselect_b64 vcc, -1, 0
	v_cndmask_b32_e32 v11, v11, v13, vcc
	v_cndmask_b32_e32 v10, v10, v12, vcc
	global_load_dwordx2 v[10:11], v[10:11], off
	s_load_dwordx2 s[4:5], s[0:1], 0x48
	s_cmp_eq_u32 s15, 1
	s_waitcnt vmcnt(1)
	v_subrev_co_u32_e32 v12, vcc, s12, v26
	s_nop 1
	v_subbrev_co_u32_e32 v13, vcc, 0, v27, vcc
	v_lshl_add_u64 v[80:81], v[12:13], 0, v[0:1]
	s_waitcnt vmcnt(0)
	v_subrev_co_u32_e32 v82, vcc, s12, v10
	s_nop 1
	v_subbrev_co_u32_e32 v83, vcc, 0, v11, vcc
	v_lshlrev_b64 v[10:11], 7, v[80:81]
	v_lshl_add_u64 v[86:87], s[10:11], 0, v[10:11]
	v_cmp_lt_i64_e64 s[2:3], v[80:81], v[82:83]
	s_cbranch_scc1 .LBB141_23
; %bb.12:
	v_mov_b64_e32 v[96:97], 0
	v_mov_b64_e32 v[100:101], 0
	;; [unrolled: 1-line block ×8, first 2 shown]
	s_and_saveexec_b64 s[6:7], s[2:3]
	s_cbranch_execz .LBB141_22
; %bb.13:
	v_or_b32_e32 v1, 8, v0
	v_subrev_co_u32_e32 v10, vcc, s12, v1
	v_not_b32_e32 v13, v27
	s_nop 0
	v_subb_co_u32_e64 v11, s[10:11], 0, 0, vcc
	v_lshl_add_u64 v[10:11], v[10:11], 0, v[26:27]
	v_cmp_gt_i64_e32 vcc, v[10:11], v[82:83]
	v_not_b32_e32 v12, v26
	v_mov_b64_e32 v[84:85], 0
	v_cndmask_b32_e32 v11, v83, v11, vcc
	v_cndmask_b32_e32 v10, v82, v10, vcc
	v_sub_co_u32_e32 v14, vcc, s12, v0
	v_mov_b64_e32 v[88:89], 0
	s_nop 0
	v_subb_co_u32_e64 v15, s[10:11], 0, 0, vcc
	v_lshl_add_u64 v[12:13], v[14:15], 0, v[12:13]
	v_lshl_add_u64 v[22:23], v[12:13], 0, v[10:11]
	v_and_b32_e32 v10, 24, v22
	v_mov_b32_e32 v11, 0
	v_cmp_ne_u64_e32 vcc, 24, v[10:11]
	v_mov_b64_e32 v[92:93], 0
	v_mov_b64_e32 v[90:91], 0
	v_mov_b64_e32 v[98:99], 0
	v_mov_b64_e32 v[94:95], 0
	v_mov_b64_e32 v[100:101], 0
	v_mov_b64_e32 v[96:97], 0
	v_mov_b64_e32 v[28:29], v[86:87]
	v_mov_b64_e32 v[30:31], v[80:81]
	s_and_saveexec_b64 s[10:11], vcc
	s_cbranch_execz .LBB141_17
; %bb.14:
	v_lshrrev_b32_e32 v1, 3, v22
	v_add_u32_e32 v1, 1, v1
	v_and_b32_e32 v1, 3, v1
	v_sub_co_u32_e32 v32, vcc, 0, v1
	v_lshl_add_u64 v[24:25], v[80:81], 2, s[8:9]
	s_nop 0
	v_subb_co_u32_e64 v33, s[16:17], 0, 0, vcc
	s_mov_b64 s[14:15], 0
	v_mov_b64_e32 v[96:97], 0
	s_mov_b64 s[16:17], 0x400
	v_mov_b64_e32 v[30:31], v[80:81]
	v_mov_b64_e32 v[28:29], v[86:87]
	;; [unrolled: 1-line block ×9, first 2 shown]
.LBB141_15:                             ; =>This Inner Loop Header: Depth=1
	global_load_dword v1, v[24:25], off
	global_load_dwordx4 v[10:13], v[28:29], off offset:48
	global_load_dwordx4 v[18:21], v[28:29], off offset:32
	;; [unrolled: 1-line block ×3, first 2 shown]
	global_load_dwordx4 v[34:37], v[28:29], off
	global_load_dwordx4 v[38:41], v[28:29], off offset:112
	global_load_dwordx4 v[42:45], v[28:29], off offset:96
	;; [unrolled: 1-line block ×4, first 2 shown]
	v_lshl_add_u64 v[32:33], v[32:33], 0, 1
	v_cmp_eq_u64_e32 vcc, 0, v[32:33]
	v_lshl_add_u64 v[28:29], v[28:29], 0, s[16:17]
	v_lshl_add_u64 v[30:31], v[30:31], 0, 8
	;; [unrolled: 1-line block ×3, first 2 shown]
	s_or_b64 s[14:15], vcc, s[14:15]
	s_waitcnt vmcnt(8)
	v_subrev_u32_e32 v1, s12, v1
	v_lshlrev_b32_e32 v54, 2, v1
	v_ashrrev_i32_e32 v55, 31, v54
	s_waitcnt lgkmcnt(0)
	v_lshl_add_u64 v[70:71], v[54:55], 4, s[4:5]
	global_load_dwordx4 v[54:57], v[70:71], off
	global_load_dwordx4 v[58:61], v[70:71], off offset:16
	global_load_dwordx4 v[62:65], v[70:71], off offset:32
	global_load_dwordx4 v[66:69], v[70:71], off offset:48
	s_waitcnt vmcnt(3)
	v_fmac_f64_e32 v[100:101], v[34:35], v[54:55]
	v_fmac_f64_e32 v[96:97], 0, v[54:55]
	v_fmac_f64_e32 v[98:99], v[18:19], v[54:55]
	v_fmac_f64_e32 v[94:95], 0, v[54:55]
	v_fmac_f64_e32 v[92:93], v[46:47], v[54:55]
	v_fmac_f64_e32 v[90:91], 0, v[54:55]
	v_fmac_f64_e32 v[84:85], v[42:43], v[54:55]
	v_fmac_f64_e32 v[88:89], 0, v[54:55]
	v_fmac_f64_e32 v[100:101], 0x80000000, v[56:57]
	v_fmac_f64_e32 v[96:97], v[34:35], v[56:57]
	v_fmac_f64_e32 v[98:99], 0x80000000, v[56:57]
	v_fmac_f64_e32 v[94:95], v[18:19], v[56:57]
	v_fmac_f64_e32 v[92:93], 0x80000000, v[56:57]
	v_fmac_f64_e32 v[90:91], v[46:47], v[56:57]
	v_fmac_f64_e32 v[84:85], 0x80000000, v[56:57]
	v_fmac_f64_e32 v[88:89], v[42:43], v[56:57]
	s_waitcnt vmcnt(2)
	v_fmac_f64_e32 v[100:101], v[36:37], v[58:59]
	v_fmac_f64_e32 v[96:97], 0, v[58:59]
	v_fmac_f64_e32 v[98:99], v[20:21], v[58:59]
	v_fmac_f64_e32 v[94:95], 0, v[58:59]
	v_fmac_f64_e32 v[92:93], v[48:49], v[58:59]
	v_fmac_f64_e32 v[90:91], 0, v[58:59]
	v_fmac_f64_e32 v[84:85], v[44:45], v[58:59]
	v_fmac_f64_e32 v[88:89], 0, v[58:59]
	v_fmac_f64_e32 v[96:97], v[36:37], v[60:61]
	v_fmac_f64_e32 v[94:95], v[20:21], v[60:61]
	v_fmac_f64_e32 v[100:101], 0x80000000, v[60:61]
	v_fmac_f64_e32 v[98:99], 0x80000000, v[60:61]
	v_fmac_f64_e32 v[92:93], 0x80000000, v[60:61]
	v_fmac_f64_e32 v[90:91], v[48:49], v[60:61]
	v_fmac_f64_e32 v[84:85], 0x80000000, v[60:61]
	v_fmac_f64_e32 v[88:89], v[44:45], v[60:61]
	;; [unrolled: 17-line block ×4, first 2 shown]
	s_andn2_b64 exec, exec, s[14:15]
	s_cbranch_execnz .LBB141_15
; %bb.16:
	s_or_b64 exec, exec, s[14:15]
.LBB141_17:
	s_or_b64 exec, exec, s[10:11]
	v_cmp_lt_u64_e32 vcc, 23, v[22:23]
	s_and_saveexec_b64 s[10:11], vcc
	s_cbranch_execz .LBB141_21
; %bb.18:
	v_lshl_add_u64 v[10:11], v[30:31], 2, s[8:9]
	v_lshl_add_u64 v[32:33], v[10:11], 0, 64
	s_mov_b64 s[14:15], 0
	s_mov_b64 s[16:17], 0x1000
	;; [unrolled: 1-line block ×3, first 2 shown]
.LBB141_19:                             ; =>This Inner Loop Header: Depth=1
	global_load_dword v1, v[32:33], off offset:-64
	global_load_dwordx4 v[10:13], v[28:29], off offset:48
	global_load_dwordx4 v[14:17], v[28:29], off offset:32
	;; [unrolled: 1-line block ×3, first 2 shown]
	global_load_dwordx4 v[22:25], v[28:29], off
	v_lshl_add_u64 v[30:31], v[30:31], 0, 32
	v_cmp_ge_i64_e32 vcc, v[30:31], v[82:83]
	s_or_b64 s[14:15], vcc, s[14:15]
	s_waitcnt vmcnt(4)
	v_subrev_u32_e32 v1, s12, v1
	v_lshlrev_b32_e32 v34, 2, v1
	v_ashrrev_i32_e32 v35, 31, v34
	s_waitcnt lgkmcnt(0)
	v_lshl_add_u64 v[50:51], v[34:35], 4, s[4:5]
	global_load_dwordx4 v[34:37], v[50:51], off offset:48
	global_load_dwordx4 v[38:41], v[50:51], off offset:32
	;; [unrolled: 1-line block ×3, first 2 shown]
	global_load_dwordx4 v[46:49], v[50:51], off
	s_waitcnt vmcnt(0)
	v_fmac_f64_e32 v[96:97], 0, v[46:47]
	v_fmac_f64_e32 v[94:95], 0, v[46:47]
	;; [unrolled: 1-line block ×30, first 2 shown]
	global_load_dwordx4 v[10:13], v[28:29], off offset:112
	global_load_dwordx4 v[14:17], v[28:29], off offset:96
	global_load_dwordx4 v[18:21], v[28:29], off offset:80
	global_load_dwordx4 v[22:25], v[28:29], off offset:64
	global_load_dword v1, v[32:33], off offset:-32
	v_fmac_f64_e32 v[90:91], 0, v[46:47]
	v_fmac_f64_e32 v[88:89], 0, v[46:47]
	;; [unrolled: 1-line block ×4, first 2 shown]
	s_waitcnt vmcnt(3)
	v_fmac_f64_e32 v[84:85], v[14:15], v[46:47]
	v_fmac_f64_e32 v[84:85], 0x80000000, v[48:49]
	s_waitcnt vmcnt(1)
	v_fmac_f64_e32 v[92:93], v[22:23], v[46:47]
	v_fmac_f64_e32 v[92:93], 0x80000000, v[48:49]
	;; [unrolled: 1-line block ×20, first 2 shown]
	s_waitcnt vmcnt(0)
	v_subrev_u32_e32 v1, s12, v1
	v_fmac_f64_e32 v[92:93], v[20:21], v[34:35]
	v_fmac_f64_e32 v[90:91], 0, v[34:35]
	;; [unrolled: 1-line block ×4, first 2 shown]
	v_lshlrev_b32_e32 v34, 2, v1
	v_ashrrev_i32_e32 v35, 31, v34
	v_lshl_add_u64 v[50:51], v[34:35], 4, s[4:5]
	v_fmac_f64_e32 v[92:93], 0x80000000, v[36:37]
	v_fmac_f64_e32 v[90:91], v[20:21], v[36:37]
	;; [unrolled: 1-line block ×4, first 2 shown]
	global_load_dwordx4 v[10:13], v[28:29], off offset:1072
	global_load_dwordx4 v[14:17], v[28:29], off offset:1056
	;; [unrolled: 1-line block ×7, first 2 shown]
	global_load_dwordx4 v[46:49], v[50:51], off
	s_waitcnt vmcnt(0)
	v_fmac_f64_e32 v[96:97], 0, v[46:47]
	v_fmac_f64_e32 v[94:95], 0, v[46:47]
	;; [unrolled: 1-line block ×30, first 2 shown]
	global_load_dwordx4 v[10:13], v[28:29], off offset:1136
	global_load_dwordx4 v[14:17], v[28:29], off offset:1120
	;; [unrolled: 1-line block ×4, first 2 shown]
	global_load_dword v1, v[32:33], off
	v_fmac_f64_e32 v[90:91], 0, v[46:47]
	v_fmac_f64_e32 v[88:89], 0, v[46:47]
	;; [unrolled: 1-line block ×4, first 2 shown]
	s_waitcnt vmcnt(3)
	v_fmac_f64_e32 v[84:85], v[14:15], v[46:47]
	v_fmac_f64_e32 v[84:85], 0x80000000, v[48:49]
	s_waitcnt vmcnt(1)
	v_fmac_f64_e32 v[92:93], v[22:23], v[46:47]
	v_fmac_f64_e32 v[92:93], 0x80000000, v[48:49]
	;; [unrolled: 1-line block ×20, first 2 shown]
	s_waitcnt vmcnt(0)
	v_subrev_u32_e32 v1, s12, v1
	v_fmac_f64_e32 v[92:93], v[20:21], v[34:35]
	v_fmac_f64_e32 v[90:91], 0, v[34:35]
	;; [unrolled: 1-line block ×4, first 2 shown]
	v_lshlrev_b32_e32 v34, 2, v1
	v_ashrrev_i32_e32 v35, 31, v34
	v_lshl_add_u64 v[50:51], v[34:35], 4, s[4:5]
	v_fmac_f64_e32 v[92:93], 0x80000000, v[36:37]
	v_fmac_f64_e32 v[90:91], v[20:21], v[36:37]
	;; [unrolled: 1-line block ×4, first 2 shown]
	global_load_dwordx4 v[10:13], v[28:29], off offset:2096
	global_load_dwordx4 v[14:17], v[28:29], off offset:2080
	;; [unrolled: 1-line block ×7, first 2 shown]
	global_load_dwordx4 v[46:49], v[50:51], off
	s_waitcnt vmcnt(0)
	v_fmac_f64_e32 v[96:97], 0, v[46:47]
	v_fmac_f64_e32 v[94:95], 0, v[46:47]
	;; [unrolled: 1-line block ×30, first 2 shown]
	global_load_dwordx4 v[10:13], v[28:29], off offset:2160
	global_load_dwordx4 v[14:17], v[28:29], off offset:2144
	;; [unrolled: 1-line block ×4, first 2 shown]
	global_load_dword v1, v[32:33], off offset:32
	v_fmac_f64_e32 v[88:89], 0, v[46:47]
	v_fmac_f64_e32 v[90:91], 0, v[46:47]
	;; [unrolled: 1-line block ×4, first 2 shown]
	v_lshl_add_u64 v[32:33], v[32:33], 0, s[18:19]
	s_waitcnt vmcnt(3)
	v_fmac_f64_e32 v[84:85], v[14:15], v[46:47]
	v_fmac_f64_e32 v[88:89], v[14:15], v[48:49]
	s_waitcnt vmcnt(1)
	v_fmac_f64_e32 v[92:93], v[22:23], v[46:47]
	v_fmac_f64_e32 v[92:93], 0x80000000, v[48:49]
	v_fmac_f64_e32 v[90:91], v[22:23], v[48:49]
	v_fmac_f64_e32 v[84:85], 0x80000000, v[48:49]
	v_fmac_f64_e32 v[88:89], 0, v[42:43]
	v_fmac_f64_e32 v[92:93], v[24:25], v[42:43]
	v_fmac_f64_e32 v[90:91], 0, v[42:43]
	v_fmac_f64_e32 v[84:85], v[16:17], v[42:43]
	v_fmac_f64_e32 v[88:89], v[16:17], v[44:45]
	v_fmac_f64_e32 v[92:93], 0x80000000, v[44:45]
	v_fmac_f64_e32 v[90:91], v[24:25], v[44:45]
	v_fmac_f64_e32 v[84:85], 0x80000000, v[44:45]
	v_fmac_f64_e32 v[88:89], 0, v[38:39]
	s_waitcnt vmcnt(0)
	v_subrev_u32_e32 v1, s12, v1
	v_fmac_f64_e32 v[92:93], v[18:19], v[38:39]
	v_fmac_f64_e32 v[90:91], 0, v[38:39]
	;; [unrolled: 1-line block ×4, first 2 shown]
	v_lshlrev_b32_e32 v10, 2, v1
	v_fmac_f64_e32 v[92:93], 0x80000000, v[40:41]
	v_fmac_f64_e32 v[90:91], v[18:19], v[40:41]
	;; [unrolled: 1-line block ×3, first 2 shown]
	v_ashrrev_i32_e32 v11, 31, v10
	v_fmac_f64_e32 v[92:93], v[20:21], v[34:35]
	v_fmac_f64_e32 v[90:91], 0, v[34:35]
	;; [unrolled: 1-line block ×4, first 2 shown]
	v_lshl_add_u64 v[50:51], v[10:11], 4, s[4:5]
	v_fmac_f64_e32 v[92:93], 0x80000000, v[36:37]
	v_fmac_f64_e32 v[90:91], v[20:21], v[36:37]
	;; [unrolled: 1-line block ×4, first 2 shown]
	global_load_dwordx4 v[34:37], v[28:29], off offset:3120
	global_load_dwordx4 v[38:41], v[28:29], off offset:3104
	global_load_dwordx4 v[42:45], v[28:29], off offset:3088
	global_load_dwordx4 v[46:49], v[28:29], off offset:3072
	global_load_dwordx4 v[10:13], v[50:51], off offset:48
	global_load_dwordx4 v[14:17], v[50:51], off offset:32
	global_load_dwordx4 v[18:21], v[50:51], off offset:16
	global_load_dwordx4 v[22:25], v[50:51], off
	s_waitcnt vmcnt(0)
	v_fmac_f64_e32 v[96:97], 0, v[22:23]
	v_fmac_f64_e32 v[94:95], 0, v[22:23]
	;; [unrolled: 1-line block ×30, first 2 shown]
	global_load_dwordx4 v[34:37], v[28:29], off offset:3184
	global_load_dwordx4 v[38:41], v[28:29], off offset:3168
	;; [unrolled: 1-line block ×4, first 2 shown]
	v_fmac_f64_e32 v[90:91], 0, v[22:23]
	v_fmac_f64_e32 v[88:89], 0, v[22:23]
	;; [unrolled: 1-line block ×4, first 2 shown]
	v_lshl_add_u64 v[28:29], v[28:29], 0, s[16:17]
	s_waitcnt vmcnt(2)
	v_fmac_f64_e32 v[84:85], v[38:39], v[22:23]
	v_fmac_f64_e32 v[84:85], 0x80000000, v[24:25]
	s_waitcnt vmcnt(0)
	v_fmac_f64_e32 v[92:93], v[46:47], v[22:23]
	v_fmac_f64_e32 v[92:93], 0x80000000, v[24:25]
	;; [unrolled: 1-line block ×28, first 2 shown]
	s_andn2_b64 exec, exec, s[14:15]
	s_cbranch_execnz .LBB141_19
; %bb.20:
	s_or_b64 exec, exec, s[14:15]
.LBB141_21:
	s_or_b64 exec, exec, s[10:11]
.LBB141_22:
	s_or_b64 exec, exec, s[6:7]
	s_cbranch_execz .LBB141_24
	s_branch .LBB141_35
.LBB141_23:
                                        ; implicit-def: $vgpr96_vgpr97
                                        ; implicit-def: $vgpr100_vgpr101
                                        ; implicit-def: $vgpr94_vgpr95
                                        ; implicit-def: $vgpr98_vgpr99
                                        ; implicit-def: $vgpr90_vgpr91
                                        ; implicit-def: $vgpr92_vgpr93
                                        ; implicit-def: $vgpr88_vgpr89
                                        ; implicit-def: $vgpr84_vgpr85
.LBB141_24:
	v_mov_b64_e32 v[96:97], 0
	v_mov_b64_e32 v[100:101], 0
	;; [unrolled: 1-line block ×8, first 2 shown]
	s_and_saveexec_b64 s[6:7], s[2:3]
	s_cbranch_execz .LBB141_34
; %bb.25:
	v_or_b32_e32 v1, 8, v0
	v_subrev_co_u32_e32 v10, vcc, s12, v1
	v_not_b32_e32 v13, v27
	s_nop 0
	v_subb_co_u32_e64 v11, s[2:3], 0, 0, vcc
	v_lshl_add_u64 v[10:11], v[10:11], 0, v[26:27]
	v_cmp_gt_i64_e32 vcc, v[10:11], v[82:83]
	v_not_b32_e32 v12, v26
	v_mov_b64_e32 v[84:85], 0
	v_cndmask_b32_e32 v11, v83, v11, vcc
	v_cndmask_b32_e32 v10, v82, v10, vcc
	v_sub_co_u32_e32 v14, vcc, s12, v0
	v_mov_b64_e32 v[88:89], 0
	s_nop 0
	v_subb_co_u32_e64 v15, s[2:3], 0, 0, vcc
	v_lshl_add_u64 v[12:13], v[14:15], 0, v[12:13]
	v_lshl_add_u64 v[10:11], v[12:13], 0, v[10:11]
	v_and_b32_e32 v12, 24, v10
	v_mov_b32_e32 v13, 0
	v_cmp_ne_u64_e32 vcc, 24, v[12:13]
	v_mov_b64_e32 v[92:93], 0
	v_mov_b64_e32 v[90:91], 0
	;; [unrolled: 1-line block ×6, first 2 shown]
	s_and_saveexec_b64 s[2:3], vcc
	s_cbranch_execz .LBB141_29
; %bb.26:
	v_lshrrev_b32_e32 v1, 3, v10
	v_add_u32_e32 v1, 1, v1
	v_and_b32_e32 v1, 3, v1
	v_sub_co_u32_e32 v14, vcc, 0, v1
	v_lshl_add_u64 v[12:13], v[80:81], 2, s[8:9]
	s_nop 0
	v_subb_co_u32_e64 v15, s[14:15], 0, 0, vcc
	s_mov_b64 s[10:11], 0
	v_mov_b64_e32 v[96:97], 0
	s_mov_b64 s[14:15], 0x400
	v_mov_b64_e32 v[100:101], 0
	v_mov_b64_e32 v[94:95], 0
	;; [unrolled: 1-line block ×7, first 2 shown]
.LBB141_27:                             ; =>This Inner Loop Header: Depth=1
	global_load_dword v1, v[12:13], off
	global_load_dwordx4 v[16:19], v[86:87], off offset:48
	global_load_dwordx4 v[20:23], v[86:87], off offset:32
	;; [unrolled: 1-line block ×3, first 2 shown]
	global_load_dwordx4 v[28:31], v[86:87], off
	global_load_dwordx4 v[32:35], v[86:87], off offset:96
	global_load_dwordx4 v[36:39], v[86:87], off offset:80
	;; [unrolled: 1-line block ×3, first 2 shown]
	v_lshl_add_u64 v[14:15], v[14:15], 0, 1
	v_cmp_eq_u64_e32 vcc, 0, v[14:15]
	v_lshl_add_u64 v[80:81], v[80:81], 0, 8
	v_lshl_add_u64 v[12:13], v[12:13], 0, 32
	s_or_b64 s[10:11], vcc, s[10:11]
	s_waitcnt vmcnt(7)
	v_subrev_u32_e32 v1, s12, v1
	v_lshlrev_b32_e32 v44, 2, v1
	v_ashrrev_i32_e32 v45, 31, v44
	s_waitcnt lgkmcnt(0)
	v_lshl_add_u64 v[64:65], v[44:45], 4, s[4:5]
	global_load_dwordx4 v[44:47], v[64:65], off
	global_load_dwordx4 v[48:51], v[64:65], off offset:16
	global_load_dwordx4 v[52:55], v[64:65], off offset:32
	;; [unrolled: 1-line block ×4, first 2 shown]
	v_lshl_add_u64 v[86:87], v[86:87], 0, s[14:15]
	s_waitcnt vmcnt(4)
	v_fmac_f64_e32 v[100:101], v[28:29], v[44:45]
	v_fmac_f64_e32 v[96:97], 0, v[44:45]
	v_fmac_f64_e32 v[98:99], v[30:31], v[44:45]
	v_fmac_f64_e32 v[94:95], 0, v[44:45]
	v_fmac_f64_e32 v[92:93], v[24:25], v[44:45]
	v_fmac_f64_e32 v[90:91], 0, v[44:45]
	v_fmac_f64_e32 v[84:85], v[26:27], v[44:45]
	v_fmac_f64_e32 v[88:89], 0, v[44:45]
	v_fmac_f64_e32 v[100:101], 0x80000000, v[46:47]
	v_fmac_f64_e32 v[96:97], v[28:29], v[46:47]
	v_fmac_f64_e32 v[98:99], 0x80000000, v[46:47]
	v_fmac_f64_e32 v[94:95], v[30:31], v[46:47]
	v_fmac_f64_e32 v[92:93], 0x80000000, v[46:47]
	v_fmac_f64_e32 v[90:91], v[24:25], v[46:47]
	v_fmac_f64_e32 v[84:85], 0x80000000, v[46:47]
	v_fmac_f64_e32 v[88:89], v[26:27], v[46:47]
	s_waitcnt vmcnt(3)
	v_fmac_f64_e32 v[100:101], v[20:21], v[48:49]
	v_fmac_f64_e32 v[96:97], 0, v[48:49]
	v_fmac_f64_e32 v[98:99], v[22:23], v[48:49]
	v_fmac_f64_e32 v[94:95], 0, v[48:49]
	v_fmac_f64_e32 v[92:93], v[16:17], v[48:49]
	v_fmac_f64_e32 v[90:91], 0, v[48:49]
	v_fmac_f64_e32 v[84:85], v[18:19], v[48:49]
	v_fmac_f64_e32 v[88:89], 0, v[48:49]
	v_fmac_f64_e32 v[100:101], 0x80000000, v[50:51]
	v_fmac_f64_e32 v[96:97], v[20:21], v[50:51]
	v_fmac_f64_e32 v[98:99], 0x80000000, v[50:51]
	v_fmac_f64_e32 v[94:95], v[22:23], v[50:51]
	v_fmac_f64_e32 v[92:93], 0x80000000, v[50:51]
	v_fmac_f64_e32 v[90:91], v[16:17], v[50:51]
	v_fmac_f64_e32 v[84:85], 0x80000000, v[50:51]
	v_fmac_f64_e32 v[88:89], v[18:19], v[50:51]
	;; [unrolled: 17-line block ×3, first 2 shown]
	s_waitcnt vmcnt(1)
	v_fmac_f64_e32 v[100:101], v[32:33], v[56:57]
	v_fmac_f64_e32 v[96:97], 0, v[56:57]
	v_fmac_f64_e32 v[98:99], v[34:35], v[56:57]
	v_fmac_f64_e32 v[94:95], 0, v[56:57]
	s_waitcnt vmcnt(0)
	v_fmac_f64_e32 v[92:93], v[60:61], v[56:57]
	v_fmac_f64_e32 v[90:91], 0, v[56:57]
	;; [unrolled: 1-line block ×12, first 2 shown]
	s_andn2_b64 exec, exec, s[10:11]
	s_cbranch_execnz .LBB141_27
; %bb.28:
	s_or_b64 exec, exec, s[10:11]
.LBB141_29:
	s_or_b64 exec, exec, s[2:3]
	v_cmp_lt_u64_e32 vcc, 23, v[10:11]
	s_and_saveexec_b64 s[2:3], vcc
	s_cbranch_execz .LBB141_33
; %bb.30:
	v_lshl_add_u64 v[10:11], v[80:81], 2, s[8:9]
	v_lshl_add_u64 v[102:103], v[10:11], 0, 64
	s_mov_b64 s[8:9], 0
	s_mov_b64 s[10:11], 0x1000
	;; [unrolled: 1-line block ×3, first 2 shown]
.LBB141_31:                             ; =>This Inner Loop Header: Depth=1
	global_load_dword v62, v[102:103], off offset:-64
	global_load_dwordx4 v[14:17], v[86:87], off offset:48
	global_load_dwordx4 v[22:25], v[86:87], off offset:32
	;; [unrolled: 1-line block ×3, first 2 shown]
	global_load_dwordx4 v[42:45], v[86:87], off
	global_load_dwordx4 v[18:21], v[86:87], off offset:112
	global_load_dwordx4 v[34:37], v[86:87], off offset:96
	;; [unrolled: 1-line block ×9, first 2 shown]
	global_load_dword v79, v[102:103], off offset:-32
	global_load_dword v110, v[102:103], off
	global_load_dword v1, v[102:103], off offset:32
	v_lshl_add_u64 v[80:81], v[80:81], 0, 32
	v_cmp_ge_i64_e32 vcc, v[80:81], v[82:83]
	v_lshl_add_u64 v[102:103], v[102:103], 0, s[14:15]
	s_or_b64 s[8:9], vcc, s[8:9]
	s_waitcnt vmcnt(16)
	v_subrev_u32_e32 v62, s12, v62
	v_lshlrev_b32_e32 v62, 2, v62
	v_ashrrev_i32_e32 v63, 31, v62
	s_waitcnt lgkmcnt(0)
	v_lshl_add_u64 v[108:109], v[62:63], 4, s[4:5]
	global_load_dwordx4 v[62:65], v[108:109], off
	global_load_dwordx4 v[104:107], v[108:109], off offset:16
	global_load_dwordx4 v[66:69], v[86:87], off offset:1120
	;; [unrolled: 1-line block ×4, first 2 shown]
	s_waitcnt vmcnt(5)
	v_subrev_u32_e32 v1, s12, v1
	s_waitcnt vmcnt(4)
	v_fmac_f64_e32 v[96:97], 0, v[62:63]
	v_fmac_f64_e32 v[94:95], 0, v[62:63]
	;; [unrolled: 1-line block ×16, first 2 shown]
	s_waitcnt vmcnt(3)
	v_fmac_f64_e32 v[96:97], 0, v[104:105]
	v_fmac_f64_e32 v[94:95], 0, v[104:105]
	;; [unrolled: 1-line block ×8, first 2 shown]
	global_load_dwordx4 v[22:25], v[86:87], off offset:2096
	v_fmac_f64_e32 v[92:93], v[14:15], v[104:105]
	v_fmac_f64_e32 v[84:85], v[16:17], v[104:105]
	;; [unrolled: 1-line block ×4, first 2 shown]
	global_load_dwordx4 v[14:17], v[86:87], off offset:2080
	global_load_dwordx4 v[30:33], v[108:109], off offset:32
	;; [unrolled: 1-line block ×3, first 2 shown]
	v_fmac_f64_e32 v[92:93], 0x80000000, v[106:107]
	v_fmac_f64_e32 v[84:85], 0x80000000, v[106:107]
	;; [unrolled: 1-line block ×4, first 2 shown]
	global_load_dwordx4 v[62:65], v[86:87], off offset:2048
	s_waitcnt vmcnt(2)
	v_fmac_f64_e32 v[90:91], 0, v[30:31]
	v_fmac_f64_e32 v[92:93], v[46:47], v[30:31]
	;; [unrolled: 1-line block ×3, first 2 shown]
	v_subrev_u32_e32 v46, s12, v79
	v_fmac_f64_e32 v[88:89], 0, v[30:31]
	v_lshlrev_b32_e32 v46, 2, v46
	v_fmac_f64_e32 v[84:85], v[48:49], v[30:31]
	v_fmac_f64_e32 v[88:89], v[48:49], v[32:33]
	v_ashrrev_i32_e32 v47, 31, v46
	v_fmac_f64_e32 v[92:93], 0x80000000, v[32:33]
	v_fmac_f64_e32 v[84:85], 0x80000000, v[32:33]
	v_lshl_add_u64 v[108:109], v[46:47], 4, s[4:5]
	s_waitcnt vmcnt(1)
	v_fmac_f64_e32 v[90:91], 0, v[42:43]
	v_fmac_f64_e32 v[88:89], 0, v[42:43]
	;; [unrolled: 1-line block ×6, first 2 shown]
	global_load_dwordx4 v[18:21], v[108:109], off
	global_load_dwordx4 v[104:107], v[108:109], off offset:16
	v_fmac_f64_e32 v[100:101], v[54:55], v[30:31]
	v_fmac_f64_e32 v[96:97], 0, v[30:31]
	;; [unrolled: 1-line block ×18, first 2 shown]
	global_load_dwordx4 v[54:57], v[86:87], off offset:2064
	global_load_dwordx4 v[42:45], v[86:87], off offset:2128
	;; [unrolled: 1-line block ×5, first 2 shown]
	s_waitcnt vmcnt(6)
	v_fmac_f64_e32 v[90:91], 0, v[18:19]
	v_fmac_f64_e32 v[88:89], 0, v[18:19]
	;; [unrolled: 1-line block ×12, first 2 shown]
	s_waitcnt vmcnt(5)
	v_fmac_f64_e32 v[90:91], 0, v[104:105]
	v_fmac_f64_e32 v[88:89], 0, v[104:105]
	;; [unrolled: 1-line block ×10, first 2 shown]
	global_load_dwordx4 v[26:29], v[108:109], off offset:32
	v_fmac_f64_e32 v[100:101], v[38:39], v[104:105]
	v_fmac_f64_e32 v[96:97], 0, v[104:105]
	;; [unrolled: 1-line block ×10, first 2 shown]
	global_load_dwordx4 v[104:107], v[108:109], off offset:48
	global_load_dwordx4 v[50:53], v[86:87], off offset:3088
	;; [unrolled: 1-line block ×5, first 2 shown]
	s_waitcnt vmcnt(5)
	v_fmac_f64_e32 v[96:97], 0, v[26:27]
	v_fmac_f64_e32 v[100:101], v[74:75], v[26:27]
	;; [unrolled: 1-line block ×11, first 2 shown]
	s_waitcnt vmcnt(4)
	v_fmac_f64_e32 v[96:97], 0, v[104:105]
	v_fmac_f64_e32 v[100:101], v[66:67], v[104:105]
	v_fmac_f64_e32 v[96:97], v[66:67], v[106:107]
	v_subrev_u32_e32 v66, s12, v110
	v_lshlrev_b32_e32 v66, 2, v66
	v_ashrrev_i32_e32 v67, 31, v66
	v_fmac_f64_e32 v[84:85], 0x80000000, v[28:29]
	v_lshl_add_u64 v[74:75], v[66:67], 4, s[4:5]
	v_fmac_f64_e32 v[90:91], 0, v[104:105]
	v_fmac_f64_e32 v[88:89], 0, v[104:105]
	;; [unrolled: 1-line block ×6, first 2 shown]
	global_load_dwordx4 v[10:13], v[74:75], off
	v_fmac_f64_e32 v[94:95], 0, v[26:27]
	v_fmac_f64_e32 v[98:99], v[76:77], v[26:27]
	;; [unrolled: 1-line block ×7, first 2 shown]
	global_load_dwordx4 v[66:69], v[74:75], off offset:16
	v_fmac_f64_e32 v[100:101], 0x80000000, v[106:107]
	v_fmac_f64_e32 v[98:99], 0x80000000, v[106:107]
	;; [unrolled: 1-line block ×4, first 2 shown]
	global_load_dwordx4 v[70:73], v[86:87], off offset:3072
	global_load_dwordx4 v[26:29], v[86:87], off offset:3184
	s_waitcnt vmcnt(3)
	v_fmac_f64_e32 v[100:101], v[62:63], v[10:11]
	v_fmac_f64_e32 v[96:97], 0, v[10:11]
	;; [unrolled: 1-line block ×8, first 2 shown]
	v_lshlrev_b32_e32 v10, 2, v1
	v_ashrrev_i32_e32 v11, 31, v10
	v_fmac_f64_e32 v[96:97], v[62:63], v[12:13]
	v_fmac_f64_e32 v[94:95], v[64:65], v[12:13]
	;; [unrolled: 1-line block ×4, first 2 shown]
	v_lshl_add_u64 v[104:105], v[10:11], 4, s[4:5]
	v_fmac_f64_e32 v[100:101], 0x80000000, v[12:13]
	v_fmac_f64_e32 v[98:99], 0x80000000, v[12:13]
	;; [unrolled: 1-line block ×4, first 2 shown]
	global_load_dwordx4 v[10:13], v[74:75], off offset:32
	s_waitcnt vmcnt(3)
	v_fmac_f64_e32 v[96:97], 0, v[66:67]
	v_fmac_f64_e32 v[94:95], 0, v[66:67]
	;; [unrolled: 1-line block ×6, first 2 shown]
	global_load_dwordx4 v[14:17], v[74:75], off offset:48
	v_fmac_f64_e32 v[90:91], 0, v[66:67]
	v_fmac_f64_e32 v[88:89], 0, v[66:67]
	;; [unrolled: 1-line block ×6, first 2 shown]
	global_load_dwordx4 v[22:25], v[104:105], off
	v_fmac_f64_e32 v[100:101], 0x80000000, v[68:69]
	v_fmac_f64_e32 v[98:99], 0x80000000, v[68:69]
	;; [unrolled: 1-line block ×4, first 2 shown]
	global_load_dwordx4 v[66:69], v[104:105], off offset:16
	global_load_dwordx4 v[62:65], v[86:87], off offset:3152
	;; [unrolled: 1-line block ×3, first 2 shown]
	v_lshl_add_u64 v[86:87], v[86:87], 0, s[10:11]
	s_waitcnt vmcnt(5)
	v_fmac_f64_e32 v[96:97], 0, v[10:11]
	v_fmac_f64_e32 v[94:95], 0, v[10:11]
	;; [unrolled: 1-line block ×6, first 2 shown]
	global_load_dwordx4 v[46:49], v[104:105], off offset:32
	global_load_dwordx4 v[74:77], v[104:105], off offset:48
	v_fmac_f64_e32 v[92:93], v[42:43], v[10:11]
	v_fmac_f64_e32 v[90:91], 0, v[10:11]
	v_fmac_f64_e32 v[84:85], v[44:45], v[10:11]
	v_fmac_f64_e32 v[88:89], 0, v[10:11]
	v_fmac_f64_e32 v[90:91], v[42:43], v[12:13]
	v_fmac_f64_e32 v[88:89], v[44:45], v[12:13]
	v_fmac_f64_e32 v[100:101], 0x80000000, v[12:13]
	v_fmac_f64_e32 v[98:99], 0x80000000, v[12:13]
	v_fmac_f64_e32 v[92:93], 0x80000000, v[12:13]
	v_fmac_f64_e32 v[84:85], 0x80000000, v[12:13]
	s_waitcnt vmcnt(6)
	v_fmac_f64_e32 v[100:101], v[34:35], v[14:15]
	v_fmac_f64_e32 v[96:97], 0, v[14:15]
	v_fmac_f64_e32 v[98:99], v[36:37], v[14:15]
	v_fmac_f64_e32 v[94:95], 0, v[14:15]
	v_fmac_f64_e32 v[92:93], v[30:31], v[14:15]
	v_fmac_f64_e32 v[90:91], 0, v[14:15]
	v_fmac_f64_e32 v[84:85], v[32:33], v[14:15]
	v_fmac_f64_e32 v[88:89], 0, v[14:15]
	v_fmac_f64_e32 v[100:101], 0x80000000, v[16:17]
	v_fmac_f64_e32 v[96:97], v[34:35], v[16:17]
	v_fmac_f64_e32 v[98:99], 0x80000000, v[16:17]
	v_fmac_f64_e32 v[94:95], v[36:37], v[16:17]
	v_fmac_f64_e32 v[92:93], 0x80000000, v[16:17]
	v_fmac_f64_e32 v[90:91], v[30:31], v[16:17]
	v_fmac_f64_e32 v[84:85], 0x80000000, v[16:17]
	v_fmac_f64_e32 v[88:89], v[32:33], v[16:17]
	s_waitcnt vmcnt(5)
	v_fmac_f64_e32 v[100:101], v[70:71], v[22:23]
	v_fmac_f64_e32 v[96:97], 0, v[22:23]
	v_fmac_f64_e32 v[98:99], v[72:73], v[22:23]
	v_fmac_f64_e32 v[94:95], 0, v[22:23]
	v_fmac_f64_e32 v[92:93], v[50:51], v[22:23]
	v_fmac_f64_e32 v[90:91], 0, v[22:23]
	;; [unrolled: 17-line block ×5, first 2 shown]
	v_fmac_f64_e32 v[84:85], v[28:29], v[74:75]
	v_fmac_f64_e32 v[88:89], 0, v[74:75]
	;; [unrolled: 1-line block ×10, first 2 shown]
	s_andn2_b64 exec, exec, s[8:9]
	s_cbranch_execnz .LBB141_31
; %bb.32:
	s_or_b64 exec, exec, s[8:9]
.LBB141_33:
	s_or_b64 exec, exec, s[2:3]
.LBB141_34:
	s_or_b64 exec, exec, s[6:7]
.LBB141_35:
	v_mov_b32_dpp v10, v100 row_shr:1 row_mask:0xf bank_mask:0xf
	v_mov_b32_dpp v11, v101 row_shr:1 row_mask:0xf bank_mask:0xf
	v_mov_b32_dpp v14, v96 row_shr:1 row_mask:0xf bank_mask:0xf
	v_mov_b32_dpp v15, v97 row_shr:1 row_mask:0xf bank_mask:0xf
	v_mov_b32_dpp v18, v98 row_shr:1 row_mask:0xf bank_mask:0xf
	v_mov_b32_dpp v19, v99 row_shr:1 row_mask:0xf bank_mask:0xf
	v_mov_b32_dpp v22, v94 row_shr:1 row_mask:0xf bank_mask:0xf
	v_mov_b32_dpp v23, v95 row_shr:1 row_mask:0xf bank_mask:0xf
	v_mov_b32_dpp v26, v92 row_shr:1 row_mask:0xf bank_mask:0xf
	v_mov_b32_dpp v27, v93 row_shr:1 row_mask:0xf bank_mask:0xf
	v_mov_b32_dpp v30, v90 row_shr:1 row_mask:0xf bank_mask:0xf
	v_mov_b32_dpp v31, v91 row_shr:1 row_mask:0xf bank_mask:0xf
	v_mov_b32_dpp v34, v84 row_shr:1 row_mask:0xf bank_mask:0xf
	v_mov_b32_dpp v35, v85 row_shr:1 row_mask:0xf bank_mask:0xf
	v_mov_b32_dpp v38, v88 row_shr:1 row_mask:0xf bank_mask:0xf
	v_mov_b32_dpp v39, v89 row_shr:1 row_mask:0xf bank_mask:0xf
	v_add_f64 v[10:11], v[100:101], v[10:11]
	v_add_f64 v[14:15], v[96:97], v[14:15]
	;; [unrolled: 1-line block ×8, first 2 shown]
	v_mov_b32_dpp v12, v10 row_shr:2 row_mask:0xf bank_mask:0xf
	v_mov_b32_dpp v13, v11 row_shr:2 row_mask:0xf bank_mask:0xf
	;; [unrolled: 1-line block ×16, first 2 shown]
	v_add_f64 v[10:11], v[10:11], v[12:13]
	v_add_f64 v[14:15], v[14:15], v[16:17]
	;; [unrolled: 1-line block ×8, first 2 shown]
	v_mov_b32_dpp v12, v10 row_shr:4 row_mask:0xf bank_mask:0xe
	v_mov_b32_dpp v13, v11 row_shr:4 row_mask:0xf bank_mask:0xe
	;; [unrolled: 1-line block ×16, first 2 shown]
	v_cmp_eq_u32_e32 vcc, 7, v0
	s_and_b64 exec, exec, vcc
	s_cbranch_execz .LBB141_8
; %bb.36:
	s_load_dwordx2 s[2:3], s[0:1], 0x60
	v_add_f64 v[0:1], v[10:11], v[12:13]
	v_add_f64 v[10:11], v[14:15], v[16:17]
	;; [unrolled: 1-line block ×8, first 2 shown]
	v_cmp_eq_f64_e32 vcc, 0, v[2:3]
	v_cmp_eq_f64_e64 s[0:1], 0, v[4:5]
	v_mul_f64 v[22:23], v[10:11], -v[8:9]
	v_mul_f64 v[24:25], v[6:7], v[10:11]
	v_mul_f64 v[18:19], v[12:13], -v[8:9]
	v_mul_f64 v[20:21], v[6:7], v[12:13]
	v_mul_f64 v[14:15], v[16:17], -v[8:9]
	v_mul_f64 v[16:17], v[6:7], v[16:17]
	v_mul_f64 v[10:11], v[30:31], -v[8:9]
	v_mul_f64 v[12:13], v[6:7], v[30:31]
	s_and_b64 s[0:1], vcc, s[0:1]
	v_fmac_f64_e32 v[22:23], v[6:7], v[0:1]
	v_fmac_f64_e32 v[24:25], v[8:9], v[0:1]
	v_lshlrev_b32_e32 v0, 2, v78
	v_fmac_f64_e32 v[18:19], v[6:7], v[42:43]
	v_fmac_f64_e32 v[20:21], v[8:9], v[42:43]
	;; [unrolled: 1-line block ×6, first 2 shown]
	s_waitcnt lgkmcnt(0)
	s_and_saveexec_b64 s[4:5], s[0:1]
	s_xor_b64 s[0:1], exec, s[4:5]
	s_cbranch_execz .LBB141_38
; %bb.37:
	v_ashrrev_i32_e32 v1, 31, v0
	v_lshl_add_u64 v[0:1], v[0:1], 4, s[2:3]
	global_store_dwordx4 v[0:1], v[22:25], off
	global_store_dwordx4 v[0:1], v[18:21], off offset:16
	global_store_dwordx4 v[0:1], v[14:17], off offset:32
	;; [unrolled: 1-line block ×3, first 2 shown]
                                        ; implicit-def: $vgpr4_vgpr5
                                        ; implicit-def: $vgpr22_vgpr23
                                        ; implicit-def: $vgpr0
                                        ; implicit-def: $vgpr18_vgpr19
                                        ; implicit-def: $vgpr14_vgpr15
                                        ; implicit-def: $vgpr10_vgpr11
.LBB141_38:
	s_andn2_saveexec_b64 s[0:1], s[0:1]
	s_cbranch_execz .LBB141_8
; %bb.39:
	v_ashrrev_i32_e32 v1, 31, v0
	v_lshl_add_u64 v[0:1], v[0:1], 4, s[2:3]
	global_load_dwordx4 v[6:9], v[0:1], off
	global_load_dwordx4 v[26:29], v[0:1], off offset:16
	global_load_dwordx4 v[30:33], v[0:1], off offset:32
	;; [unrolled: 1-line block ×3, first 2 shown]
	s_waitcnt vmcnt(3)
	v_fmac_f64_e32 v[22:23], v[2:3], v[6:7]
	v_fmac_f64_e32 v[24:25], v[4:5], v[6:7]
	s_waitcnt vmcnt(2)
	v_fmac_f64_e32 v[18:19], v[2:3], v[26:27]
	v_fmac_f64_e32 v[20:21], v[4:5], v[26:27]
	;; [unrolled: 3-line block ×4, first 2 shown]
	v_fma_f64 v[22:23], -v[4:5], v[8:9], v[22:23]
	v_fmac_f64_e32 v[24:25], v[2:3], v[8:9]
	v_fma_f64 v[18:19], -v[4:5], v[28:29], v[18:19]
	v_fmac_f64_e32 v[20:21], v[2:3], v[28:29]
	;; [unrolled: 2-line block ×4, first 2 shown]
	global_store_dwordx4 v[0:1], v[22:25], off
	global_store_dwordx4 v[0:1], v[18:21], off offset:16
	global_store_dwordx4 v[0:1], v[14:17], off offset:32
	;; [unrolled: 1-line block ×3, first 2 shown]
	s_endpgm
	.section	.rodata,"a",@progbits
	.p2align	6, 0x0
	.amdhsa_kernel _ZN9rocsparseL18bsrxmvn_4x4_kernelILj128ELj8E21rocsparse_complex_numIdElidS2_S2_EEvT3_20rocsparse_direction_NS_24const_host_device_scalarIT1_EES3_PKS3_PKT2_SC_S9_PKT4_PKT5_S7_PT6_21rocsparse_index_base_b
		.amdhsa_group_segment_fixed_size 0
		.amdhsa_private_segment_fixed_size 0
		.amdhsa_kernarg_size 112
		.amdhsa_user_sgpr_count 2
		.amdhsa_user_sgpr_dispatch_ptr 0
		.amdhsa_user_sgpr_queue_ptr 0
		.amdhsa_user_sgpr_kernarg_segment_ptr 1
		.amdhsa_user_sgpr_dispatch_id 0
		.amdhsa_user_sgpr_kernarg_preload_length 0
		.amdhsa_user_sgpr_kernarg_preload_offset 0
		.amdhsa_user_sgpr_private_segment_size 0
		.amdhsa_uses_dynamic_stack 0
		.amdhsa_enable_private_segment 0
		.amdhsa_system_sgpr_workgroup_id_x 1
		.amdhsa_system_sgpr_workgroup_id_y 0
		.amdhsa_system_sgpr_workgroup_id_z 0
		.amdhsa_system_sgpr_workgroup_info 0
		.amdhsa_system_vgpr_workitem_id 0
		.amdhsa_next_free_vgpr 111
		.amdhsa_next_free_sgpr 20
		.amdhsa_accum_offset 112
		.amdhsa_reserve_vcc 1
		.amdhsa_float_round_mode_32 0
		.amdhsa_float_round_mode_16_64 0
		.amdhsa_float_denorm_mode_32 3
		.amdhsa_float_denorm_mode_16_64 3
		.amdhsa_dx10_clamp 1
		.amdhsa_ieee_mode 1
		.amdhsa_fp16_overflow 0
		.amdhsa_tg_split 0
		.amdhsa_exception_fp_ieee_invalid_op 0
		.amdhsa_exception_fp_denorm_src 0
		.amdhsa_exception_fp_ieee_div_zero 0
		.amdhsa_exception_fp_ieee_overflow 0
		.amdhsa_exception_fp_ieee_underflow 0
		.amdhsa_exception_fp_ieee_inexact 0
		.amdhsa_exception_int_div_zero 0
	.end_amdhsa_kernel
	.section	.text._ZN9rocsparseL18bsrxmvn_4x4_kernelILj128ELj8E21rocsparse_complex_numIdElidS2_S2_EEvT3_20rocsparse_direction_NS_24const_host_device_scalarIT1_EES3_PKS3_PKT2_SC_S9_PKT4_PKT5_S7_PT6_21rocsparse_index_base_b,"axG",@progbits,_ZN9rocsparseL18bsrxmvn_4x4_kernelILj128ELj8E21rocsparse_complex_numIdElidS2_S2_EEvT3_20rocsparse_direction_NS_24const_host_device_scalarIT1_EES3_PKS3_PKT2_SC_S9_PKT4_PKT5_S7_PT6_21rocsparse_index_base_b,comdat
.Lfunc_end141:
	.size	_ZN9rocsparseL18bsrxmvn_4x4_kernelILj128ELj8E21rocsparse_complex_numIdElidS2_S2_EEvT3_20rocsparse_direction_NS_24const_host_device_scalarIT1_EES3_PKS3_PKT2_SC_S9_PKT4_PKT5_S7_PT6_21rocsparse_index_base_b, .Lfunc_end141-_ZN9rocsparseL18bsrxmvn_4x4_kernelILj128ELj8E21rocsparse_complex_numIdElidS2_S2_EEvT3_20rocsparse_direction_NS_24const_host_device_scalarIT1_EES3_PKS3_PKT2_SC_S9_PKT4_PKT5_S7_PT6_21rocsparse_index_base_b
                                        ; -- End function
	.set _ZN9rocsparseL18bsrxmvn_4x4_kernelILj128ELj8E21rocsparse_complex_numIdElidS2_S2_EEvT3_20rocsparse_direction_NS_24const_host_device_scalarIT1_EES3_PKS3_PKT2_SC_S9_PKT4_PKT5_S7_PT6_21rocsparse_index_base_b.num_vgpr, 111
	.set _ZN9rocsparseL18bsrxmvn_4x4_kernelILj128ELj8E21rocsparse_complex_numIdElidS2_S2_EEvT3_20rocsparse_direction_NS_24const_host_device_scalarIT1_EES3_PKS3_PKT2_SC_S9_PKT4_PKT5_S7_PT6_21rocsparse_index_base_b.num_agpr, 0
	.set _ZN9rocsparseL18bsrxmvn_4x4_kernelILj128ELj8E21rocsparse_complex_numIdElidS2_S2_EEvT3_20rocsparse_direction_NS_24const_host_device_scalarIT1_EES3_PKS3_PKT2_SC_S9_PKT4_PKT5_S7_PT6_21rocsparse_index_base_b.numbered_sgpr, 20
	.set _ZN9rocsparseL18bsrxmvn_4x4_kernelILj128ELj8E21rocsparse_complex_numIdElidS2_S2_EEvT3_20rocsparse_direction_NS_24const_host_device_scalarIT1_EES3_PKS3_PKT2_SC_S9_PKT4_PKT5_S7_PT6_21rocsparse_index_base_b.num_named_barrier, 0
	.set _ZN9rocsparseL18bsrxmvn_4x4_kernelILj128ELj8E21rocsparse_complex_numIdElidS2_S2_EEvT3_20rocsparse_direction_NS_24const_host_device_scalarIT1_EES3_PKS3_PKT2_SC_S9_PKT4_PKT5_S7_PT6_21rocsparse_index_base_b.private_seg_size, 0
	.set _ZN9rocsparseL18bsrxmvn_4x4_kernelILj128ELj8E21rocsparse_complex_numIdElidS2_S2_EEvT3_20rocsparse_direction_NS_24const_host_device_scalarIT1_EES3_PKS3_PKT2_SC_S9_PKT4_PKT5_S7_PT6_21rocsparse_index_base_b.uses_vcc, 1
	.set _ZN9rocsparseL18bsrxmvn_4x4_kernelILj128ELj8E21rocsparse_complex_numIdElidS2_S2_EEvT3_20rocsparse_direction_NS_24const_host_device_scalarIT1_EES3_PKS3_PKT2_SC_S9_PKT4_PKT5_S7_PT6_21rocsparse_index_base_b.uses_flat_scratch, 0
	.set _ZN9rocsparseL18bsrxmvn_4x4_kernelILj128ELj8E21rocsparse_complex_numIdElidS2_S2_EEvT3_20rocsparse_direction_NS_24const_host_device_scalarIT1_EES3_PKS3_PKT2_SC_S9_PKT4_PKT5_S7_PT6_21rocsparse_index_base_b.has_dyn_sized_stack, 0
	.set _ZN9rocsparseL18bsrxmvn_4x4_kernelILj128ELj8E21rocsparse_complex_numIdElidS2_S2_EEvT3_20rocsparse_direction_NS_24const_host_device_scalarIT1_EES3_PKS3_PKT2_SC_S9_PKT4_PKT5_S7_PT6_21rocsparse_index_base_b.has_recursion, 0
	.set _ZN9rocsparseL18bsrxmvn_4x4_kernelILj128ELj8E21rocsparse_complex_numIdElidS2_S2_EEvT3_20rocsparse_direction_NS_24const_host_device_scalarIT1_EES3_PKS3_PKT2_SC_S9_PKT4_PKT5_S7_PT6_21rocsparse_index_base_b.has_indirect_call, 0
	.section	.AMDGPU.csdata,"",@progbits
; Kernel info:
; codeLenInByte = 6916
; TotalNumSgprs: 26
; NumVgprs: 111
; NumAgprs: 0
; TotalNumVgprs: 111
; ScratchSize: 0
; MemoryBound: 0
; FloatMode: 240
; IeeeMode: 1
; LDSByteSize: 0 bytes/workgroup (compile time only)
; SGPRBlocks: 3
; VGPRBlocks: 13
; NumSGPRsForWavesPerEU: 26
; NumVGPRsForWavesPerEU: 111
; AccumOffset: 112
; Occupancy: 4
; WaveLimiterHint : 1
; COMPUTE_PGM_RSRC2:SCRATCH_EN: 0
; COMPUTE_PGM_RSRC2:USER_SGPR: 2
; COMPUTE_PGM_RSRC2:TRAP_HANDLER: 0
; COMPUTE_PGM_RSRC2:TGID_X_EN: 1
; COMPUTE_PGM_RSRC2:TGID_Y_EN: 0
; COMPUTE_PGM_RSRC2:TGID_Z_EN: 0
; COMPUTE_PGM_RSRC2:TIDIG_COMP_CNT: 0
; COMPUTE_PGM_RSRC3_GFX90A:ACCUM_OFFSET: 27
; COMPUTE_PGM_RSRC3_GFX90A:TG_SPLIT: 0
	.section	.text._ZN9rocsparseL18bsrxmvn_4x4_kernelILj128ELj16E21rocsparse_complex_numIdElidS2_S2_EEvT3_20rocsparse_direction_NS_24const_host_device_scalarIT1_EES3_PKS3_PKT2_SC_S9_PKT4_PKT5_S7_PT6_21rocsparse_index_base_b,"axG",@progbits,_ZN9rocsparseL18bsrxmvn_4x4_kernelILj128ELj16E21rocsparse_complex_numIdElidS2_S2_EEvT3_20rocsparse_direction_NS_24const_host_device_scalarIT1_EES3_PKS3_PKT2_SC_S9_PKT4_PKT5_S7_PT6_21rocsparse_index_base_b,comdat
	.globl	_ZN9rocsparseL18bsrxmvn_4x4_kernelILj128ELj16E21rocsparse_complex_numIdElidS2_S2_EEvT3_20rocsparse_direction_NS_24const_host_device_scalarIT1_EES3_PKS3_PKT2_SC_S9_PKT4_PKT5_S7_PT6_21rocsparse_index_base_b ; -- Begin function _ZN9rocsparseL18bsrxmvn_4x4_kernelILj128ELj16E21rocsparse_complex_numIdElidS2_S2_EEvT3_20rocsparse_direction_NS_24const_host_device_scalarIT1_EES3_PKS3_PKT2_SC_S9_PKT4_PKT5_S7_PT6_21rocsparse_index_base_b
	.p2align	8
	.type	_ZN9rocsparseL18bsrxmvn_4x4_kernelILj128ELj16E21rocsparse_complex_numIdElidS2_S2_EEvT3_20rocsparse_direction_NS_24const_host_device_scalarIT1_EES3_PKS3_PKT2_SC_S9_PKT4_PKT5_S7_PT6_21rocsparse_index_base_b,@function
_ZN9rocsparseL18bsrxmvn_4x4_kernelILj128ELj16E21rocsparse_complex_numIdElidS2_S2_EEvT3_20rocsparse_direction_NS_24const_host_device_scalarIT1_EES3_PKS3_PKT2_SC_S9_PKT4_PKT5_S7_PT6_21rocsparse_index_base_b: ; @_ZN9rocsparseL18bsrxmvn_4x4_kernelILj128ELj16E21rocsparse_complex_numIdElidS2_S2_EEvT3_20rocsparse_direction_NS_24const_host_device_scalarIT1_EES3_PKS3_PKT2_SC_S9_PKT4_PKT5_S7_PT6_21rocsparse_index_base_b
; %bb.0:
	s_load_dwordx2 s[4:5], s[0:1], 0x8
	s_load_dwordx2 s[12:13], s[0:1], 0x68
	s_add_u32 s3, s0, 8
	s_addc_u32 s8, s1, 0
	s_add_u32 s9, s0, 0x50
	s_load_dwordx2 s[6:7], s[0:1], 0x50
	s_addc_u32 s10, s1, 0
	s_waitcnt lgkmcnt(0)
	s_bitcmp1_b32 s13, 0
	s_cselect_b32 s5, s8, s5
	s_cselect_b32 s3, s3, s4
	v_mov_b32_e32 v2, s3
	v_mov_b32_e32 v3, s5
	flat_load_dwordx4 v[6:9], v[2:3]
	s_cselect_b32 s3, s10, s7
	s_cselect_b32 s4, s9, s6
	v_mov_b32_e32 v2, s4
	v_mov_b32_e32 v3, s3
	flat_load_dwordx4 v[2:5], v[2:3]
	s_waitcnt vmcnt(0) lgkmcnt(0)
	v_cmp_eq_f64_e32 vcc, 0, v[6:7]
	v_cmp_eq_f64_e64 s[4:5], 0, v[8:9]
	s_and_b64 s[8:9], vcc, s[4:5]
	s_mov_b64 s[4:5], -1
	s_and_saveexec_b64 s[6:7], s[8:9]
; %bb.1:
	v_cmp_neq_f64_e32 vcc, 1.0, v[2:3]
	v_cmp_neq_f64_e64 s[4:5], 0, v[4:5]
	s_or_b64 s[4:5], vcc, s[4:5]
	s_orn2_b64 s[4:5], s[4:5], exec
; %bb.2:
	s_or_b64 exec, exec, s[6:7]
	s_and_saveexec_b64 s[6:7], s[4:5]
	s_cbranch_execz .LBB142_8
; %bb.3:
	s_load_dwordx2 s[4:5], s[0:1], 0x20
	s_load_dwordx2 s[14:15], s[0:1], 0x0
	v_lshrrev_b32_e32 v1, 4, v0
	v_lshl_or_b32 v70, s2, 3, v1
	s_mov_b64 s[2:3], 0
	s_waitcnt lgkmcnt(0)
	s_cmp_lg_u64 s[4:5], 0
	s_cbranch_scc0 .LBB142_9
; %bb.4:
	s_load_dword s6, s[0:1], 0x18
                                        ; implicit-def: $vgpr1
	s_waitcnt lgkmcnt(0)
	v_cmp_gt_i32_e32 vcc, s6, v70
	s_and_saveexec_b64 s[6:7], vcc
	s_xor_b64 s[6:7], exec, s[6:7]
	s_cbranch_execz .LBB142_6
; %bb.5:
	v_ashrrev_i32_e32 v71, 31, v70
	v_lshl_add_u64 v[10:11], v[70:71], 2, s[4:5]
	global_load_dword v1, v[10:11], off
	s_mov_b64 s[2:3], exec
	s_waitcnt vmcnt(0)
	v_subrev_u32_e32 v1, s12, v1
.LBB142_6:
	s_or_b64 exec, exec, s[6:7]
	s_branch .LBB142_10
.LBB142_7:
	v_cmp_gt_i32_e32 vcc, s14, v70
	s_andn2_b64 s[2:3], s[2:3], exec
	s_and_b64 s[4:5], vcc, exec
	s_or_b64 s[2:3], s[2:3], s[4:5]
	s_and_b64 exec, exec, s[2:3]
	s_cbranch_execnz .LBB142_11
.LBB142_8:
	s_endpgm
.LBB142_9:
                                        ; implicit-def: $vgpr1
	s_cbranch_execnz .LBB142_7
.LBB142_10:
	v_mov_b32_e32 v70, v1
	s_and_b64 exec, exec, s[2:3]
	s_cbranch_execz .LBB142_8
.LBB142_11:
	s_load_dwordx8 s[4:11], s[0:1], 0x28
	v_ashrrev_i32_e32 v71, 31, v70
	v_lshlrev_b64 v[10:11], 3, v[70:71]
	v_and_b32_e32 v0, 15, v0
	v_mov_b32_e32 v1, 0
	s_waitcnt lgkmcnt(0)
	v_lshl_add_u64 v[12:13], s[4:5], 0, v[10:11]
	s_cmp_eq_u64 s[6:7], 0
	v_lshl_add_u64 v[10:11], s[6:7], 0, v[10:11]
	global_load_dwordx2 v[22:23], v[12:13], off
	v_lshl_add_u64 v[12:13], v[12:13], 0, 8
	s_cselect_b64 vcc, -1, 0
	v_cndmask_b32_e32 v11, v11, v13, vcc
	v_cndmask_b32_e32 v10, v10, v12, vcc
	global_load_dwordx2 v[10:11], v[10:11], off
	s_load_dwordx2 s[4:5], s[0:1], 0x48
	s_cmp_eq_u32 s15, 1
	s_waitcnt vmcnt(1)
	v_subrev_co_u32_e32 v12, vcc, s12, v22
	s_nop 1
	v_subbrev_co_u32_e32 v13, vcc, 0, v23, vcc
	v_lshl_add_u64 v[78:79], v[12:13], 0, v[0:1]
	s_waitcnt vmcnt(0)
	v_subrev_co_u32_e32 v80, vcc, s12, v10
	s_nop 1
	v_subbrev_co_u32_e32 v81, vcc, 0, v11, vcc
	v_lshlrev_b64 v[10:11], 7, v[78:79]
	v_lshl_add_u64 v[82:83], s[10:11], 0, v[10:11]
	v_cmp_lt_i64_e64 s[2:3], v[78:79], v[80:81]
	s_cbranch_scc1 .LBB142_23
; %bb.12:
	v_mov_b64_e32 v[88:89], 0
	v_mov_b64_e32 v[92:93], 0
	;; [unrolled: 1-line block ×8, first 2 shown]
	s_and_saveexec_b64 s[6:7], s[2:3]
	s_cbranch_execz .LBB142_22
; %bb.13:
	v_or_b32_e32 v1, 16, v0
	v_subrev_co_u32_e32 v10, vcc, s12, v1
	v_not_b32_e32 v13, v23
	s_nop 0
	v_subb_co_u32_e64 v11, s[10:11], 0, 0, vcc
	v_lshl_add_u64 v[10:11], v[10:11], 0, v[22:23]
	v_cmp_gt_i64_e32 vcc, v[10:11], v[80:81]
	v_not_b32_e32 v12, v22
	v_mov_b64_e32 v[74:75], 0
	v_cndmask_b32_e32 v11, v81, v11, vcc
	v_cndmask_b32_e32 v10, v80, v10, vcc
	v_sub_co_u32_e32 v14, vcc, s12, v0
	v_mov_b64_e32 v[72:73], 0
	s_nop 0
	v_subb_co_u32_e64 v15, s[10:11], 0, 0, vcc
	v_lshl_add_u64 v[12:13], v[14:15], 0, v[12:13]
	v_lshl_add_u64 v[28:29], v[12:13], 0, v[10:11]
	v_and_b32_e32 v10, 48, v28
	v_mov_b32_e32 v11, 0
	v_cmp_ne_u64_e32 vcc, 48, v[10:11]
	v_mov_b64_e32 v[84:85], 0
	v_mov_b64_e32 v[76:77], 0
	;; [unrolled: 1-line block ×8, first 2 shown]
	s_and_saveexec_b64 s[10:11], vcc
	s_cbranch_execz .LBB142_17
; %bb.14:
	v_lshrrev_b32_e32 v1, 4, v28
	v_add_u32_e32 v1, 1, v1
	v_and_b32_e32 v1, 3, v1
	v_sub_co_u32_e32 v32, vcc, 0, v1
	v_lshl_add_u64 v[30:31], v[78:79], 2, s[8:9]
	s_nop 0
	v_subb_co_u32_e64 v33, s[16:17], 0, 0, vcc
	s_mov_b64 s[14:15], 0
	v_mov_b64_e32 v[88:89], 0
	s_mov_b64 s[16:17], 0x800
	v_mov_b64_e32 v[26:27], v[78:79]
	v_mov_b64_e32 v[24:25], v[82:83]
	;; [unrolled: 1-line block ×9, first 2 shown]
.LBB142_15:                             ; =>This Inner Loop Header: Depth=1
	global_load_dword v1, v[30:31], off
	global_load_dwordx4 v[10:13], v[24:25], off offset:48
	global_load_dwordx4 v[18:21], v[24:25], off offset:32
	;; [unrolled: 1-line block ×3, first 2 shown]
	global_load_dwordx4 v[34:37], v[24:25], off
	global_load_dwordx4 v[38:41], v[24:25], off offset:112
	global_load_dwordx4 v[42:45], v[24:25], off offset:96
	;; [unrolled: 1-line block ×4, first 2 shown]
	v_lshl_add_u64 v[32:33], v[32:33], 0, 1
	v_cmp_eq_u64_e32 vcc, 0, v[32:33]
	v_lshl_add_u64 v[24:25], v[24:25], 0, s[16:17]
	v_lshl_add_u64 v[26:27], v[26:27], 0, 16
	;; [unrolled: 1-line block ×3, first 2 shown]
	s_or_b64 s[14:15], vcc, s[14:15]
	s_waitcnt vmcnt(8)
	v_subrev_u32_e32 v1, s12, v1
	v_lshlrev_b32_e32 v54, 2, v1
	v_ashrrev_i32_e32 v55, 31, v54
	s_waitcnt lgkmcnt(0)
	v_lshl_add_u64 v[94:95], v[54:55], 4, s[4:5]
	global_load_dwordx4 v[54:57], v[94:95], off
	global_load_dwordx4 v[58:61], v[94:95], off offset:16
	global_load_dwordx4 v[62:65], v[94:95], off offset:32
	;; [unrolled: 1-line block ×3, first 2 shown]
	s_waitcnt vmcnt(3)
	v_fmac_f64_e32 v[92:93], v[34:35], v[54:55]
	v_fmac_f64_e32 v[88:89], 0, v[54:55]
	v_fmac_f64_e32 v[90:91], v[18:19], v[54:55]
	v_fmac_f64_e32 v[86:87], 0, v[54:55]
	v_fmac_f64_e32 v[84:85], v[46:47], v[54:55]
	v_fmac_f64_e32 v[76:77], 0, v[54:55]
	v_fmac_f64_e32 v[74:75], v[42:43], v[54:55]
	v_fmac_f64_e32 v[72:73], 0, v[54:55]
	v_fmac_f64_e32 v[92:93], 0x80000000, v[56:57]
	v_fmac_f64_e32 v[88:89], v[34:35], v[56:57]
	v_fmac_f64_e32 v[90:91], 0x80000000, v[56:57]
	v_fmac_f64_e32 v[86:87], v[18:19], v[56:57]
	v_fmac_f64_e32 v[84:85], 0x80000000, v[56:57]
	v_fmac_f64_e32 v[76:77], v[46:47], v[56:57]
	v_fmac_f64_e32 v[74:75], 0x80000000, v[56:57]
	v_fmac_f64_e32 v[72:73], v[42:43], v[56:57]
	s_waitcnt vmcnt(2)
	v_fmac_f64_e32 v[92:93], v[36:37], v[58:59]
	v_fmac_f64_e32 v[88:89], 0, v[58:59]
	v_fmac_f64_e32 v[90:91], v[20:21], v[58:59]
	v_fmac_f64_e32 v[86:87], 0, v[58:59]
	v_fmac_f64_e32 v[84:85], v[48:49], v[58:59]
	v_fmac_f64_e32 v[76:77], 0, v[58:59]
	v_fmac_f64_e32 v[74:75], v[44:45], v[58:59]
	v_fmac_f64_e32 v[72:73], 0, v[58:59]
	v_fmac_f64_e32 v[88:89], v[36:37], v[60:61]
	v_fmac_f64_e32 v[86:87], v[20:21], v[60:61]
	v_fmac_f64_e32 v[92:93], 0x80000000, v[60:61]
	v_fmac_f64_e32 v[90:91], 0x80000000, v[60:61]
	v_fmac_f64_e32 v[84:85], 0x80000000, v[60:61]
	v_fmac_f64_e32 v[76:77], v[48:49], v[60:61]
	v_fmac_f64_e32 v[74:75], 0x80000000, v[60:61]
	v_fmac_f64_e32 v[72:73], v[44:45], v[60:61]
	;; [unrolled: 17-line block ×4, first 2 shown]
	s_andn2_b64 exec, exec, s[14:15]
	s_cbranch_execnz .LBB142_15
; %bb.16:
	s_or_b64 exec, exec, s[14:15]
.LBB142_17:
	s_or_b64 exec, exec, s[10:11]
	v_cmp_lt_u64_e32 vcc, 47, v[28:29]
	s_and_saveexec_b64 s[10:11], vcc
	s_cbranch_execz .LBB142_21
; %bb.18:
	v_lshl_add_u64 v[10:11], v[26:27], 2, s[8:9]
	s_mov_b64 s[14:15], 0x80
	v_lshl_add_u64 v[10:11], v[10:11], 0, s[14:15]
	s_mov_b64 s[14:15], 0
	s_mov_b64 s[16:17], 0x1000
	s_movk_i32 s13, 0x1000
	s_mov_b64 s[18:19], 0x100
	s_mov_b64 s[20:21], 0x2000
.LBB142_19:                             ; =>This Inner Loop Header: Depth=1
	global_load_dword v1, v[10:11], off offset:-128
	global_load_dwordx4 v[12:15], v[24:25], off offset:48
	global_load_dwordx4 v[16:19], v[24:25], off offset:32
	;; [unrolled: 1-line block ×3, first 2 shown]
	global_load_dwordx4 v[32:35], v[24:25], off
	v_lshl_add_u64 v[26:27], v[26:27], 0, 64
	s_waitcnt vmcnt(4)
	v_subrev_u32_e32 v1, s12, v1
	v_lshlrev_b32_e32 v20, 2, v1
	v_ashrrev_i32_e32 v21, 31, v20
	s_waitcnt lgkmcnt(0)
	v_lshl_add_u64 v[20:21], v[20:21], 4, s[4:5]
	global_load_dwordx4 v[36:39], v[20:21], off offset:48
	global_load_dwordx4 v[40:43], v[20:21], off offset:32
	;; [unrolled: 1-line block ×3, first 2 shown]
	global_load_dwordx4 v[48:51], v[20:21], off
	s_waitcnt vmcnt(0)
	v_fmac_f64_e32 v[88:89], 0, v[48:49]
	v_fmac_f64_e32 v[86:87], 0, v[48:49]
	;; [unrolled: 1-line block ×30, first 2 shown]
	global_load_dwordx4 v[12:15], v[24:25], off offset:112
	global_load_dwordx4 v[16:19], v[24:25], off offset:96
	;; [unrolled: 1-line block ×4, first 2 shown]
	global_load_dword v1, v[10:11], off offset:-64
	v_fmac_f64_e32 v[76:77], 0, v[48:49]
	v_fmac_f64_e32 v[72:73], 0, v[48:49]
	;; [unrolled: 1-line block ×4, first 2 shown]
	s_waitcnt vmcnt(3)
	v_fmac_f64_e32 v[74:75], v[16:17], v[48:49]
	v_fmac_f64_e32 v[74:75], 0x80000000, v[50:51]
	s_waitcnt vmcnt(1)
	v_fmac_f64_e32 v[84:85], v[32:33], v[48:49]
	v_fmac_f64_e32 v[84:85], 0x80000000, v[50:51]
	;; [unrolled: 1-line block ×12, first 2 shown]
	s_waitcnt vmcnt(0)
	v_subrev_u32_e32 v1, s12, v1
	v_fmac_f64_e32 v[84:85], v[28:29], v[40:41]
	v_fmac_f64_e32 v[76:77], 0, v[40:41]
	;; [unrolled: 1-line block ×4, first 2 shown]
	v_lshlrev_b32_e32 v20, 2, v1
	v_fmac_f64_e32 v[84:85], 0x80000000, v[42:43]
	v_fmac_f64_e32 v[76:77], v[28:29], v[42:43]
	;; [unrolled: 1-line block ×4, first 2 shown]
	v_ashrrev_i32_e32 v21, 31, v20
	v_fmac_f64_e32 v[84:85], v[30:31], v[36:37]
	v_fmac_f64_e32 v[76:77], 0, v[36:37]
	;; [unrolled: 1-line block ×4, first 2 shown]
	v_lshl_add_u64 v[20:21], v[20:21], 4, s[4:5]
	v_fmac_f64_e32 v[84:85], 0x80000000, v[38:39]
	v_fmac_f64_e32 v[76:77], v[30:31], v[38:39]
	;; [unrolled: 1-line block ×4, first 2 shown]
	global_load_dwordx4 v[12:15], v[24:25], off offset:2096
	global_load_dwordx4 v[16:19], v[24:25], off offset:2080
	;; [unrolled: 1-line block ×7, first 2 shown]
	global_load_dwordx4 v[48:51], v[20:21], off
	s_waitcnt vmcnt(0)
	v_fmac_f64_e32 v[88:89], 0, v[48:49]
	v_fmac_f64_e32 v[86:87], 0, v[48:49]
	;; [unrolled: 1-line block ×30, first 2 shown]
	global_load_dwordx4 v[12:15], v[24:25], off offset:2160
	global_load_dwordx4 v[16:19], v[24:25], off offset:2144
	;; [unrolled: 1-line block ×4, first 2 shown]
	global_load_dword v1, v[10:11], off
	v_fmac_f64_e32 v[76:77], 0, v[48:49]
	v_fmac_f64_e32 v[72:73], 0, v[48:49]
	v_fmac_f64_e32 v[92:93], 0x80000000, v[38:39]
	v_fmac_f64_e32 v[90:91], 0x80000000, v[38:39]
	s_waitcnt vmcnt(3)
	v_fmac_f64_e32 v[74:75], v[16:17], v[48:49]
	v_fmac_f64_e32 v[74:75], 0x80000000, v[50:51]
	s_waitcnt vmcnt(1)
	v_fmac_f64_e32 v[84:85], v[32:33], v[48:49]
	v_fmac_f64_e32 v[84:85], 0x80000000, v[50:51]
	;; [unrolled: 1-line block ×20, first 2 shown]
	s_waitcnt vmcnt(0)
	v_subrev_u32_e32 v1, s12, v1
	v_fmac_f64_e32 v[84:85], v[30:31], v[36:37]
	v_fmac_f64_e32 v[76:77], 0, v[36:37]
	;; [unrolled: 1-line block ×4, first 2 shown]
	v_lshlrev_b32_e32 v36, 2, v1
	v_fmac_f64_e32 v[84:85], 0x80000000, v[38:39]
	v_fmac_f64_e32 v[76:77], v[30:31], v[38:39]
	;; [unrolled: 1-line block ×4, first 2 shown]
	v_add_co_u32_e32 v38, vcc, s13, v24
	v_ashrrev_i32_e32 v37, 31, v36
	s_nop 0
	v_addc_co_u32_e32 v39, vcc, 0, v25, vcc
	v_lshl_add_u64 v[52:53], v[36:37], 4, s[4:5]
	v_lshl_add_u64 v[12:13], v[24:25], 0, s[16:17]
	global_load_dwordx4 v[14:17], v[38:39], off
	global_load_dwordx4 v[18:21], v[12:13], off offset:48
	global_load_dwordx4 v[28:31], v[12:13], off offset:32
	;; [unrolled: 1-line block ×3, first 2 shown]
	s_nop 0
	global_load_dwordx4 v[36:39], v[52:53], off offset:48
	global_load_dwordx4 v[40:43], v[52:53], off offset:32
	;; [unrolled: 1-line block ×3, first 2 shown]
	global_load_dwordx4 v[48:51], v[52:53], off
	v_cmp_ge_i64_e32 vcc, v[26:27], v[80:81]
	v_lshl_add_u64 v[24:25], v[24:25], 0, s[20:21]
	s_or_b64 s[14:15], vcc, s[14:15]
	s_waitcnt vmcnt(0)
	v_fmac_f64_e32 v[88:89], 0, v[48:49]
	v_fmac_f64_e32 v[86:87], 0, v[48:49]
	;; [unrolled: 1-line block ×30, first 2 shown]
	global_load_dwordx4 v[14:17], v[12:13], off offset:112
	global_load_dwordx4 v[18:21], v[12:13], off offset:96
	;; [unrolled: 1-line block ×4, first 2 shown]
	global_load_dword v1, v[10:11], off offset:64
	v_fmac_f64_e32 v[76:77], 0, v[48:49]
	v_fmac_f64_e32 v[72:73], 0, v[48:49]
	;; [unrolled: 1-line block ×4, first 2 shown]
	v_lshl_add_u64 v[10:11], v[10:11], 0, s[18:19]
	s_waitcnt vmcnt(3)
	v_fmac_f64_e32 v[74:75], v[18:19], v[48:49]
	v_fmac_f64_e32 v[74:75], 0x80000000, v[50:51]
	s_waitcnt vmcnt(1)
	v_fmac_f64_e32 v[84:85], v[32:33], v[48:49]
	v_fmac_f64_e32 v[84:85], 0x80000000, v[50:51]
	;; [unrolled: 1-line block ×20, first 2 shown]
	s_waitcnt vmcnt(0)
	v_subrev_u32_e32 v1, s12, v1
	v_fmac_f64_e32 v[84:85], v[30:31], v[36:37]
	v_fmac_f64_e32 v[76:77], 0, v[36:37]
	;; [unrolled: 1-line block ×4, first 2 shown]
	v_lshlrev_b32_e32 v36, 2, v1
	v_ashrrev_i32_e32 v37, 31, v36
	v_lshl_add_u64 v[52:53], v[36:37], 4, s[4:5]
	v_fmac_f64_e32 v[84:85], 0x80000000, v[38:39]
	v_fmac_f64_e32 v[76:77], v[30:31], v[38:39]
	;; [unrolled: 1-line block ×4, first 2 shown]
	global_load_dwordx4 v[14:17], v[12:13], off offset:2096
	global_load_dwordx4 v[18:21], v[12:13], off offset:2080
	;; [unrolled: 1-line block ×7, first 2 shown]
	global_load_dwordx4 v[48:51], v[52:53], off
	s_waitcnt vmcnt(0)
	v_fmac_f64_e32 v[88:89], 0, v[48:49]
	v_fmac_f64_e32 v[86:87], 0, v[48:49]
	;; [unrolled: 1-line block ×30, first 2 shown]
	global_load_dwordx4 v[14:17], v[12:13], off offset:2160
	global_load_dwordx4 v[18:21], v[12:13], off offset:2144
	;; [unrolled: 1-line block ×4, first 2 shown]
	v_fmac_f64_e32 v[76:77], 0, v[48:49]
	v_fmac_f64_e32 v[72:73], 0, v[48:49]
	;; [unrolled: 1-line block ×4, first 2 shown]
	s_waitcnt vmcnt(2)
	v_fmac_f64_e32 v[74:75], v[18:19], v[48:49]
	v_fmac_f64_e32 v[74:75], 0x80000000, v[50:51]
	s_waitcnt vmcnt(0)
	v_fmac_f64_e32 v[84:85], v[32:33], v[48:49]
	v_fmac_f64_e32 v[84:85], 0x80000000, v[50:51]
	;; [unrolled: 1-line block ×28, first 2 shown]
	s_andn2_b64 exec, exec, s[14:15]
	s_cbranch_execnz .LBB142_19
; %bb.20:
	s_or_b64 exec, exec, s[14:15]
.LBB142_21:
	s_or_b64 exec, exec, s[10:11]
.LBB142_22:
	s_or_b64 exec, exec, s[6:7]
	s_cbranch_execz .LBB142_24
	s_branch .LBB142_35
.LBB142_23:
                                        ; implicit-def: $vgpr88_vgpr89
                                        ; implicit-def: $vgpr92_vgpr93
                                        ; implicit-def: $vgpr86_vgpr87
                                        ; implicit-def: $vgpr90_vgpr91
                                        ; implicit-def: $vgpr76_vgpr77
                                        ; implicit-def: $vgpr84_vgpr85
                                        ; implicit-def: $vgpr72_vgpr73
                                        ; implicit-def: $vgpr74_vgpr75
.LBB142_24:
	v_mov_b64_e32 v[88:89], 0
	v_mov_b64_e32 v[92:93], 0
	;; [unrolled: 1-line block ×8, first 2 shown]
	s_and_saveexec_b64 s[6:7], s[2:3]
	s_cbranch_execz .LBB142_34
; %bb.25:
	v_or_b32_e32 v1, 16, v0
	v_subrev_co_u32_e32 v10, vcc, s12, v1
	v_not_b32_e32 v13, v23
	s_nop 0
	v_subb_co_u32_e64 v11, s[2:3], 0, 0, vcc
	v_lshl_add_u64 v[10:11], v[10:11], 0, v[22:23]
	v_cmp_gt_i64_e32 vcc, v[10:11], v[80:81]
	v_not_b32_e32 v12, v22
	v_mov_b64_e32 v[74:75], 0
	v_cndmask_b32_e32 v11, v81, v11, vcc
	v_cndmask_b32_e32 v10, v80, v10, vcc
	v_sub_co_u32_e32 v14, vcc, s12, v0
	v_mov_b64_e32 v[72:73], 0
	s_nop 0
	v_subb_co_u32_e64 v15, s[2:3], 0, 0, vcc
	v_lshl_add_u64 v[12:13], v[14:15], 0, v[12:13]
	v_lshl_add_u64 v[10:11], v[12:13], 0, v[10:11]
	v_and_b32_e32 v12, 48, v10
	v_mov_b32_e32 v13, 0
	v_cmp_ne_u64_e32 vcc, 48, v[12:13]
	v_mov_b64_e32 v[84:85], 0
	v_mov_b64_e32 v[76:77], 0
	;; [unrolled: 1-line block ×6, first 2 shown]
	s_and_saveexec_b64 s[2:3], vcc
	s_cbranch_execz .LBB142_29
; %bb.26:
	v_lshrrev_b32_e32 v1, 4, v10
	v_add_u32_e32 v1, 1, v1
	v_and_b32_e32 v1, 3, v1
	v_sub_co_u32_e32 v14, vcc, 0, v1
	v_lshl_add_u64 v[12:13], v[78:79], 2, s[8:9]
	s_nop 0
	v_subb_co_u32_e64 v15, s[14:15], 0, 0, vcc
	s_mov_b64 s[10:11], 0
	v_mov_b64_e32 v[88:89], 0
	s_mov_b64 s[14:15], 0x800
	v_mov_b64_e32 v[92:93], 0
	v_mov_b64_e32 v[86:87], 0
	;; [unrolled: 1-line block ×7, first 2 shown]
.LBB142_27:                             ; =>This Inner Loop Header: Depth=1
	global_load_dword v1, v[12:13], off
	global_load_dwordx4 v[16:19], v[82:83], off offset:48
	global_load_dwordx4 v[20:23], v[82:83], off offset:32
	;; [unrolled: 1-line block ×3, first 2 shown]
	global_load_dwordx4 v[28:31], v[82:83], off
	global_load_dwordx4 v[32:35], v[82:83], off offset:96
	global_load_dwordx4 v[36:39], v[82:83], off offset:80
	;; [unrolled: 1-line block ×3, first 2 shown]
	v_lshl_add_u64 v[14:15], v[14:15], 0, 1
	v_cmp_eq_u64_e32 vcc, 0, v[14:15]
	v_lshl_add_u64 v[78:79], v[78:79], 0, 16
	v_lshl_add_u64 v[12:13], v[12:13], 0, 64
	s_or_b64 s[10:11], vcc, s[10:11]
	s_waitcnt vmcnt(7)
	v_subrev_u32_e32 v1, s12, v1
	v_lshlrev_b32_e32 v44, 2, v1
	v_ashrrev_i32_e32 v45, 31, v44
	s_waitcnt lgkmcnt(0)
	v_lshl_add_u64 v[64:65], v[44:45], 4, s[4:5]
	global_load_dwordx4 v[44:47], v[64:65], off
	global_load_dwordx4 v[48:51], v[64:65], off offset:16
	global_load_dwordx4 v[52:55], v[64:65], off offset:32
	global_load_dwordx4 v[56:59], v[64:65], off offset:48
	global_load_dwordx4 v[60:63], v[82:83], off offset:112
	v_lshl_add_u64 v[82:83], v[82:83], 0, s[14:15]
	s_waitcnt vmcnt(4)
	v_fmac_f64_e32 v[92:93], v[28:29], v[44:45]
	v_fmac_f64_e32 v[88:89], 0, v[44:45]
	v_fmac_f64_e32 v[90:91], v[30:31], v[44:45]
	v_fmac_f64_e32 v[86:87], 0, v[44:45]
	v_fmac_f64_e32 v[84:85], v[24:25], v[44:45]
	v_fmac_f64_e32 v[76:77], 0, v[44:45]
	v_fmac_f64_e32 v[74:75], v[26:27], v[44:45]
	v_fmac_f64_e32 v[72:73], 0, v[44:45]
	v_fmac_f64_e32 v[92:93], 0x80000000, v[46:47]
	v_fmac_f64_e32 v[88:89], v[28:29], v[46:47]
	v_fmac_f64_e32 v[90:91], 0x80000000, v[46:47]
	v_fmac_f64_e32 v[86:87], v[30:31], v[46:47]
	v_fmac_f64_e32 v[84:85], 0x80000000, v[46:47]
	v_fmac_f64_e32 v[76:77], v[24:25], v[46:47]
	v_fmac_f64_e32 v[74:75], 0x80000000, v[46:47]
	v_fmac_f64_e32 v[72:73], v[26:27], v[46:47]
	s_waitcnt vmcnt(3)
	v_fmac_f64_e32 v[92:93], v[20:21], v[48:49]
	v_fmac_f64_e32 v[88:89], 0, v[48:49]
	v_fmac_f64_e32 v[90:91], v[22:23], v[48:49]
	v_fmac_f64_e32 v[86:87], 0, v[48:49]
	v_fmac_f64_e32 v[84:85], v[16:17], v[48:49]
	v_fmac_f64_e32 v[76:77], 0, v[48:49]
	v_fmac_f64_e32 v[74:75], v[18:19], v[48:49]
	v_fmac_f64_e32 v[72:73], 0, v[48:49]
	v_fmac_f64_e32 v[92:93], 0x80000000, v[50:51]
	v_fmac_f64_e32 v[88:89], v[20:21], v[50:51]
	v_fmac_f64_e32 v[90:91], 0x80000000, v[50:51]
	v_fmac_f64_e32 v[86:87], v[22:23], v[50:51]
	v_fmac_f64_e32 v[84:85], 0x80000000, v[50:51]
	v_fmac_f64_e32 v[76:77], v[16:17], v[50:51]
	v_fmac_f64_e32 v[74:75], 0x80000000, v[50:51]
	v_fmac_f64_e32 v[72:73], v[18:19], v[50:51]
	;; [unrolled: 17-line block ×3, first 2 shown]
	s_waitcnt vmcnt(1)
	v_fmac_f64_e32 v[92:93], v[32:33], v[56:57]
	v_fmac_f64_e32 v[88:89], 0, v[56:57]
	;; [unrolled: 1-line block ×4, first 2 shown]
	s_waitcnt vmcnt(0)
	v_fmac_f64_e32 v[84:85], v[60:61], v[56:57]
	v_fmac_f64_e32 v[76:77], 0, v[56:57]
	;; [unrolled: 1-line block ×12, first 2 shown]
	s_andn2_b64 exec, exec, s[10:11]
	s_cbranch_execnz .LBB142_27
; %bb.28:
	s_or_b64 exec, exec, s[10:11]
.LBB142_29:
	s_or_b64 exec, exec, s[2:3]
	v_cmp_lt_u64_e32 vcc, 47, v[10:11]
	s_and_saveexec_b64 s[2:3], vcc
	s_cbranch_execz .LBB142_33
; %bb.30:
	v_lshl_add_u64 v[10:11], v[78:79], 2, s[8:9]
	s_mov_b64 s[8:9], 0x80
	v_lshl_add_u64 v[94:95], v[10:11], 0, s[8:9]
	s_mov_b64 s[8:9], 0
	s_mov_b64 s[10:11], 0x1000
	s_movk_i32 s13, 0x1000
	s_mov_b64 s[14:15], 0x100
	s_mov_b64 s[16:17], 0x2000
.LBB142_31:                             ; =>This Inner Loop Header: Depth=1
	global_load_dword v62, v[94:95], off offset:-128
	global_load_dwordx4 v[10:13], v[82:83], off offset:48
	global_load_dwordx4 v[14:17], v[82:83], off offset:32
	;; [unrolled: 1-line block ×3, first 2 shown]
	global_load_dwordx4 v[58:61], v[82:83], off
	global_load_dwordx4 v[18:21], v[82:83], off offset:112
	global_load_dwordx4 v[26:29], v[82:83], off offset:96
	;; [unrolled: 1-line block ×9, first 2 shown]
	global_load_dword v71, v[94:95], off offset:-64
	global_load_dword v106, v[94:95], off
	global_load_dword v1, v[94:95], off offset:64
	v_lshl_add_u64 v[96:97], v[82:83], 0, s[10:11]
	v_add_co_u32_e32 v102, vcc, s13, v82
	v_lshl_add_u64 v[78:79], v[78:79], 0, 64
	s_nop 0
	v_addc_co_u32_e32 v103, vcc, 0, v83, vcc
	v_cmp_ge_i64_e32 vcc, v[78:79], v[80:81]
	v_lshl_add_u64 v[94:95], v[94:95], 0, s[14:15]
	s_or_b64 s[8:9], vcc, s[8:9]
	s_waitcnt vmcnt(16)
	v_subrev_u32_e32 v62, s12, v62
	v_lshlrev_b32_e32 v62, 2, v62
	v_ashrrev_i32_e32 v63, 31, v62
	s_waitcnt lgkmcnt(0)
	v_lshl_add_u64 v[98:99], v[62:63], 4, s[4:5]
	global_load_dwordx4 v[62:65], v[98:99], off
	global_load_dwordx4 v[66:69], v[98:99], off offset:16
	s_waitcnt vmcnt(2)
	v_subrev_u32_e32 v1, s12, v1
	s_waitcnt vmcnt(1)
	v_fmac_f64_e32 v[92:93], v[58:59], v[62:63]
	v_fmac_f64_e32 v[88:89], 0, v[62:63]
	v_fmac_f64_e32 v[90:91], v[60:61], v[62:63]
	v_fmac_f64_e32 v[86:87], 0, v[62:63]
	v_fmac_f64_e32 v[84:85], v[54:55], v[62:63]
	v_fmac_f64_e32 v[76:77], 0, v[62:63]
	v_fmac_f64_e32 v[74:75], v[56:57], v[62:63]
	v_fmac_f64_e32 v[72:73], 0, v[62:63]
	v_fmac_f64_e32 v[88:89], v[58:59], v[64:65]
	v_fmac_f64_e32 v[86:87], v[60:61], v[64:65]
	v_fmac_f64_e32 v[76:77], v[54:55], v[64:65]
	v_fmac_f64_e32 v[72:73], v[56:57], v[64:65]
	v_fmac_f64_e32 v[92:93], 0x80000000, v[64:65]
	v_fmac_f64_e32 v[90:91], 0x80000000, v[64:65]
	v_fmac_f64_e32 v[84:85], 0x80000000, v[64:65]
	v_fmac_f64_e32 v[74:75], 0x80000000, v[64:65]
	s_waitcnt vmcnt(0)
	v_fmac_f64_e32 v[92:93], v[14:15], v[66:67]
	v_fmac_f64_e32 v[88:89], 0, v[66:67]
	v_fmac_f64_e32 v[90:91], v[16:17], v[66:67]
	v_fmac_f64_e32 v[86:87], 0, v[66:67]
	v_fmac_f64_e32 v[84:85], v[10:11], v[66:67]
	v_fmac_f64_e32 v[76:77], 0, v[66:67]
	v_fmac_f64_e32 v[74:75], v[12:13], v[66:67]
	v_fmac_f64_e32 v[72:73], 0, v[66:67]
	global_load_dwordx4 v[58:61], v[82:83], off offset:2144
	global_load_dwordx4 v[54:57], v[82:83], off offset:2128
	;; [unrolled: 1-line block ×3, first 2 shown]
	v_fmac_f64_e32 v[88:89], v[14:15], v[68:69]
	v_fmac_f64_e32 v[86:87], v[16:17], v[68:69]
	v_fmac_f64_e32 v[76:77], v[10:11], v[68:69]
	v_fmac_f64_e32 v[72:73], v[12:13], v[68:69]
	global_load_dwordx4 v[10:13], v[96:97], off offset:48
	v_fmac_f64_e32 v[92:93], 0x80000000, v[68:69]
	v_fmac_f64_e32 v[90:91], 0x80000000, v[68:69]
	;; [unrolled: 1-line block ×4, first 2 shown]
	global_load_dwordx4 v[14:17], v[98:99], off offset:32
	global_load_dwordx4 v[66:69], v[98:99], off offset:48
	v_lshl_add_u64 v[82:83], v[82:83], 0, s[16:17]
	global_load_dwordx4 v[98:101], v[96:97], off offset:16
	s_waitcnt vmcnt(2)
	v_fmac_f64_e32 v[76:77], 0, v[14:15]
	v_fmac_f64_e32 v[84:85], v[38:39], v[14:15]
	;; [unrolled: 1-line block ×3, first 2 shown]
	v_subrev_u32_e32 v38, s12, v71
	v_fmac_f64_e32 v[72:73], 0, v[14:15]
	v_lshlrev_b32_e32 v38, 2, v38
	v_fmac_f64_e32 v[74:75], v[40:41], v[14:15]
	v_fmac_f64_e32 v[72:73], v[40:41], v[16:17]
	v_ashrrev_i32_e32 v39, 31, v38
	v_fmac_f64_e32 v[92:93], v[46:47], v[14:15]
	v_fmac_f64_e32 v[88:89], 0, v[14:15]
	v_fmac_f64_e32 v[90:91], v[48:49], v[14:15]
	v_fmac_f64_e32 v[86:87], 0, v[14:15]
	v_fmac_f64_e32 v[84:85], 0x80000000, v[16:17]
	v_fmac_f64_e32 v[74:75], 0x80000000, v[16:17]
	v_lshl_add_u64 v[104:105], v[38:39], 4, s[4:5]
	s_waitcnt vmcnt(1)
	v_fmac_f64_e32 v[76:77], 0, v[66:67]
	v_fmac_f64_e32 v[72:73], 0, v[66:67]
	;; [unrolled: 1-line block ×10, first 2 shown]
	global_load_dwordx4 v[18:21], v[104:105], off
	v_fmac_f64_e32 v[92:93], v[26:27], v[66:67]
	v_fmac_f64_e32 v[88:89], 0, v[66:67]
	;; [unrolled: 1-line block ×10, first 2 shown]
	global_load_dwordx4 v[66:69], v[104:105], off offset:16
	v_subrev_u32_e32 v71, s12, v106
	global_load_dwordx4 v[46:49], v[96:97], off offset:32
	global_load_dwordx4 v[14:17], v[96:97], off offset:112
	;; [unrolled: 1-line block ×4, first 2 shown]
	s_waitcnt vmcnt(5)
	v_fmac_f64_e32 v[76:77], 0, v[18:19]
	v_fmac_f64_e32 v[72:73], 0, v[18:19]
	;; [unrolled: 1-line block ×11, first 2 shown]
	s_waitcnt vmcnt(4)
	v_fmac_f64_e32 v[76:77], 0, v[66:67]
	v_fmac_f64_e32 v[72:73], 0, v[66:67]
	;; [unrolled: 1-line block ×6, first 2 shown]
	global_load_dwordx4 v[22:25], v[104:105], off offset:32
	v_fmac_f64_e32 v[90:91], v[52:53], v[18:19]
	v_fmac_f64_e32 v[88:89], v[50:51], v[20:21]
	;; [unrolled: 1-line block ×3, first 2 shown]
	global_load_dwordx4 v[50:53], v[104:105], off offset:48
	v_fmac_f64_e32 v[92:93], 0x80000000, v[20:21]
	v_fmac_f64_e32 v[88:89], 0, v[66:67]
	;; [unrolled: 1-line block ×12, first 2 shown]
	global_load_dwordx4 v[42:45], v[96:97], off offset:64
	global_load_dwordx4 v[18:21], v[96:97], off offset:2080
	;; [unrolled: 1-line block ×3, first 2 shown]
	s_waitcnt vmcnt(4)
	v_fmac_f64_e32 v[88:89], 0, v[22:23]
	v_fmac_f64_e32 v[92:93], v[62:63], v[22:23]
	;; [unrolled: 1-line block ×4, first 2 shown]
	s_waitcnt vmcnt(3)
	v_fmac_f64_e32 v[88:89], 0, v[50:51]
	v_fmac_f64_e32 v[76:77], 0, v[22:23]
	;; [unrolled: 1-line block ×5, first 2 shown]
	v_lshlrev_b32_e32 v58, 2, v71
	v_fmac_f64_e32 v[90:91], v[64:65], v[22:23]
	v_fmac_f64_e32 v[86:87], 0, v[22:23]
	;; [unrolled: 1-line block ×6, first 2 shown]
	v_ashrrev_i32_e32 v59, 31, v58
	v_fmac_f64_e32 v[86:87], v[64:65], v[24:25]
	global_load_dwordx4 v[62:65], v[96:97], off offset:2048
	global_load_dwordx4 v[54:57], v[96:97], off offset:2144
	v_fmac_f64_e32 v[90:91], 0x80000000, v[24:25]
	v_fmac_f64_e32 v[84:85], 0x80000000, v[24:25]
	;; [unrolled: 1-line block ×3, first 2 shown]
	global_load_dwordx4 v[22:25], v[96:97], off offset:2160
	global_load_dwordx4 v[66:69], v[102:103], off
	v_lshl_add_u64 v[102:103], v[58:59], 4, s[4:5]
	v_fmac_f64_e32 v[76:77], 0, v[50:51]
	v_fmac_f64_e32 v[72:73], 0, v[50:51]
	;; [unrolled: 1-line block ×6, first 2 shown]
	global_load_dwordx4 v[34:37], v[102:103], off
	v_fmac_f64_e32 v[90:91], v[60:61], v[50:51]
	v_fmac_f64_e32 v[86:87], 0, v[50:51]
	;; [unrolled: 1-line block ×7, first 2 shown]
	global_load_dwordx4 v[50:53], v[102:103], off offset:16
	global_load_dwordx4 v[58:61], v[96:97], off offset:2128
	s_waitcnt vmcnt(2)
	v_fmac_f64_e32 v[92:93], v[66:67], v[34:35]
	v_fmac_f64_e32 v[88:89], 0, v[34:35]
	;; [unrolled: 1-line block ×8, first 2 shown]
	v_lshlrev_b32_e32 v34, 2, v1
	v_ashrrev_i32_e32 v35, 31, v34
	v_fmac_f64_e32 v[88:89], v[66:67], v[36:37]
	v_fmac_f64_e32 v[86:87], v[68:69], v[36:37]
	;; [unrolled: 1-line block ×4, first 2 shown]
	global_load_dwordx4 v[66:69], v[96:97], off offset:2096
	global_load_dwordx4 v[98:101], v[96:97], off offset:2112
	v_lshl_add_u64 v[96:97], v[34:35], 4, s[4:5]
	v_fmac_f64_e32 v[92:93], 0x80000000, v[36:37]
	v_fmac_f64_e32 v[90:91], 0x80000000, v[36:37]
	;; [unrolled: 1-line block ×4, first 2 shown]
	global_load_dwordx4 v[34:37], v[102:103], off offset:32
	s_waitcnt vmcnt(4)
	v_fmac_f64_e32 v[88:89], 0, v[50:51]
	v_fmac_f64_e32 v[86:87], 0, v[50:51]
	;; [unrolled: 1-line block ×6, first 2 shown]
	global_load_dwordx4 v[46:49], v[102:103], off offset:48
	v_fmac_f64_e32 v[76:77], 0, v[50:51]
	v_fmac_f64_e32 v[72:73], 0, v[50:51]
	;; [unrolled: 1-line block ×6, first 2 shown]
	global_load_dwordx4 v[10:13], v[96:97], off
	v_fmac_f64_e32 v[92:93], 0x80000000, v[52:53]
	v_fmac_f64_e32 v[90:91], 0x80000000, v[52:53]
	v_fmac_f64_e32 v[84:85], 0x80000000, v[52:53]
	v_fmac_f64_e32 v[74:75], 0x80000000, v[52:53]
	global_load_dwordx4 v[50:53], v[96:97], off offset:16
	s_waitcnt vmcnt(3)
	v_fmac_f64_e32 v[88:89], 0, v[34:35]
	v_fmac_f64_e32 v[86:87], 0, v[34:35]
	;; [unrolled: 1-line block ×6, first 2 shown]
	global_load_dwordx4 v[42:45], v[96:97], off offset:32
	global_load_dwordx4 v[102:105], v[96:97], off offset:48
	v_fmac_f64_e32 v[84:85], v[38:39], v[34:35]
	v_fmac_f64_e32 v[76:77], 0, v[34:35]
	v_fmac_f64_e32 v[74:75], v[40:41], v[34:35]
	v_fmac_f64_e32 v[72:73], 0, v[34:35]
	v_fmac_f64_e32 v[76:77], v[38:39], v[36:37]
	v_fmac_f64_e32 v[72:73], v[40:41], v[36:37]
	v_fmac_f64_e32 v[92:93], 0x80000000, v[36:37]
	v_fmac_f64_e32 v[90:91], 0x80000000, v[36:37]
	v_fmac_f64_e32 v[84:85], 0x80000000, v[36:37]
	v_fmac_f64_e32 v[74:75], 0x80000000, v[36:37]
	s_waitcnt vmcnt(4)
	v_fmac_f64_e32 v[92:93], v[26:27], v[46:47]
	v_fmac_f64_e32 v[88:89], 0, v[46:47]
	v_fmac_f64_e32 v[90:91], v[28:29], v[46:47]
	v_fmac_f64_e32 v[86:87], 0, v[46:47]
	v_fmac_f64_e32 v[84:85], v[14:15], v[46:47]
	v_fmac_f64_e32 v[76:77], 0, v[46:47]
	v_fmac_f64_e32 v[74:75], v[16:17], v[46:47]
	v_fmac_f64_e32 v[72:73], 0, v[46:47]
	v_fmac_f64_e32 v[92:93], 0x80000000, v[48:49]
	v_fmac_f64_e32 v[88:89], v[26:27], v[48:49]
	v_fmac_f64_e32 v[90:91], 0x80000000, v[48:49]
	v_fmac_f64_e32 v[86:87], v[28:29], v[48:49]
	v_fmac_f64_e32 v[84:85], 0x80000000, v[48:49]
	v_fmac_f64_e32 v[76:77], v[14:15], v[48:49]
	v_fmac_f64_e32 v[74:75], 0x80000000, v[48:49]
	v_fmac_f64_e32 v[72:73], v[16:17], v[48:49]
	s_waitcnt vmcnt(3)
	v_fmac_f64_e32 v[92:93], v[62:63], v[10:11]
	v_fmac_f64_e32 v[88:89], 0, v[10:11]
	v_fmac_f64_e32 v[90:91], v[64:65], v[10:11]
	v_fmac_f64_e32 v[86:87], 0, v[10:11]
	v_fmac_f64_e32 v[84:85], v[30:31], v[10:11]
	v_fmac_f64_e32 v[76:77], 0, v[10:11]
	;; [unrolled: 17-line block ×5, first 2 shown]
	v_fmac_f64_e32 v[74:75], v[24:25], v[102:103]
	v_fmac_f64_e32 v[72:73], 0, v[102:103]
	v_fmac_f64_e32 v[92:93], 0x80000000, v[104:105]
	v_fmac_f64_e32 v[88:89], v[54:55], v[104:105]
	v_fmac_f64_e32 v[90:91], 0x80000000, v[104:105]
	v_fmac_f64_e32 v[86:87], v[56:57], v[104:105]
	v_fmac_f64_e32 v[84:85], 0x80000000, v[104:105]
	v_fmac_f64_e32 v[76:77], v[22:23], v[104:105]
	v_fmac_f64_e32 v[74:75], 0x80000000, v[104:105]
	v_fmac_f64_e32 v[72:73], v[24:25], v[104:105]
	s_andn2_b64 exec, exec, s[8:9]
	s_cbranch_execnz .LBB142_31
; %bb.32:
	s_or_b64 exec, exec, s[8:9]
.LBB142_33:
	s_or_b64 exec, exec, s[2:3]
.LBB142_34:
	s_or_b64 exec, exec, s[6:7]
.LBB142_35:
	v_mov_b32_dpp v10, v92 row_shr:1 row_mask:0xf bank_mask:0xf
	v_mov_b32_dpp v11, v93 row_shr:1 row_mask:0xf bank_mask:0xf
	v_mov_b32_dpp v14, v88 row_shr:1 row_mask:0xf bank_mask:0xf
	v_mov_b32_dpp v15, v89 row_shr:1 row_mask:0xf bank_mask:0xf
	v_mov_b32_dpp v18, v90 row_shr:1 row_mask:0xf bank_mask:0xf
	v_mov_b32_dpp v19, v91 row_shr:1 row_mask:0xf bank_mask:0xf
	v_mov_b32_dpp v22, v86 row_shr:1 row_mask:0xf bank_mask:0xf
	v_mov_b32_dpp v23, v87 row_shr:1 row_mask:0xf bank_mask:0xf
	v_mov_b32_dpp v26, v84 row_shr:1 row_mask:0xf bank_mask:0xf
	v_mov_b32_dpp v27, v85 row_shr:1 row_mask:0xf bank_mask:0xf
	v_mov_b32_dpp v30, v76 row_shr:1 row_mask:0xf bank_mask:0xf
	v_mov_b32_dpp v31, v77 row_shr:1 row_mask:0xf bank_mask:0xf
	v_mov_b32_dpp v34, v74 row_shr:1 row_mask:0xf bank_mask:0xf
	v_mov_b32_dpp v35, v75 row_shr:1 row_mask:0xf bank_mask:0xf
	v_mov_b32_dpp v38, v72 row_shr:1 row_mask:0xf bank_mask:0xf
	v_mov_b32_dpp v39, v73 row_shr:1 row_mask:0xf bank_mask:0xf
	v_add_f64 v[10:11], v[92:93], v[10:11]
	v_add_f64 v[14:15], v[88:89], v[14:15]
	v_add_f64 v[18:19], v[90:91], v[18:19]
	v_add_f64 v[22:23], v[86:87], v[22:23]
	v_add_f64 v[26:27], v[84:85], v[26:27]
	v_add_f64 v[30:31], v[76:77], v[30:31]
	v_add_f64 v[34:35], v[74:75], v[34:35]
	v_add_f64 v[38:39], v[72:73], v[38:39]
	v_mov_b32_dpp v12, v10 row_shr:2 row_mask:0xf bank_mask:0xf
	v_mov_b32_dpp v13, v11 row_shr:2 row_mask:0xf bank_mask:0xf
	v_mov_b32_dpp v16, v14 row_shr:2 row_mask:0xf bank_mask:0xf
	v_mov_b32_dpp v17, v15 row_shr:2 row_mask:0xf bank_mask:0xf
	v_mov_b32_dpp v20, v18 row_shr:2 row_mask:0xf bank_mask:0xf
	v_mov_b32_dpp v21, v19 row_shr:2 row_mask:0xf bank_mask:0xf
	v_mov_b32_dpp v24, v22 row_shr:2 row_mask:0xf bank_mask:0xf
	v_mov_b32_dpp v25, v23 row_shr:2 row_mask:0xf bank_mask:0xf
	v_mov_b32_dpp v28, v26 row_shr:2 row_mask:0xf bank_mask:0xf
	v_mov_b32_dpp v29, v27 row_shr:2 row_mask:0xf bank_mask:0xf
	v_mov_b32_dpp v32, v30 row_shr:2 row_mask:0xf bank_mask:0xf
	v_mov_b32_dpp v33, v31 row_shr:2 row_mask:0xf bank_mask:0xf
	v_mov_b32_dpp v36, v34 row_shr:2 row_mask:0xf bank_mask:0xf
	v_mov_b32_dpp v37, v35 row_shr:2 row_mask:0xf bank_mask:0xf
	v_mov_b32_dpp v40, v38 row_shr:2 row_mask:0xf bank_mask:0xf
	v_mov_b32_dpp v41, v39 row_shr:2 row_mask:0xf bank_mask:0xf
	v_add_f64 v[10:11], v[10:11], v[12:13]
	v_add_f64 v[14:15], v[14:15], v[16:17]
	v_add_f64 v[18:19], v[18:19], v[20:21]
	v_add_f64 v[22:23], v[22:23], v[24:25]
	v_add_f64 v[26:27], v[26:27], v[28:29]
	v_add_f64 v[30:31], v[30:31], v[32:33]
	v_add_f64 v[34:35], v[34:35], v[36:37]
	v_add_f64 v[38:39], v[38:39], v[40:41]
	;; [unrolled: 24-line block ×3, first 2 shown]
	v_mov_b32_dpp v12, v10 row_shr:8 row_mask:0xf bank_mask:0xc
	v_mov_b32_dpp v13, v11 row_shr:8 row_mask:0xf bank_mask:0xc
	v_mov_b32_dpp v16, v14 row_shr:8 row_mask:0xf bank_mask:0xc
	v_mov_b32_dpp v17, v15 row_shr:8 row_mask:0xf bank_mask:0xc
	v_mov_b32_dpp v20, v18 row_shr:8 row_mask:0xf bank_mask:0xc
	v_mov_b32_dpp v21, v19 row_shr:8 row_mask:0xf bank_mask:0xc
	v_mov_b32_dpp v24, v22 row_shr:8 row_mask:0xf bank_mask:0xc
	v_mov_b32_dpp v25, v23 row_shr:8 row_mask:0xf bank_mask:0xc
	v_mov_b32_dpp v28, v26 row_shr:8 row_mask:0xf bank_mask:0xc
	v_mov_b32_dpp v29, v27 row_shr:8 row_mask:0xf bank_mask:0xc
	v_mov_b32_dpp v32, v30 row_shr:8 row_mask:0xf bank_mask:0xc
	v_mov_b32_dpp v33, v31 row_shr:8 row_mask:0xf bank_mask:0xc
	v_mov_b32_dpp v36, v34 row_shr:8 row_mask:0xf bank_mask:0xc
	v_mov_b32_dpp v37, v35 row_shr:8 row_mask:0xf bank_mask:0xc
	v_mov_b32_dpp v40, v38 row_shr:8 row_mask:0xf bank_mask:0xc
	v_mov_b32_dpp v41, v39 row_shr:8 row_mask:0xf bank_mask:0xc
	v_cmp_eq_u32_e32 vcc, 15, v0
	s_and_b64 exec, exec, vcc
	s_cbranch_execz .LBB142_8
; %bb.36:
	s_load_dwordx2 s[2:3], s[0:1], 0x60
	v_add_f64 v[0:1], v[10:11], v[12:13]
	v_add_f64 v[10:11], v[14:15], v[16:17]
	;; [unrolled: 1-line block ×8, first 2 shown]
	v_cmp_eq_f64_e32 vcc, 0, v[2:3]
	v_cmp_eq_f64_e64 s[0:1], 0, v[4:5]
	v_mul_f64 v[22:23], v[10:11], -v[8:9]
	v_mul_f64 v[24:25], v[6:7], v[10:11]
	v_mul_f64 v[18:19], v[12:13], -v[8:9]
	v_mul_f64 v[20:21], v[6:7], v[12:13]
	;; [unrolled: 2-line block ×4, first 2 shown]
	s_and_b64 s[0:1], vcc, s[0:1]
	v_fmac_f64_e32 v[22:23], v[6:7], v[0:1]
	v_fmac_f64_e32 v[24:25], v[8:9], v[0:1]
	v_lshlrev_b32_e32 v0, 2, v70
	v_fmac_f64_e32 v[18:19], v[6:7], v[42:43]
	v_fmac_f64_e32 v[20:21], v[8:9], v[42:43]
	;; [unrolled: 1-line block ×6, first 2 shown]
	s_waitcnt lgkmcnt(0)
	s_and_saveexec_b64 s[4:5], s[0:1]
	s_xor_b64 s[0:1], exec, s[4:5]
	s_cbranch_execz .LBB142_38
; %bb.37:
	v_ashrrev_i32_e32 v1, 31, v0
	v_lshl_add_u64 v[0:1], v[0:1], 4, s[2:3]
	global_store_dwordx4 v[0:1], v[22:25], off
	global_store_dwordx4 v[0:1], v[18:21], off offset:16
	global_store_dwordx4 v[0:1], v[14:17], off offset:32
	;; [unrolled: 1-line block ×3, first 2 shown]
                                        ; implicit-def: $vgpr4_vgpr5
                                        ; implicit-def: $vgpr22_vgpr23
                                        ; implicit-def: $vgpr0
                                        ; implicit-def: $vgpr18_vgpr19
                                        ; implicit-def: $vgpr14_vgpr15
                                        ; implicit-def: $vgpr10_vgpr11
.LBB142_38:
	s_andn2_saveexec_b64 s[0:1], s[0:1]
	s_cbranch_execz .LBB142_8
; %bb.39:
	v_ashrrev_i32_e32 v1, 31, v0
	v_lshl_add_u64 v[0:1], v[0:1], 4, s[2:3]
	global_load_dwordx4 v[6:9], v[0:1], off
	global_load_dwordx4 v[26:29], v[0:1], off offset:16
	global_load_dwordx4 v[30:33], v[0:1], off offset:32
	;; [unrolled: 1-line block ×3, first 2 shown]
	s_waitcnt vmcnt(3)
	v_fmac_f64_e32 v[22:23], v[2:3], v[6:7]
	v_fmac_f64_e32 v[24:25], v[4:5], v[6:7]
	s_waitcnt vmcnt(2)
	v_fmac_f64_e32 v[18:19], v[2:3], v[26:27]
	v_fmac_f64_e32 v[20:21], v[4:5], v[26:27]
	;; [unrolled: 3-line block ×4, first 2 shown]
	v_fma_f64 v[22:23], -v[4:5], v[8:9], v[22:23]
	v_fmac_f64_e32 v[24:25], v[2:3], v[8:9]
	v_fma_f64 v[18:19], -v[4:5], v[28:29], v[18:19]
	v_fmac_f64_e32 v[20:21], v[2:3], v[28:29]
	;; [unrolled: 2-line block ×4, first 2 shown]
	global_store_dwordx4 v[0:1], v[22:25], off
	global_store_dwordx4 v[0:1], v[18:21], off offset:16
	global_store_dwordx4 v[0:1], v[14:17], off offset:32
	global_store_dwordx4 v[0:1], v[10:13], off offset:48
	s_endpgm
	.section	.rodata,"a",@progbits
	.p2align	6, 0x0
	.amdhsa_kernel _ZN9rocsparseL18bsrxmvn_4x4_kernelILj128ELj16E21rocsparse_complex_numIdElidS2_S2_EEvT3_20rocsparse_direction_NS_24const_host_device_scalarIT1_EES3_PKS3_PKT2_SC_S9_PKT4_PKT5_S7_PT6_21rocsparse_index_base_b
		.amdhsa_group_segment_fixed_size 0
		.amdhsa_private_segment_fixed_size 0
		.amdhsa_kernarg_size 112
		.amdhsa_user_sgpr_count 2
		.amdhsa_user_sgpr_dispatch_ptr 0
		.amdhsa_user_sgpr_queue_ptr 0
		.amdhsa_user_sgpr_kernarg_segment_ptr 1
		.amdhsa_user_sgpr_dispatch_id 0
		.amdhsa_user_sgpr_kernarg_preload_length 0
		.amdhsa_user_sgpr_kernarg_preload_offset 0
		.amdhsa_user_sgpr_private_segment_size 0
		.amdhsa_uses_dynamic_stack 0
		.amdhsa_enable_private_segment 0
		.amdhsa_system_sgpr_workgroup_id_x 1
		.amdhsa_system_sgpr_workgroup_id_y 0
		.amdhsa_system_sgpr_workgroup_id_z 0
		.amdhsa_system_sgpr_workgroup_info 0
		.amdhsa_system_vgpr_workitem_id 0
		.amdhsa_next_free_vgpr 107
		.amdhsa_next_free_sgpr 22
		.amdhsa_accum_offset 108
		.amdhsa_reserve_vcc 1
		.amdhsa_float_round_mode_32 0
		.amdhsa_float_round_mode_16_64 0
		.amdhsa_float_denorm_mode_32 3
		.amdhsa_float_denorm_mode_16_64 3
		.amdhsa_dx10_clamp 1
		.amdhsa_ieee_mode 1
		.amdhsa_fp16_overflow 0
		.amdhsa_tg_split 0
		.amdhsa_exception_fp_ieee_invalid_op 0
		.amdhsa_exception_fp_denorm_src 0
		.amdhsa_exception_fp_ieee_div_zero 0
		.amdhsa_exception_fp_ieee_overflow 0
		.amdhsa_exception_fp_ieee_underflow 0
		.amdhsa_exception_fp_ieee_inexact 0
		.amdhsa_exception_int_div_zero 0
	.end_amdhsa_kernel
	.section	.text._ZN9rocsparseL18bsrxmvn_4x4_kernelILj128ELj16E21rocsparse_complex_numIdElidS2_S2_EEvT3_20rocsparse_direction_NS_24const_host_device_scalarIT1_EES3_PKS3_PKT2_SC_S9_PKT4_PKT5_S7_PT6_21rocsparse_index_base_b,"axG",@progbits,_ZN9rocsparseL18bsrxmvn_4x4_kernelILj128ELj16E21rocsparse_complex_numIdElidS2_S2_EEvT3_20rocsparse_direction_NS_24const_host_device_scalarIT1_EES3_PKS3_PKT2_SC_S9_PKT4_PKT5_S7_PT6_21rocsparse_index_base_b,comdat
.Lfunc_end142:
	.size	_ZN9rocsparseL18bsrxmvn_4x4_kernelILj128ELj16E21rocsparse_complex_numIdElidS2_S2_EEvT3_20rocsparse_direction_NS_24const_host_device_scalarIT1_EES3_PKS3_PKT2_SC_S9_PKT4_PKT5_S7_PT6_21rocsparse_index_base_b, .Lfunc_end142-_ZN9rocsparseL18bsrxmvn_4x4_kernelILj128ELj16E21rocsparse_complex_numIdElidS2_S2_EEvT3_20rocsparse_direction_NS_24const_host_device_scalarIT1_EES3_PKS3_PKT2_SC_S9_PKT4_PKT5_S7_PT6_21rocsparse_index_base_b
                                        ; -- End function
	.set _ZN9rocsparseL18bsrxmvn_4x4_kernelILj128ELj16E21rocsparse_complex_numIdElidS2_S2_EEvT3_20rocsparse_direction_NS_24const_host_device_scalarIT1_EES3_PKS3_PKT2_SC_S9_PKT4_PKT5_S7_PT6_21rocsparse_index_base_b.num_vgpr, 107
	.set _ZN9rocsparseL18bsrxmvn_4x4_kernelILj128ELj16E21rocsparse_complex_numIdElidS2_S2_EEvT3_20rocsparse_direction_NS_24const_host_device_scalarIT1_EES3_PKS3_PKT2_SC_S9_PKT4_PKT5_S7_PT6_21rocsparse_index_base_b.num_agpr, 0
	.set _ZN9rocsparseL18bsrxmvn_4x4_kernelILj128ELj16E21rocsparse_complex_numIdElidS2_S2_EEvT3_20rocsparse_direction_NS_24const_host_device_scalarIT1_EES3_PKS3_PKT2_SC_S9_PKT4_PKT5_S7_PT6_21rocsparse_index_base_b.numbered_sgpr, 22
	.set _ZN9rocsparseL18bsrxmvn_4x4_kernelILj128ELj16E21rocsparse_complex_numIdElidS2_S2_EEvT3_20rocsparse_direction_NS_24const_host_device_scalarIT1_EES3_PKS3_PKT2_SC_S9_PKT4_PKT5_S7_PT6_21rocsparse_index_base_b.num_named_barrier, 0
	.set _ZN9rocsparseL18bsrxmvn_4x4_kernelILj128ELj16E21rocsparse_complex_numIdElidS2_S2_EEvT3_20rocsparse_direction_NS_24const_host_device_scalarIT1_EES3_PKS3_PKT2_SC_S9_PKT4_PKT5_S7_PT6_21rocsparse_index_base_b.private_seg_size, 0
	.set _ZN9rocsparseL18bsrxmvn_4x4_kernelILj128ELj16E21rocsparse_complex_numIdElidS2_S2_EEvT3_20rocsparse_direction_NS_24const_host_device_scalarIT1_EES3_PKS3_PKT2_SC_S9_PKT4_PKT5_S7_PT6_21rocsparse_index_base_b.uses_vcc, 1
	.set _ZN9rocsparseL18bsrxmvn_4x4_kernelILj128ELj16E21rocsparse_complex_numIdElidS2_S2_EEvT3_20rocsparse_direction_NS_24const_host_device_scalarIT1_EES3_PKS3_PKT2_SC_S9_PKT4_PKT5_S7_PT6_21rocsparse_index_base_b.uses_flat_scratch, 0
	.set _ZN9rocsparseL18bsrxmvn_4x4_kernelILj128ELj16E21rocsparse_complex_numIdElidS2_S2_EEvT3_20rocsparse_direction_NS_24const_host_device_scalarIT1_EES3_PKS3_PKT2_SC_S9_PKT4_PKT5_S7_PT6_21rocsparse_index_base_b.has_dyn_sized_stack, 0
	.set _ZN9rocsparseL18bsrxmvn_4x4_kernelILj128ELj16E21rocsparse_complex_numIdElidS2_S2_EEvT3_20rocsparse_direction_NS_24const_host_device_scalarIT1_EES3_PKS3_PKT2_SC_S9_PKT4_PKT5_S7_PT6_21rocsparse_index_base_b.has_recursion, 0
	.set _ZN9rocsparseL18bsrxmvn_4x4_kernelILj128ELj16E21rocsparse_complex_numIdElidS2_S2_EEvT3_20rocsparse_direction_NS_24const_host_device_scalarIT1_EES3_PKS3_PKT2_SC_S9_PKT4_PKT5_S7_PT6_21rocsparse_index_base_b.has_indirect_call, 0
	.section	.AMDGPU.csdata,"",@progbits
; Kernel info:
; codeLenInByte = 7192
; TotalNumSgprs: 28
; NumVgprs: 107
; NumAgprs: 0
; TotalNumVgprs: 107
; ScratchSize: 0
; MemoryBound: 0
; FloatMode: 240
; IeeeMode: 1
; LDSByteSize: 0 bytes/workgroup (compile time only)
; SGPRBlocks: 3
; VGPRBlocks: 13
; NumSGPRsForWavesPerEU: 28
; NumVGPRsForWavesPerEU: 107
; AccumOffset: 108
; Occupancy: 4
; WaveLimiterHint : 1
; COMPUTE_PGM_RSRC2:SCRATCH_EN: 0
; COMPUTE_PGM_RSRC2:USER_SGPR: 2
; COMPUTE_PGM_RSRC2:TRAP_HANDLER: 0
; COMPUTE_PGM_RSRC2:TGID_X_EN: 1
; COMPUTE_PGM_RSRC2:TGID_Y_EN: 0
; COMPUTE_PGM_RSRC2:TGID_Z_EN: 0
; COMPUTE_PGM_RSRC2:TIDIG_COMP_CNT: 0
; COMPUTE_PGM_RSRC3_GFX90A:ACCUM_OFFSET: 26
; COMPUTE_PGM_RSRC3_GFX90A:TG_SPLIT: 0
	.section	.text._ZN9rocsparseL18bsrxmvn_4x4_kernelILj128ELj32E21rocsparse_complex_numIdElidS2_S2_EEvT3_20rocsparse_direction_NS_24const_host_device_scalarIT1_EES3_PKS3_PKT2_SC_S9_PKT4_PKT5_S7_PT6_21rocsparse_index_base_b,"axG",@progbits,_ZN9rocsparseL18bsrxmvn_4x4_kernelILj128ELj32E21rocsparse_complex_numIdElidS2_S2_EEvT3_20rocsparse_direction_NS_24const_host_device_scalarIT1_EES3_PKS3_PKT2_SC_S9_PKT4_PKT5_S7_PT6_21rocsparse_index_base_b,comdat
	.globl	_ZN9rocsparseL18bsrxmvn_4x4_kernelILj128ELj32E21rocsparse_complex_numIdElidS2_S2_EEvT3_20rocsparse_direction_NS_24const_host_device_scalarIT1_EES3_PKS3_PKT2_SC_S9_PKT4_PKT5_S7_PT6_21rocsparse_index_base_b ; -- Begin function _ZN9rocsparseL18bsrxmvn_4x4_kernelILj128ELj32E21rocsparse_complex_numIdElidS2_S2_EEvT3_20rocsparse_direction_NS_24const_host_device_scalarIT1_EES3_PKS3_PKT2_SC_S9_PKT4_PKT5_S7_PT6_21rocsparse_index_base_b
	.p2align	8
	.type	_ZN9rocsparseL18bsrxmvn_4x4_kernelILj128ELj32E21rocsparse_complex_numIdElidS2_S2_EEvT3_20rocsparse_direction_NS_24const_host_device_scalarIT1_EES3_PKS3_PKT2_SC_S9_PKT4_PKT5_S7_PT6_21rocsparse_index_base_b,@function
_ZN9rocsparseL18bsrxmvn_4x4_kernelILj128ELj32E21rocsparse_complex_numIdElidS2_S2_EEvT3_20rocsparse_direction_NS_24const_host_device_scalarIT1_EES3_PKS3_PKT2_SC_S9_PKT4_PKT5_S7_PT6_21rocsparse_index_base_b: ; @_ZN9rocsparseL18bsrxmvn_4x4_kernelILj128ELj32E21rocsparse_complex_numIdElidS2_S2_EEvT3_20rocsparse_direction_NS_24const_host_device_scalarIT1_EES3_PKS3_PKT2_SC_S9_PKT4_PKT5_S7_PT6_21rocsparse_index_base_b
; %bb.0:
	s_load_dwordx2 s[4:5], s[0:1], 0x8
	s_load_dwordx2 s[12:13], s[0:1], 0x68
	s_add_u32 s3, s0, 8
	s_addc_u32 s8, s1, 0
	s_add_u32 s9, s0, 0x50
	s_load_dwordx2 s[6:7], s[0:1], 0x50
	s_addc_u32 s10, s1, 0
	s_waitcnt lgkmcnt(0)
	s_bitcmp1_b32 s13, 0
	s_cselect_b32 s5, s8, s5
	s_cselect_b32 s3, s3, s4
	v_mov_b32_e32 v2, s3
	v_mov_b32_e32 v3, s5
	flat_load_dwordx4 v[6:9], v[2:3]
	s_cselect_b32 s3, s10, s7
	s_cselect_b32 s4, s9, s6
	v_mov_b32_e32 v2, s4
	v_mov_b32_e32 v3, s3
	flat_load_dwordx4 v[2:5], v[2:3]
	s_waitcnt vmcnt(0) lgkmcnt(0)
	v_cmp_eq_f64_e32 vcc, 0, v[6:7]
	v_cmp_eq_f64_e64 s[4:5], 0, v[8:9]
	s_and_b64 s[8:9], vcc, s[4:5]
	s_mov_b64 s[4:5], -1
	s_and_saveexec_b64 s[6:7], s[8:9]
; %bb.1:
	v_cmp_neq_f64_e32 vcc, 1.0, v[2:3]
	v_cmp_neq_f64_e64 s[4:5], 0, v[4:5]
	s_or_b64 s[4:5], vcc, s[4:5]
	s_orn2_b64 s[4:5], s[4:5], exec
; %bb.2:
	s_or_b64 exec, exec, s[6:7]
	s_and_saveexec_b64 s[6:7], s[4:5]
	s_cbranch_execz .LBB143_8
; %bb.3:
	s_load_dwordx2 s[4:5], s[0:1], 0x20
	s_load_dwordx2 s[14:15], s[0:1], 0x0
	v_lshrrev_b32_e32 v1, 5, v0
	v_lshl_or_b32 v50, s2, 2, v1
	s_mov_b64 s[2:3], 0
	s_waitcnt lgkmcnt(0)
	s_cmp_lg_u64 s[4:5], 0
	s_cbranch_scc0 .LBB143_9
; %bb.4:
	s_load_dword s6, s[0:1], 0x18
                                        ; implicit-def: $vgpr1
	s_waitcnt lgkmcnt(0)
	v_cmp_gt_i32_e32 vcc, s6, v50
	s_and_saveexec_b64 s[6:7], vcc
	s_xor_b64 s[6:7], exec, s[6:7]
	s_cbranch_execz .LBB143_6
; %bb.5:
	v_ashrrev_i32_e32 v51, 31, v50
	v_lshl_add_u64 v[10:11], v[50:51], 2, s[4:5]
	global_load_dword v1, v[10:11], off
	s_mov_b64 s[2:3], exec
	s_waitcnt vmcnt(0)
	v_subrev_u32_e32 v1, s12, v1
.LBB143_6:
	s_or_b64 exec, exec, s[6:7]
	s_branch .LBB143_10
.LBB143_7:
	v_cmp_gt_i32_e32 vcc, s14, v50
	s_andn2_b64 s[2:3], s[2:3], exec
	s_and_b64 s[4:5], vcc, exec
	s_or_b64 s[2:3], s[2:3], s[4:5]
	s_and_b64 exec, exec, s[2:3]
	s_cbranch_execnz .LBB143_11
.LBB143_8:
	s_endpgm
.LBB143_9:
                                        ; implicit-def: $vgpr1
	s_cbranch_execnz .LBB143_7
.LBB143_10:
	v_mov_b32_e32 v50, v1
	s_and_b64 exec, exec, s[2:3]
	s_cbranch_execz .LBB143_8
.LBB143_11:
	s_load_dwordx8 s[4:11], s[0:1], 0x28
	v_ashrrev_i32_e32 v51, 31, v50
	v_lshlrev_b64 v[10:11], 3, v[50:51]
	v_and_b32_e32 v0, 31, v0
	v_mov_b32_e32 v1, 0
	s_waitcnt lgkmcnt(0)
	v_lshl_add_u64 v[12:13], s[4:5], 0, v[10:11]
	s_cmp_eq_u64 s[6:7], 0
	v_lshl_add_u64 v[10:11], s[6:7], 0, v[10:11]
	global_load_dwordx2 v[22:23], v[12:13], off
	v_lshl_add_u64 v[12:13], v[12:13], 0, 8
	s_cselect_b64 vcc, -1, 0
	v_cndmask_b32_e32 v11, v11, v13, vcc
	v_cndmask_b32_e32 v10, v10, v12, vcc
	global_load_dwordx2 v[10:11], v[10:11], off
	s_load_dwordx2 s[4:5], s[0:1], 0x48
	s_cmp_eq_u32 s15, 1
	s_waitcnt vmcnt(1)
	v_subrev_co_u32_e32 v12, vcc, s12, v22
	s_nop 1
	v_subbrev_co_u32_e32 v13, vcc, 0, v23, vcc
	v_lshl_add_u64 v[58:59], v[12:13], 0, v[0:1]
	s_waitcnt vmcnt(0)
	v_subrev_co_u32_e32 v60, vcc, s12, v10
	s_nop 1
	v_subbrev_co_u32_e32 v61, vcc, 0, v11, vcc
	v_lshlrev_b64 v[10:11], 7, v[58:59]
	v_lshl_add_u64 v[64:65], s[10:11], 0, v[10:11]
	v_cmp_lt_i64_e64 s[2:3], v[58:59], v[60:61]
	s_cbranch_scc1 .LBB143_23
; %bb.12:
	v_mov_b64_e32 v[68:69], 0
	v_mov_b64_e32 v[72:73], 0
	;; [unrolled: 1-line block ×8, first 2 shown]
	s_and_saveexec_b64 s[6:7], s[2:3]
	s_cbranch_execz .LBB143_22
; %bb.13:
	v_or_b32_e32 v1, 32, v0
	v_subrev_co_u32_e32 v10, vcc, s12, v1
	v_not_b32_e32 v13, v23
	s_nop 0
	v_subb_co_u32_e64 v11, s[10:11], 0, 0, vcc
	v_lshl_add_u64 v[10:11], v[10:11], 0, v[22:23]
	v_cmp_gt_i64_e32 vcc, v[10:11], v[60:61]
	v_not_b32_e32 v12, v22
	v_mov_b64_e32 v[54:55], 0
	v_cndmask_b32_e32 v11, v61, v11, vcc
	v_cndmask_b32_e32 v10, v60, v10, vcc
	v_sub_co_u32_e32 v14, vcc, s12, v0
	v_mov_b64_e32 v[52:53], 0
	s_nop 0
	v_subb_co_u32_e64 v15, s[10:11], 0, 0, vcc
	v_lshl_add_u64 v[12:13], v[14:15], 0, v[12:13]
	v_lshl_add_u64 v[28:29], v[12:13], 0, v[10:11]
	v_and_b32_e32 v10, 0x60, v28
	v_mov_b32_e32 v11, 0
	s_mov_b64 s[10:11], 0x60
	v_cmp_ne_u64_e32 vcc, s[10:11], v[10:11]
	v_mov_b64_e32 v[62:63], 0
	v_mov_b64_e32 v[56:57], 0
	;; [unrolled: 1-line block ×8, first 2 shown]
	s_and_saveexec_b64 s[10:11], vcc
	s_cbranch_execz .LBB143_17
; %bb.14:
	v_lshrrev_b32_e32 v1, 5, v28
	v_add_u32_e32 v1, 1, v1
	v_and_b32_e32 v1, 3, v1
	v_sub_co_u32_e32 v32, vcc, 0, v1
	v_lshl_add_u64 v[30:31], v[58:59], 2, s[8:9]
	s_nop 0
	v_subb_co_u32_e64 v33, s[16:17], 0, 0, vcc
	s_mov_b64 s[14:15], 0
	v_mov_b64_e32 v[68:69], 0
	s_mov_b64 s[16:17], 0x1000
	s_mov_b64 s[18:19], 0x80
	v_mov_b64_e32 v[26:27], v[58:59]
	v_mov_b64_e32 v[24:25], v[64:65]
	v_mov_b64_e32 v[72:73], 0
	v_mov_b64_e32 v[66:67], 0
	v_mov_b64_e32 v[70:71], 0
	v_mov_b64_e32 v[56:57], 0
	v_mov_b64_e32 v[62:63], 0
	v_mov_b64_e32 v[52:53], 0
	v_mov_b64_e32 v[54:55], 0
.LBB143_15:                             ; =>This Inner Loop Header: Depth=1
	global_load_dword v1, v[30:31], off
	global_load_dwordx4 v[10:13], v[24:25], off offset:48
	global_load_dwordx4 v[18:21], v[24:25], off offset:32
	;; [unrolled: 1-line block ×3, first 2 shown]
	global_load_dwordx4 v[34:37], v[24:25], off
	global_load_dwordx4 v[38:41], v[24:25], off offset:112
	global_load_dwordx4 v[42:45], v[24:25], off offset:96
	;; [unrolled: 1-line block ×4, first 2 shown]
	v_lshl_add_u64 v[32:33], v[32:33], 0, 1
	v_cmp_eq_u64_e32 vcc, 0, v[32:33]
	v_lshl_add_u64 v[24:25], v[24:25], 0, s[16:17]
	v_lshl_add_u64 v[26:27], v[26:27], 0, 32
	;; [unrolled: 1-line block ×3, first 2 shown]
	s_or_b64 s[14:15], vcc, s[14:15]
	s_waitcnt vmcnt(8)
	v_subrev_u32_e32 v1, s12, v1
	v_lshlrev_b32_e32 v78, 2, v1
	v_ashrrev_i32_e32 v79, 31, v78
	s_waitcnt lgkmcnt(0)
	v_lshl_add_u64 v[94:95], v[78:79], 4, s[4:5]
	global_load_dwordx4 v[78:81], v[94:95], off
	global_load_dwordx4 v[82:85], v[94:95], off offset:16
	global_load_dwordx4 v[86:89], v[94:95], off offset:32
	;; [unrolled: 1-line block ×3, first 2 shown]
	s_waitcnt vmcnt(3)
	v_fmac_f64_e32 v[72:73], v[34:35], v[78:79]
	v_fmac_f64_e32 v[68:69], 0, v[78:79]
	v_fmac_f64_e32 v[70:71], v[18:19], v[78:79]
	v_fmac_f64_e32 v[66:67], 0, v[78:79]
	v_fmac_f64_e32 v[62:63], v[46:47], v[78:79]
	v_fmac_f64_e32 v[56:57], 0, v[78:79]
	v_fmac_f64_e32 v[54:55], v[42:43], v[78:79]
	v_fmac_f64_e32 v[52:53], 0, v[78:79]
	v_fmac_f64_e32 v[72:73], 0x80000000, v[80:81]
	v_fmac_f64_e32 v[68:69], v[34:35], v[80:81]
	v_fmac_f64_e32 v[70:71], 0x80000000, v[80:81]
	v_fmac_f64_e32 v[66:67], v[18:19], v[80:81]
	v_fmac_f64_e32 v[62:63], 0x80000000, v[80:81]
	v_fmac_f64_e32 v[56:57], v[46:47], v[80:81]
	v_fmac_f64_e32 v[54:55], 0x80000000, v[80:81]
	v_fmac_f64_e32 v[52:53], v[42:43], v[80:81]
	s_waitcnt vmcnt(2)
	v_fmac_f64_e32 v[72:73], v[36:37], v[82:83]
	v_fmac_f64_e32 v[68:69], 0, v[82:83]
	v_fmac_f64_e32 v[70:71], v[20:21], v[82:83]
	v_fmac_f64_e32 v[66:67], 0, v[82:83]
	v_fmac_f64_e32 v[62:63], v[48:49], v[82:83]
	v_fmac_f64_e32 v[56:57], 0, v[82:83]
	v_fmac_f64_e32 v[54:55], v[44:45], v[82:83]
	v_fmac_f64_e32 v[52:53], 0, v[82:83]
	v_fmac_f64_e32 v[68:69], v[36:37], v[84:85]
	v_fmac_f64_e32 v[66:67], v[20:21], v[84:85]
	v_fmac_f64_e32 v[72:73], 0x80000000, v[84:85]
	v_fmac_f64_e32 v[70:71], 0x80000000, v[84:85]
	v_fmac_f64_e32 v[62:63], 0x80000000, v[84:85]
	v_fmac_f64_e32 v[56:57], v[48:49], v[84:85]
	v_fmac_f64_e32 v[54:55], 0x80000000, v[84:85]
	v_fmac_f64_e32 v[52:53], v[44:45], v[84:85]
	;; [unrolled: 17-line block ×4, first 2 shown]
	s_andn2_b64 exec, exec, s[14:15]
	s_cbranch_execnz .LBB143_15
; %bb.16:
	s_or_b64 exec, exec, s[14:15]
.LBB143_17:
	s_or_b64 exec, exec, s[10:11]
	s_mov_b64 s[10:11], 0x5f
	v_cmp_lt_u64_e32 vcc, s[10:11], v[28:29]
	s_and_saveexec_b64 s[10:11], vcc
	s_cbranch_execz .LBB143_21
; %bb.18:
	v_lshl_add_u64 v[10:11], v[26:27], 2, s[8:9]
	s_mov_b64 s[14:15], 0x100
	v_lshl_add_u64 v[10:11], v[10:11], 0, s[14:15]
	s_mov_b64 s[14:15], 0
	s_mov_b64 s[16:17], 0x1000
	;; [unrolled: 1-line block ×3, first 2 shown]
	s_movk_i32 s13, 0x2000
	s_mov_b64 s[20:21], 0x3000
	s_movk_i32 s28, 0x3000
	s_mov_b64 s[22:23], 0x80
	s_mov_b64 s[24:25], 0x200
	;; [unrolled: 1-line block ×3, first 2 shown]
.LBB143_19:                             ; =>This Inner Loop Header: Depth=1
	global_load_dword v1, v[10:11], off offset:-256
	global_load_dwordx4 v[12:15], v[24:25], off offset:48
	global_load_dwordx4 v[16:19], v[24:25], off offset:32
	;; [unrolled: 1-line block ×3, first 2 shown]
	global_load_dwordx4 v[32:35], v[24:25], off
	v_lshl_add_u64 v[48:49], v[24:25], 0, s[16:17]
	v_lshl_add_u64 v[26:27], v[26:27], 0, s[22:23]
	s_waitcnt vmcnt(4)
	v_subrev_u32_e32 v1, s12, v1
	v_lshlrev_b32_e32 v20, 2, v1
	v_ashrrev_i32_e32 v21, 31, v20
	s_waitcnt lgkmcnt(0)
	v_lshl_add_u64 v[20:21], v[20:21], 4, s[4:5]
	global_load_dwordx4 v[36:39], v[20:21], off offset:48
	global_load_dwordx4 v[40:43], v[20:21], off offset:32
	;; [unrolled: 1-line block ×3, first 2 shown]
	global_load_dwordx4 v[74:77], v[20:21], off
	s_waitcnt vmcnt(0)
	v_fmac_f64_e32 v[68:69], 0, v[74:75]
	v_fmac_f64_e32 v[66:67], 0, v[74:75]
	;; [unrolled: 1-line block ×30, first 2 shown]
	global_load_dwordx4 v[12:15], v[24:25], off offset:112
	global_load_dwordx4 v[16:19], v[24:25], off offset:96
	;; [unrolled: 1-line block ×4, first 2 shown]
	global_load_dword v1, v[10:11], off offset:-128
	v_fmac_f64_e32 v[56:57], 0, v[74:75]
	v_fmac_f64_e32 v[52:53], 0, v[74:75]
	;; [unrolled: 1-line block ×4, first 2 shown]
	s_waitcnt vmcnt(3)
	v_fmac_f64_e32 v[54:55], v[16:17], v[74:75]
	v_fmac_f64_e32 v[54:55], 0x80000000, v[76:77]
	s_waitcnt vmcnt(1)
	v_fmac_f64_e32 v[62:63], v[32:33], v[74:75]
	v_fmac_f64_e32 v[62:63], 0x80000000, v[76:77]
	;; [unrolled: 1-line block ×20, first 2 shown]
	s_waitcnt vmcnt(0)
	v_subrev_u32_e32 v1, s12, v1
	v_fmac_f64_e32 v[62:63], v[30:31], v[36:37]
	v_fmac_f64_e32 v[56:57], 0, v[36:37]
	v_fmac_f64_e32 v[54:55], v[14:15], v[36:37]
	v_fmac_f64_e32 v[52:53], 0, v[36:37]
	v_lshlrev_b32_e32 v36, 2, v1
	v_add_co_u32_e32 v12, vcc, s13, v24
	v_ashrrev_i32_e32 v37, 31, v36
	s_nop 0
	v_addc_co_u32_e32 v13, vcc, 0, v25, vcc
	v_lshl_add_u64 v[78:79], v[36:37], 4, s[4:5]
	v_fmac_f64_e32 v[62:63], 0x80000000, v[38:39]
	v_fmac_f64_e32 v[56:57], v[30:31], v[38:39]
	;; [unrolled: 1-line block ×4, first 2 shown]
	global_load_dwordx4 v[14:17], v[12:13], off offset:-4096
	global_load_dwordx4 v[18:21], v[48:49], off offset:48
	global_load_dwordx4 v[28:31], v[48:49], off offset:32
	;; [unrolled: 1-line block ×6, first 2 shown]
	global_load_dwordx4 v[74:77], v[78:79], off
	s_waitcnt vmcnt(0)
	v_fmac_f64_e32 v[68:69], 0, v[74:75]
	v_fmac_f64_e32 v[66:67], 0, v[74:75]
	;; [unrolled: 1-line block ×30, first 2 shown]
	global_load_dwordx4 v[14:17], v[48:49], off offset:112
	global_load_dwordx4 v[18:21], v[48:49], off offset:96
	;; [unrolled: 1-line block ×4, first 2 shown]
	global_load_dword v1, v[10:11], off
	v_fmac_f64_e32 v[52:53], 0, v[74:75]
	v_fmac_f64_e32 v[56:57], 0, v[74:75]
	;; [unrolled: 1-line block ×4, first 2 shown]
	s_waitcnt vmcnt(3)
	v_fmac_f64_e32 v[54:55], v[18:19], v[74:75]
	v_fmac_f64_e32 v[52:53], v[18:19], v[76:77]
	s_waitcnt vmcnt(1)
	v_fmac_f64_e32 v[62:63], v[32:33], v[74:75]
	v_fmac_f64_e32 v[62:63], 0x80000000, v[76:77]
	;; [unrolled: 1-line block ×13, first 2 shown]
	s_waitcnt vmcnt(0)
	v_subrev_u32_e32 v1, s12, v1
	v_fmac_f64_e32 v[62:63], v[28:29], v[40:41]
	v_fmac_f64_e32 v[56:57], 0, v[40:41]
	;; [unrolled: 1-line block ×4, first 2 shown]
	v_lshlrev_b32_e32 v14, 2, v1
	v_fmac_f64_e32 v[62:63], 0x80000000, v[42:43]
	v_fmac_f64_e32 v[56:57], v[28:29], v[42:43]
	;; [unrolled: 1-line block ×3, first 2 shown]
	v_ashrrev_i32_e32 v15, 31, v14
	v_fmac_f64_e32 v[62:63], v[30:31], v[36:37]
	v_fmac_f64_e32 v[56:57], 0, v[36:37]
	;; [unrolled: 1-line block ×4, first 2 shown]
	v_lshl_add_u64 v[48:49], v[14:15], 4, s[4:5]
	v_fmac_f64_e32 v[62:63], 0x80000000, v[38:39]
	v_fmac_f64_e32 v[56:57], v[30:31], v[38:39]
	;; [unrolled: 1-line block ×4, first 2 shown]
	v_lshl_add_u64 v[20:21], v[24:25], 0, s[18:19]
	global_load_dwordx4 v[16:19], v[12:13], off
	global_load_dwordx4 v[28:31], v[20:21], off offset:48
	global_load_dwordx4 v[32:35], v[20:21], off offset:32
	global_load_dwordx4 v[36:39], v[20:21], off offset:16
	s_nop 0
	global_load_dwordx4 v[12:15], v[48:49], off offset:48
	global_load_dwordx4 v[40:43], v[48:49], off offset:32
	;; [unrolled: 1-line block ×3, first 2 shown]
	global_load_dwordx4 v[74:77], v[48:49], off
	v_lshl_add_u64 v[48:49], v[24:25], 0, s[20:21]
	s_waitcnt vmcnt(0)
	v_fmac_f64_e32 v[68:69], 0, v[74:75]
	v_fmac_f64_e32 v[66:67], 0, v[74:75]
	;; [unrolled: 1-line block ×30, first 2 shown]
	global_load_dwordx4 v[16:19], v[20:21], off offset:112
	global_load_dwordx4 v[28:31], v[20:21], off offset:96
	;; [unrolled: 1-line block ×4, first 2 shown]
	global_load_dword v1, v[10:11], off offset:128
	v_fmac_f64_e32 v[56:57], 0, v[74:75]
	v_fmac_f64_e32 v[52:53], 0, v[74:75]
	;; [unrolled: 1-line block ×4, first 2 shown]
	v_lshl_add_u64 v[10:11], v[10:11], 0, s[24:25]
	s_waitcnt vmcnt(3)
	v_fmac_f64_e32 v[54:55], v[28:29], v[74:75]
	v_fmac_f64_e32 v[54:55], 0x80000000, v[76:77]
	s_waitcnt vmcnt(1)
	v_fmac_f64_e32 v[62:63], v[36:37], v[74:75]
	v_fmac_f64_e32 v[62:63], 0x80000000, v[76:77]
	;; [unrolled: 1-line block ×12, first 2 shown]
	s_waitcnt vmcnt(0)
	v_subrev_u32_e32 v1, s12, v1
	v_fmac_f64_e32 v[62:63], v[32:33], v[40:41]
	v_fmac_f64_e32 v[56:57], 0, v[40:41]
	;; [unrolled: 1-line block ×4, first 2 shown]
	v_lshlrev_b32_e32 v20, 2, v1
	v_fmac_f64_e32 v[62:63], 0x80000000, v[42:43]
	v_fmac_f64_e32 v[56:57], v[32:33], v[42:43]
	;; [unrolled: 1-line block ×4, first 2 shown]
	v_add_co_u32_e32 v36, vcc, s28, v24
	v_ashrrev_i32_e32 v21, 31, v20
	v_fmac_f64_e32 v[62:63], v[34:35], v[12:13]
	v_fmac_f64_e32 v[56:57], 0, v[12:13]
	;; [unrolled: 1-line block ×4, first 2 shown]
	v_addc_co_u32_e32 v37, vcc, 0, v25, vcc
	v_lshl_add_u64 v[20:21], v[20:21], 4, s[4:5]
	v_fmac_f64_e32 v[62:63], 0x80000000, v[14:15]
	v_fmac_f64_e32 v[56:57], v[34:35], v[14:15]
	;; [unrolled: 1-line block ×4, first 2 shown]
	global_load_dwordx4 v[12:15], v[36:37], off
	global_load_dwordx4 v[16:19], v[48:49], off offset:48
	global_load_dwordx4 v[28:31], v[48:49], off offset:32
	;; [unrolled: 1-line block ×3, first 2 shown]
	s_nop 0
	global_load_dwordx4 v[36:39], v[20:21], off offset:48
	global_load_dwordx4 v[40:43], v[20:21], off offset:32
	global_load_dwordx4 v[44:47], v[20:21], off offset:16
	global_load_dwordx4 v[74:77], v[20:21], off
	v_cmp_ge_i64_e32 vcc, v[26:27], v[60:61]
	v_lshl_add_u64 v[24:25], v[24:25], 0, s[26:27]
	s_or_b64 s[14:15], vcc, s[14:15]
	s_waitcnt vmcnt(0)
	v_fmac_f64_e32 v[68:69], 0, v[74:75]
	v_fmac_f64_e32 v[66:67], 0, v[74:75]
	;; [unrolled: 1-line block ×30, first 2 shown]
	global_load_dwordx4 v[12:15], v[48:49], off offset:112
	global_load_dwordx4 v[16:19], v[48:49], off offset:96
	;; [unrolled: 1-line block ×4, first 2 shown]
	v_fmac_f64_e32 v[56:57], 0, v[74:75]
	v_fmac_f64_e32 v[52:53], 0, v[74:75]
	;; [unrolled: 1-line block ×4, first 2 shown]
	s_waitcnt vmcnt(2)
	v_fmac_f64_e32 v[54:55], v[16:17], v[74:75]
	v_fmac_f64_e32 v[54:55], 0x80000000, v[76:77]
	s_waitcnt vmcnt(0)
	v_fmac_f64_e32 v[62:63], v[32:33], v[74:75]
	v_fmac_f64_e32 v[62:63], 0x80000000, v[76:77]
	;; [unrolled: 1-line block ×28, first 2 shown]
	s_andn2_b64 exec, exec, s[14:15]
	s_cbranch_execnz .LBB143_19
; %bb.20:
	s_or_b64 exec, exec, s[14:15]
.LBB143_21:
	s_or_b64 exec, exec, s[10:11]
.LBB143_22:
	s_or_b64 exec, exec, s[6:7]
	s_cbranch_execz .LBB143_24
	s_branch .LBB143_35
.LBB143_23:
                                        ; implicit-def: $vgpr68_vgpr69
                                        ; implicit-def: $vgpr72_vgpr73
                                        ; implicit-def: $vgpr66_vgpr67
                                        ; implicit-def: $vgpr70_vgpr71
                                        ; implicit-def: $vgpr56_vgpr57
                                        ; implicit-def: $vgpr62_vgpr63
                                        ; implicit-def: $vgpr52_vgpr53
                                        ; implicit-def: $vgpr54_vgpr55
.LBB143_24:
	v_mov_b64_e32 v[68:69], 0
	v_mov_b64_e32 v[72:73], 0
	v_mov_b64_e32 v[66:67], 0
	v_mov_b64_e32 v[70:71], 0
	v_mov_b64_e32 v[56:57], 0
	v_mov_b64_e32 v[62:63], 0
	v_mov_b64_e32 v[52:53], 0
	v_mov_b64_e32 v[54:55], 0
	s_and_saveexec_b64 s[6:7], s[2:3]
	s_cbranch_execz .LBB143_34
; %bb.25:
	v_or_b32_e32 v1, 32, v0
	v_subrev_co_u32_e32 v10, vcc, s12, v1
	v_not_b32_e32 v13, v23
	s_nop 0
	v_subb_co_u32_e64 v11, s[2:3], 0, 0, vcc
	v_lshl_add_u64 v[10:11], v[10:11], 0, v[22:23]
	v_cmp_gt_i64_e32 vcc, v[10:11], v[60:61]
	v_not_b32_e32 v12, v22
	v_mov_b64_e32 v[54:55], 0
	v_cndmask_b32_e32 v11, v61, v11, vcc
	v_cndmask_b32_e32 v10, v60, v10, vcc
	v_sub_co_u32_e32 v14, vcc, s12, v0
	v_mov_b64_e32 v[52:53], 0
	s_nop 0
	v_subb_co_u32_e64 v15, s[2:3], 0, 0, vcc
	v_lshl_add_u64 v[12:13], v[14:15], 0, v[12:13]
	v_lshl_add_u64 v[10:11], v[12:13], 0, v[10:11]
	v_and_b32_e32 v12, 0x60, v10
	v_mov_b32_e32 v13, 0
	s_mov_b64 s[2:3], 0x60
	v_cmp_ne_u64_e32 vcc, s[2:3], v[12:13]
	v_mov_b64_e32 v[62:63], 0
	v_mov_b64_e32 v[56:57], 0
	;; [unrolled: 1-line block ×6, first 2 shown]
	s_and_saveexec_b64 s[2:3], vcc
	s_cbranch_execz .LBB143_29
; %bb.26:
	v_lshrrev_b32_e32 v1, 5, v10
	v_add_u32_e32 v1, 1, v1
	v_and_b32_e32 v1, 3, v1
	v_sub_co_u32_e32 v14, vcc, 0, v1
	v_lshl_add_u64 v[12:13], v[58:59], 2, s[8:9]
	s_nop 0
	v_subb_co_u32_e64 v15, s[14:15], 0, 0, vcc
	s_mov_b64 s[10:11], 0
	v_mov_b64_e32 v[68:69], 0
	s_mov_b64 s[14:15], 0x1000
	s_mov_b64 s[16:17], 0x80
	v_mov_b64_e32 v[72:73], 0
	v_mov_b64_e32 v[66:67], 0
	;; [unrolled: 1-line block ×7, first 2 shown]
.LBB143_27:                             ; =>This Inner Loop Header: Depth=1
	global_load_dword v1, v[12:13], off
	global_load_dwordx4 v[16:19], v[64:65], off offset:48
	global_load_dwordx4 v[20:23], v[64:65], off offset:32
	;; [unrolled: 1-line block ×3, first 2 shown]
	global_load_dwordx4 v[28:31], v[64:65], off
	global_load_dwordx4 v[32:35], v[64:65], off offset:96
	global_load_dwordx4 v[36:39], v[64:65], off offset:80
	;; [unrolled: 1-line block ×3, first 2 shown]
	v_lshl_add_u64 v[14:15], v[14:15], 0, 1
	v_cmp_eq_u64_e32 vcc, 0, v[14:15]
	v_lshl_add_u64 v[58:59], v[58:59], 0, 32
	v_lshl_add_u64 v[12:13], v[12:13], 0, s[16:17]
	s_or_b64 s[10:11], vcc, s[10:11]
	s_waitcnt vmcnt(7)
	v_subrev_u32_e32 v1, s12, v1
	v_lshlrev_b32_e32 v44, 2, v1
	v_ashrrev_i32_e32 v45, 31, v44
	s_waitcnt lgkmcnt(0)
	v_lshl_add_u64 v[48:49], v[44:45], 4, s[4:5]
	global_load_dwordx4 v[44:47], v[48:49], off
	global_load_dwordx4 v[74:77], v[48:49], off offset:16
	global_load_dwordx4 v[78:81], v[48:49], off offset:32
	;; [unrolled: 1-line block ×4, first 2 shown]
	v_lshl_add_u64 v[64:65], v[64:65], 0, s[14:15]
	s_waitcnt vmcnt(4)
	v_fmac_f64_e32 v[72:73], v[28:29], v[44:45]
	v_fmac_f64_e32 v[68:69], 0, v[44:45]
	v_fmac_f64_e32 v[70:71], v[30:31], v[44:45]
	v_fmac_f64_e32 v[66:67], 0, v[44:45]
	v_fmac_f64_e32 v[62:63], v[24:25], v[44:45]
	v_fmac_f64_e32 v[56:57], 0, v[44:45]
	v_fmac_f64_e32 v[54:55], v[26:27], v[44:45]
	v_fmac_f64_e32 v[52:53], 0, v[44:45]
	v_fmac_f64_e32 v[72:73], 0x80000000, v[46:47]
	v_fmac_f64_e32 v[68:69], v[28:29], v[46:47]
	v_fmac_f64_e32 v[70:71], 0x80000000, v[46:47]
	v_fmac_f64_e32 v[66:67], v[30:31], v[46:47]
	v_fmac_f64_e32 v[62:63], 0x80000000, v[46:47]
	v_fmac_f64_e32 v[56:57], v[24:25], v[46:47]
	v_fmac_f64_e32 v[54:55], 0x80000000, v[46:47]
	v_fmac_f64_e32 v[52:53], v[26:27], v[46:47]
	s_waitcnt vmcnt(3)
	v_fmac_f64_e32 v[72:73], v[20:21], v[74:75]
	v_fmac_f64_e32 v[68:69], 0, v[74:75]
	v_fmac_f64_e32 v[70:71], v[22:23], v[74:75]
	v_fmac_f64_e32 v[66:67], 0, v[74:75]
	v_fmac_f64_e32 v[62:63], v[16:17], v[74:75]
	v_fmac_f64_e32 v[56:57], 0, v[74:75]
	v_fmac_f64_e32 v[54:55], v[18:19], v[74:75]
	v_fmac_f64_e32 v[52:53], 0, v[74:75]
	v_fmac_f64_e32 v[72:73], 0x80000000, v[76:77]
	v_fmac_f64_e32 v[68:69], v[20:21], v[76:77]
	v_fmac_f64_e32 v[70:71], 0x80000000, v[76:77]
	v_fmac_f64_e32 v[66:67], v[22:23], v[76:77]
	v_fmac_f64_e32 v[62:63], 0x80000000, v[76:77]
	v_fmac_f64_e32 v[56:57], v[16:17], v[76:77]
	v_fmac_f64_e32 v[54:55], 0x80000000, v[76:77]
	v_fmac_f64_e32 v[52:53], v[18:19], v[76:77]
	;; [unrolled: 17-line block ×3, first 2 shown]
	s_waitcnt vmcnt(1)
	v_fmac_f64_e32 v[72:73], v[32:33], v[82:83]
	v_fmac_f64_e32 v[68:69], 0, v[82:83]
	;; [unrolled: 1-line block ×4, first 2 shown]
	s_waitcnt vmcnt(0)
	v_fmac_f64_e32 v[62:63], v[86:87], v[82:83]
	v_fmac_f64_e32 v[56:57], 0, v[82:83]
	;; [unrolled: 1-line block ×12, first 2 shown]
	s_andn2_b64 exec, exec, s[10:11]
	s_cbranch_execnz .LBB143_27
; %bb.28:
	s_or_b64 exec, exec, s[10:11]
.LBB143_29:
	s_or_b64 exec, exec, s[2:3]
	s_mov_b64 s[2:3], 0x5f
	v_cmp_lt_u64_e32 vcc, s[2:3], v[10:11]
	s_and_saveexec_b64 s[2:3], vcc
	s_cbranch_execz .LBB143_33
; %bb.30:
	v_lshl_add_u64 v[10:11], v[58:59], 2, s[8:9]
	s_mov_b64 s[8:9], 0x100
	v_lshl_add_u64 v[74:75], v[10:11], 0, s[8:9]
	s_mov_b64 s[8:9], 0
	s_mov_b64 s[10:11], 0x1000
	;; [unrolled: 1-line block ×3, first 2 shown]
	s_movk_i32 s13, 0x2000
	s_mov_b64 s[16:17], 0x3000
	s_movk_i32 s24, 0x3000
	s_mov_b64 s[18:19], 0x80
	s_mov_b64 s[20:21], 0x200
	;; [unrolled: 1-line block ×3, first 2 shown]
.LBB143_31:                             ; =>This Inner Loop Header: Depth=1
	global_load_dword v1, v[74:75], off offset:-256
	global_load_dwordx4 v[14:17], v[64:65], off offset:48
	global_load_dwordx4 v[18:21], v[64:65], off offset:32
	;; [unrolled: 1-line block ×3, first 2 shown]
	global_load_dwordx4 v[30:33], v[64:65], off
	global_load_dwordx4 v[10:13], v[64:65], off offset:112
	global_load_dwordx4 v[26:29], v[64:65], off offset:96
	;; [unrolled: 1-line block ×4, first 2 shown]
	v_lshl_add_u64 v[78:79], v[64:65], 0, s[10:11]
	global_load_dword v85, v[74:75], off offset:-128
	global_load_dword v51, v[74:75], off
	global_load_dword v84, v[74:75], off offset:128
	global_load_dwordx4 v[42:45], v[78:79], off offset:48
	global_load_dwordx4 v[46:49], v[78:79], off offset:32
	;; [unrolled: 1-line block ×3, first 2 shown]
	v_lshl_add_u64 v[76:77], v[64:65], 0, s[14:15]
	v_add_co_u32_e32 v106, vcc, s13, v64
	v_lshl_add_u64 v[80:81], v[64:65], 0, s[16:17]
	s_nop 0
	v_addc_co_u32_e32 v107, vcc, 0, v65, vcc
	v_add_co_u32_e32 v82, vcc, s24, v64
	v_lshl_add_u64 v[58:59], v[58:59], 0, s[18:19]
	s_nop 0
	v_addc_co_u32_e32 v83, vcc, 0, v65, vcc
	v_cmp_ge_i64_e32 vcc, v[58:59], v[60:61]
	v_lshl_add_u64 v[74:75], v[74:75], 0, s[20:21]
	v_lshl_add_u64 v[64:65], v[64:65], 0, s[22:23]
	s_or_b64 s[8:9], vcc, s[8:9]
	s_waitcnt vmcnt(14)
	v_subrev_u32_e32 v1, s12, v1
	v_lshlrev_b32_e32 v90, 2, v1
	v_ashrrev_i32_e32 v91, 31, v90
	s_waitcnt lgkmcnt(0)
	v_lshl_add_u64 v[108:109], v[90:91], 4, s[4:5]
	global_load_dwordx4 v[90:93], v[108:109], off
	global_load_dwordx4 v[94:97], v[108:109], off offset:16
	global_load_dwordx4 v[98:101], v[78:79], off offset:64
	s_waitcnt vmcnt(8)
	v_subrev_u32_e32 v1, s12, v85
	s_waitcnt vmcnt(2)
	v_fmac_f64_e32 v[72:73], v[30:31], v[90:91]
	v_fmac_f64_e32 v[68:69], 0, v[90:91]
	;; [unrolled: 1-line block ×16, first 2 shown]
	s_waitcnt vmcnt(1)
	v_fmac_f64_e32 v[72:73], v[18:19], v[94:95]
	v_fmac_f64_e32 v[68:69], 0, v[94:95]
	;; [unrolled: 1-line block ×8, first 2 shown]
	global_load_dwordx4 v[30:33], v[78:79], off offset:112
	global_load_dwordx4 v[22:25], v[78:79], off offset:96
	;; [unrolled: 1-line block ×3, first 2 shown]
	v_fmac_f64_e32 v[68:69], v[18:19], v[96:97]
	v_fmac_f64_e32 v[66:67], v[20:21], v[96:97]
	;; [unrolled: 1-line block ×4, first 2 shown]
	global_load_dwordx4 v[18:21], v[76:77], off offset:32
	v_fmac_f64_e32 v[72:73], 0x80000000, v[96:97]
	v_fmac_f64_e32 v[70:71], 0x80000000, v[96:97]
	;; [unrolled: 1-line block ×4, first 2 shown]
	global_load_dwordx4 v[94:97], v[108:109], off offset:32
	global_load_dwordx4 v[102:105], v[108:109], off offset:48
	v_lshlrev_b32_e32 v78, 2, v1
	v_ashrrev_i32_e32 v79, 31, v78
	v_lshl_add_u64 v[78:79], v[78:79], 4, s[4:5]
	global_load_dwordx4 v[14:17], v[76:77], off offset:112
	v_subrev_u32_e32 v1, s12, v51
	s_waitcnt vmcnt(2)
	v_fmac_f64_e32 v[56:57], 0, v[94:95]
	v_fmac_f64_e32 v[52:53], 0, v[94:95]
	;; [unrolled: 1-line block ×8, first 2 shown]
	s_waitcnt vmcnt(1)
	v_fmac_f64_e32 v[56:57], 0, v[102:103]
	v_fmac_f64_e32 v[52:53], 0, v[102:103]
	;; [unrolled: 1-line block ×6, first 2 shown]
	global_load_dwordx4 v[10:13], v[78:79], off
	v_fmac_f64_e32 v[72:73], v[38:39], v[94:95]
	v_fmac_f64_e32 v[68:69], 0, v[94:95]
	;; [unrolled: 1-line block ×8, first 2 shown]
	global_load_dwordx4 v[94:97], v[78:79], off offset:16
	global_load_dwordx4 v[34:37], v[106:107], off offset:-4096
	v_fmac_f64_e32 v[68:69], 0, v[102:103]
	v_fmac_f64_e32 v[66:67], 0, v[102:103]
	;; [unrolled: 1-line block ×10, first 2 shown]
	global_load_dwordx4 v[38:41], v[76:77], off offset:16
	global_load_dwordx4 v[26:29], v[106:107], off
	s_waitcnt vmcnt(4)
	v_fmac_f64_e32 v[56:57], 0, v[10:11]
	v_fmac_f64_e32 v[52:53], 0, v[10:11]
	;; [unrolled: 1-line block ×10, first 2 shown]
	s_waitcnt vmcnt(3)
	v_fmac_f64_e32 v[56:57], 0, v[94:95]
	v_fmac_f64_e32 v[52:53], 0, v[94:95]
	s_waitcnt vmcnt(2)
	v_fmac_f64_e32 v[72:73], v[34:35], v[10:11]
	v_fmac_f64_e32 v[70:71], v[36:37], v[10:11]
	;; [unrolled: 1-line block ×4, first 2 shown]
	global_load_dwordx4 v[34:37], v[76:77], off offset:96
	global_load_dwordx4 v[86:89], v[76:77], off offset:80
	;; [unrolled: 1-line block ×4, first 2 shown]
	v_fmac_f64_e32 v[62:63], v[42:43], v[94:95]
	v_fmac_f64_e32 v[54:55], v[44:45], v[94:95]
	;; [unrolled: 1-line block ×4, first 2 shown]
	global_load_dwordx4 v[42:45], v[78:79], off offset:32
	v_fmac_f64_e32 v[72:73], 0x80000000, v[12:13]
	global_load_dwordx4 v[76:79], v[78:79], off offset:48
	v_fmac_f64_e32 v[68:69], 0, v[94:95]
	v_fmac_f64_e32 v[62:63], 0x80000000, v[96:97]
	;; [unrolled: 1-line block ×11, first 2 shown]
	global_load_dwordx4 v[46:49], v[80:81], off offset:32
	global_load_dwordx4 v[94:97], v[80:81], off offset:16
	;; [unrolled: 1-line block ×3, first 2 shown]
	s_waitcnt vmcnt(4)
	v_fmac_f64_e32 v[56:57], 0, v[42:43]
	v_fmac_f64_e32 v[62:63], v[90:91], v[42:43]
	;; [unrolled: 1-line block ×4, first 2 shown]
	v_lshlrev_b32_e32 v90, 2, v1
	v_fmac_f64_e32 v[68:69], 0, v[42:43]
	v_fmac_f64_e32 v[54:55], v[92:93], v[42:43]
	;; [unrolled: 1-line block ×3, first 2 shown]
	v_ashrrev_i32_e32 v91, 31, v90
	v_fmac_f64_e32 v[72:73], v[98:99], v[42:43]
	v_fmac_f64_e32 v[68:69], v[98:99], v[44:45]
	;; [unrolled: 1-line block ×4, first 2 shown]
	v_lshl_add_u64 v[98:99], v[90:91], 4, s[4:5]
	s_waitcnt vmcnt(3)
	v_fmac_f64_e32 v[56:57], 0, v[76:77]
	v_fmac_f64_e32 v[52:53], 0, v[76:77]
	v_fmac_f64_e32 v[70:71], v[100:101], v[42:43]
	v_fmac_f64_e32 v[66:67], 0, v[42:43]
	v_fmac_f64_e32 v[62:63], v[30:31], v[76:77]
	v_fmac_f64_e32 v[54:55], v[32:33], v[76:77]
	v_fmac_f64_e32 v[56:57], v[30:31], v[78:79]
	v_fmac_f64_e32 v[52:53], v[32:33], v[78:79]
	global_load_dwordx4 v[30:33], v[98:99], off
	v_fmac_f64_e32 v[66:67], v[100:101], v[44:45]
	v_fmac_f64_e32 v[72:73], 0x80000000, v[44:45]
	;; [unrolled: 1-line block ×13, first 2 shown]
	global_load_dwordx4 v[76:79], v[98:99], off offset:16
	v_subrev_u32_e32 v1, s12, v84
	global_load_dwordx4 v[42:45], v[80:81], off offset:80
	global_load_dwordx4 v[22:25], v[80:81], off offset:48
	s_waitcnt vmcnt(3)
	v_fmac_f64_e32 v[72:73], v[26:27], v[30:31]
	v_fmac_f64_e32 v[68:69], 0, v[30:31]
	;; [unrolled: 1-line block ×8, first 2 shown]
	v_lshlrev_b32_e32 v30, 2, v1
	v_ashrrev_i32_e32 v31, 31, v30
	v_fmac_f64_e32 v[68:69], v[26:27], v[32:33]
	v_fmac_f64_e32 v[66:67], v[28:29], v[32:33]
	global_load_dwordx4 v[26:29], v[80:81], off offset:64
	v_fmac_f64_e32 v[56:57], v[38:39], v[32:33]
	v_fmac_f64_e32 v[52:53], v[40:41], v[32:33]
	global_load_dwordx4 v[38:41], v[80:81], off offset:112
	global_load_dwordx4 v[90:93], v[82:83], off
	v_lshl_add_u64 v[84:85], v[30:31], 4, s[4:5]
	v_fmac_f64_e32 v[72:73], 0x80000000, v[32:33]
	v_fmac_f64_e32 v[70:71], 0x80000000, v[32:33]
	;; [unrolled: 1-line block ×4, first 2 shown]
	global_load_dwordx4 v[30:33], v[98:99], off offset:32
	s_waitcnt vmcnt(6)
	v_fmac_f64_e32 v[68:69], 0, v[76:77]
	v_fmac_f64_e32 v[66:67], 0, v[76:77]
	;; [unrolled: 1-line block ×6, first 2 shown]
	global_load_dwordx4 v[18:21], v[98:99], off offset:48
	global_load_dwordx4 v[80:83], v[84:85], off
	v_fmac_f64_e32 v[62:63], v[102:103], v[76:77]
	v_fmac_f64_e32 v[56:57], 0, v[76:77]
	;; [unrolled: 1-line block ×10, first 2 shown]
	global_load_dwordx4 v[76:79], v[84:85], off offset:16
	global_load_dwordx4 v[98:101], v[84:85], off offset:32
	;; [unrolled: 1-line block ×3, first 2 shown]
	s_waitcnt vmcnt(5)
	v_fmac_f64_e32 v[72:73], v[106:107], v[30:31]
	v_fmac_f64_e32 v[68:69], 0, v[30:31]
	v_fmac_f64_e32 v[70:71], v[108:109], v[30:31]
	v_fmac_f64_e32 v[66:67], 0, v[30:31]
	v_fmac_f64_e32 v[62:63], v[86:87], v[30:31]
	v_fmac_f64_e32 v[56:57], 0, v[30:31]
	v_fmac_f64_e32 v[54:55], v[88:89], v[30:31]
	v_fmac_f64_e32 v[52:53], 0, v[30:31]
	v_fmac_f64_e32 v[68:69], v[106:107], v[32:33]
	v_fmac_f64_e32 v[66:67], v[108:109], v[32:33]
	v_fmac_f64_e32 v[56:57], v[86:87], v[32:33]
	v_fmac_f64_e32 v[52:53], v[88:89], v[32:33]
	v_fmac_f64_e32 v[72:73], 0x80000000, v[32:33]
	v_fmac_f64_e32 v[70:71], 0x80000000, v[32:33]
	v_fmac_f64_e32 v[62:63], 0x80000000, v[32:33]
	v_fmac_f64_e32 v[54:55], 0x80000000, v[32:33]
	s_waitcnt vmcnt(4)
	v_fmac_f64_e32 v[72:73], v[34:35], v[18:19]
	v_fmac_f64_e32 v[68:69], 0, v[18:19]
	v_fmac_f64_e32 v[70:71], v[36:37], v[18:19]
	v_fmac_f64_e32 v[66:67], 0, v[18:19]
	v_fmac_f64_e32 v[62:63], v[14:15], v[18:19]
	v_fmac_f64_e32 v[56:57], 0, v[18:19]
	v_fmac_f64_e32 v[54:55], v[16:17], v[18:19]
	v_fmac_f64_e32 v[52:53], 0, v[18:19]
	v_fmac_f64_e32 v[72:73], 0x80000000, v[20:21]
	v_fmac_f64_e32 v[68:69], v[34:35], v[20:21]
	v_fmac_f64_e32 v[70:71], 0x80000000, v[20:21]
	v_fmac_f64_e32 v[66:67], v[36:37], v[20:21]
	v_fmac_f64_e32 v[62:63], 0x80000000, v[20:21]
	v_fmac_f64_e32 v[56:57], v[14:15], v[20:21]
	v_fmac_f64_e32 v[54:55], 0x80000000, v[20:21]
	v_fmac_f64_e32 v[52:53], v[16:17], v[20:21]
	;; [unrolled: 17-line block ×6, first 2 shown]
	s_andn2_b64 exec, exec, s[8:9]
	s_cbranch_execnz .LBB143_31
; %bb.32:
	s_or_b64 exec, exec, s[8:9]
.LBB143_33:
	s_or_b64 exec, exec, s[2:3]
.LBB143_34:
	s_or_b64 exec, exec, s[6:7]
.LBB143_35:
	v_mov_b32_dpp v10, v72 row_shr:1 row_mask:0xf bank_mask:0xf
	v_mov_b32_dpp v11, v73 row_shr:1 row_mask:0xf bank_mask:0xf
	v_mov_b32_dpp v14, v68 row_shr:1 row_mask:0xf bank_mask:0xf
	v_mov_b32_dpp v15, v69 row_shr:1 row_mask:0xf bank_mask:0xf
	v_mov_b32_dpp v18, v70 row_shr:1 row_mask:0xf bank_mask:0xf
	v_mov_b32_dpp v19, v71 row_shr:1 row_mask:0xf bank_mask:0xf
	v_mov_b32_dpp v22, v66 row_shr:1 row_mask:0xf bank_mask:0xf
	v_mov_b32_dpp v23, v67 row_shr:1 row_mask:0xf bank_mask:0xf
	v_mov_b32_dpp v26, v62 row_shr:1 row_mask:0xf bank_mask:0xf
	v_mov_b32_dpp v27, v63 row_shr:1 row_mask:0xf bank_mask:0xf
	v_mov_b32_dpp v30, v56 row_shr:1 row_mask:0xf bank_mask:0xf
	v_mov_b32_dpp v31, v57 row_shr:1 row_mask:0xf bank_mask:0xf
	v_mov_b32_dpp v34, v54 row_shr:1 row_mask:0xf bank_mask:0xf
	v_mov_b32_dpp v35, v55 row_shr:1 row_mask:0xf bank_mask:0xf
	v_mov_b32_dpp v38, v52 row_shr:1 row_mask:0xf bank_mask:0xf
	v_mov_b32_dpp v39, v53 row_shr:1 row_mask:0xf bank_mask:0xf
	v_add_f64 v[10:11], v[72:73], v[10:11]
	v_add_f64 v[14:15], v[68:69], v[14:15]
	v_add_f64 v[18:19], v[70:71], v[18:19]
	v_add_f64 v[22:23], v[66:67], v[22:23]
	v_add_f64 v[26:27], v[62:63], v[26:27]
	v_add_f64 v[30:31], v[56:57], v[30:31]
	v_add_f64 v[34:35], v[54:55], v[34:35]
	v_add_f64 v[38:39], v[52:53], v[38:39]
	v_mov_b32_dpp v12, v10 row_shr:2 row_mask:0xf bank_mask:0xf
	v_mov_b32_dpp v13, v11 row_shr:2 row_mask:0xf bank_mask:0xf
	v_mov_b32_dpp v16, v14 row_shr:2 row_mask:0xf bank_mask:0xf
	v_mov_b32_dpp v17, v15 row_shr:2 row_mask:0xf bank_mask:0xf
	v_mov_b32_dpp v20, v18 row_shr:2 row_mask:0xf bank_mask:0xf
	v_mov_b32_dpp v21, v19 row_shr:2 row_mask:0xf bank_mask:0xf
	v_mov_b32_dpp v24, v22 row_shr:2 row_mask:0xf bank_mask:0xf
	v_mov_b32_dpp v25, v23 row_shr:2 row_mask:0xf bank_mask:0xf
	v_mov_b32_dpp v28, v26 row_shr:2 row_mask:0xf bank_mask:0xf
	v_mov_b32_dpp v29, v27 row_shr:2 row_mask:0xf bank_mask:0xf
	v_mov_b32_dpp v32, v30 row_shr:2 row_mask:0xf bank_mask:0xf
	v_mov_b32_dpp v33, v31 row_shr:2 row_mask:0xf bank_mask:0xf
	v_mov_b32_dpp v36, v34 row_shr:2 row_mask:0xf bank_mask:0xf
	v_mov_b32_dpp v37, v35 row_shr:2 row_mask:0xf bank_mask:0xf
	v_mov_b32_dpp v40, v38 row_shr:2 row_mask:0xf bank_mask:0xf
	v_mov_b32_dpp v41, v39 row_shr:2 row_mask:0xf bank_mask:0xf
	v_add_f64 v[10:11], v[10:11], v[12:13]
	v_add_f64 v[14:15], v[14:15], v[16:17]
	v_add_f64 v[18:19], v[18:19], v[20:21]
	v_add_f64 v[22:23], v[22:23], v[24:25]
	v_add_f64 v[26:27], v[26:27], v[28:29]
	v_add_f64 v[30:31], v[30:31], v[32:33]
	v_add_f64 v[34:35], v[34:35], v[36:37]
	v_add_f64 v[38:39], v[38:39], v[40:41]
	;; [unrolled: 24-line block ×4, first 2 shown]
	v_mov_b32_dpp v12, v10 row_bcast:15 row_mask:0xa bank_mask:0xf
	v_mov_b32_dpp v13, v11 row_bcast:15 row_mask:0xa bank_mask:0xf
	;; [unrolled: 1-line block ×16, first 2 shown]
	v_cmp_eq_u32_e32 vcc, 31, v0
	s_and_b64 exec, exec, vcc
	s_cbranch_execz .LBB143_8
; %bb.36:
	s_load_dwordx2 s[2:3], s[0:1], 0x60
	v_add_f64 v[0:1], v[10:11], v[12:13]
	v_add_f64 v[10:11], v[14:15], v[16:17]
	v_add_f64 v[12:13], v[22:23], v[24:25]
	v_add_f64 v[16:17], v[30:31], v[32:33]
	v_add_f64 v[30:31], v[38:39], v[40:41]
	v_add_f64 v[42:43], v[18:19], v[20:21]
	v_add_f64 v[26:27], v[26:27], v[28:29]
	v_add_f64 v[28:29], v[34:35], v[36:37]
	v_cmp_eq_f64_e32 vcc, 0, v[2:3]
	v_cmp_eq_f64_e64 s[0:1], 0, v[4:5]
	v_mul_f64 v[22:23], v[10:11], -v[8:9]
	v_mul_f64 v[24:25], v[6:7], v[10:11]
	v_mul_f64 v[18:19], v[12:13], -v[8:9]
	v_mul_f64 v[20:21], v[6:7], v[12:13]
	;; [unrolled: 2-line block ×4, first 2 shown]
	s_and_b64 s[0:1], vcc, s[0:1]
	v_fmac_f64_e32 v[22:23], v[6:7], v[0:1]
	v_fmac_f64_e32 v[24:25], v[8:9], v[0:1]
	v_lshlrev_b32_e32 v0, 2, v50
	v_fmac_f64_e32 v[18:19], v[6:7], v[42:43]
	v_fmac_f64_e32 v[20:21], v[8:9], v[42:43]
	;; [unrolled: 1-line block ×6, first 2 shown]
	s_waitcnt lgkmcnt(0)
	s_and_saveexec_b64 s[4:5], s[0:1]
	s_xor_b64 s[0:1], exec, s[4:5]
	s_cbranch_execz .LBB143_38
; %bb.37:
	v_ashrrev_i32_e32 v1, 31, v0
	v_lshl_add_u64 v[0:1], v[0:1], 4, s[2:3]
	global_store_dwordx4 v[0:1], v[22:25], off
	global_store_dwordx4 v[0:1], v[18:21], off offset:16
	global_store_dwordx4 v[0:1], v[14:17], off offset:32
	;; [unrolled: 1-line block ×3, first 2 shown]
                                        ; implicit-def: $vgpr4_vgpr5
                                        ; implicit-def: $vgpr22_vgpr23
                                        ; implicit-def: $vgpr0
                                        ; implicit-def: $vgpr18_vgpr19
                                        ; implicit-def: $vgpr14_vgpr15
                                        ; implicit-def: $vgpr10_vgpr11
.LBB143_38:
	s_andn2_saveexec_b64 s[0:1], s[0:1]
	s_cbranch_execz .LBB143_8
; %bb.39:
	v_ashrrev_i32_e32 v1, 31, v0
	v_lshl_add_u64 v[0:1], v[0:1], 4, s[2:3]
	global_load_dwordx4 v[6:9], v[0:1], off
	global_load_dwordx4 v[26:29], v[0:1], off offset:16
	global_load_dwordx4 v[30:33], v[0:1], off offset:32
	;; [unrolled: 1-line block ×3, first 2 shown]
	s_waitcnt vmcnt(3)
	v_fmac_f64_e32 v[22:23], v[2:3], v[6:7]
	v_fmac_f64_e32 v[24:25], v[4:5], v[6:7]
	s_waitcnt vmcnt(2)
	v_fmac_f64_e32 v[18:19], v[2:3], v[26:27]
	v_fmac_f64_e32 v[20:21], v[4:5], v[26:27]
	;; [unrolled: 3-line block ×4, first 2 shown]
	v_fma_f64 v[22:23], -v[4:5], v[8:9], v[22:23]
	v_fmac_f64_e32 v[24:25], v[2:3], v[8:9]
	v_fma_f64 v[18:19], -v[4:5], v[28:29], v[18:19]
	v_fmac_f64_e32 v[20:21], v[2:3], v[28:29]
	;; [unrolled: 2-line block ×4, first 2 shown]
	global_store_dwordx4 v[0:1], v[22:25], off
	global_store_dwordx4 v[0:1], v[18:21], off offset:16
	global_store_dwordx4 v[0:1], v[14:17], off offset:32
	;; [unrolled: 1-line block ×3, first 2 shown]
	s_endpgm
	.section	.rodata,"a",@progbits
	.p2align	6, 0x0
	.amdhsa_kernel _ZN9rocsparseL18bsrxmvn_4x4_kernelILj128ELj32E21rocsparse_complex_numIdElidS2_S2_EEvT3_20rocsparse_direction_NS_24const_host_device_scalarIT1_EES3_PKS3_PKT2_SC_S9_PKT4_PKT5_S7_PT6_21rocsparse_index_base_b
		.amdhsa_group_segment_fixed_size 0
		.amdhsa_private_segment_fixed_size 0
		.amdhsa_kernarg_size 112
		.amdhsa_user_sgpr_count 2
		.amdhsa_user_sgpr_dispatch_ptr 0
		.amdhsa_user_sgpr_queue_ptr 0
		.amdhsa_user_sgpr_kernarg_segment_ptr 1
		.amdhsa_user_sgpr_dispatch_id 0
		.amdhsa_user_sgpr_kernarg_preload_length 0
		.amdhsa_user_sgpr_kernarg_preload_offset 0
		.amdhsa_user_sgpr_private_segment_size 0
		.amdhsa_uses_dynamic_stack 0
		.amdhsa_enable_private_segment 0
		.amdhsa_system_sgpr_workgroup_id_x 1
		.amdhsa_system_sgpr_workgroup_id_y 0
		.amdhsa_system_sgpr_workgroup_id_z 0
		.amdhsa_system_sgpr_workgroup_info 0
		.amdhsa_system_vgpr_workitem_id 0
		.amdhsa_next_free_vgpr 110
		.amdhsa_next_free_sgpr 29
		.amdhsa_accum_offset 112
		.amdhsa_reserve_vcc 1
		.amdhsa_float_round_mode_32 0
		.amdhsa_float_round_mode_16_64 0
		.amdhsa_float_denorm_mode_32 3
		.amdhsa_float_denorm_mode_16_64 3
		.amdhsa_dx10_clamp 1
		.amdhsa_ieee_mode 1
		.amdhsa_fp16_overflow 0
		.amdhsa_tg_split 0
		.amdhsa_exception_fp_ieee_invalid_op 0
		.amdhsa_exception_fp_denorm_src 0
		.amdhsa_exception_fp_ieee_div_zero 0
		.amdhsa_exception_fp_ieee_overflow 0
		.amdhsa_exception_fp_ieee_underflow 0
		.amdhsa_exception_fp_ieee_inexact 0
		.amdhsa_exception_int_div_zero 0
	.end_amdhsa_kernel
	.section	.text._ZN9rocsparseL18bsrxmvn_4x4_kernelILj128ELj32E21rocsparse_complex_numIdElidS2_S2_EEvT3_20rocsparse_direction_NS_24const_host_device_scalarIT1_EES3_PKS3_PKT2_SC_S9_PKT4_PKT5_S7_PT6_21rocsparse_index_base_b,"axG",@progbits,_ZN9rocsparseL18bsrxmvn_4x4_kernelILj128ELj32E21rocsparse_complex_numIdElidS2_S2_EEvT3_20rocsparse_direction_NS_24const_host_device_scalarIT1_EES3_PKS3_PKT2_SC_S9_PKT4_PKT5_S7_PT6_21rocsparse_index_base_b,comdat
.Lfunc_end143:
	.size	_ZN9rocsparseL18bsrxmvn_4x4_kernelILj128ELj32E21rocsparse_complex_numIdElidS2_S2_EEvT3_20rocsparse_direction_NS_24const_host_device_scalarIT1_EES3_PKS3_PKT2_SC_S9_PKT4_PKT5_S7_PT6_21rocsparse_index_base_b, .Lfunc_end143-_ZN9rocsparseL18bsrxmvn_4x4_kernelILj128ELj32E21rocsparse_complex_numIdElidS2_S2_EEvT3_20rocsparse_direction_NS_24const_host_device_scalarIT1_EES3_PKS3_PKT2_SC_S9_PKT4_PKT5_S7_PT6_21rocsparse_index_base_b
                                        ; -- End function
	.set _ZN9rocsparseL18bsrxmvn_4x4_kernelILj128ELj32E21rocsparse_complex_numIdElidS2_S2_EEvT3_20rocsparse_direction_NS_24const_host_device_scalarIT1_EES3_PKS3_PKT2_SC_S9_PKT4_PKT5_S7_PT6_21rocsparse_index_base_b.num_vgpr, 110
	.set _ZN9rocsparseL18bsrxmvn_4x4_kernelILj128ELj32E21rocsparse_complex_numIdElidS2_S2_EEvT3_20rocsparse_direction_NS_24const_host_device_scalarIT1_EES3_PKS3_PKT2_SC_S9_PKT4_PKT5_S7_PT6_21rocsparse_index_base_b.num_agpr, 0
	.set _ZN9rocsparseL18bsrxmvn_4x4_kernelILj128ELj32E21rocsparse_complex_numIdElidS2_S2_EEvT3_20rocsparse_direction_NS_24const_host_device_scalarIT1_EES3_PKS3_PKT2_SC_S9_PKT4_PKT5_S7_PT6_21rocsparse_index_base_b.numbered_sgpr, 29
	.set _ZN9rocsparseL18bsrxmvn_4x4_kernelILj128ELj32E21rocsparse_complex_numIdElidS2_S2_EEvT3_20rocsparse_direction_NS_24const_host_device_scalarIT1_EES3_PKS3_PKT2_SC_S9_PKT4_PKT5_S7_PT6_21rocsparse_index_base_b.num_named_barrier, 0
	.set _ZN9rocsparseL18bsrxmvn_4x4_kernelILj128ELj32E21rocsparse_complex_numIdElidS2_S2_EEvT3_20rocsparse_direction_NS_24const_host_device_scalarIT1_EES3_PKS3_PKT2_SC_S9_PKT4_PKT5_S7_PT6_21rocsparse_index_base_b.private_seg_size, 0
	.set _ZN9rocsparseL18bsrxmvn_4x4_kernelILj128ELj32E21rocsparse_complex_numIdElidS2_S2_EEvT3_20rocsparse_direction_NS_24const_host_device_scalarIT1_EES3_PKS3_PKT2_SC_S9_PKT4_PKT5_S7_PT6_21rocsparse_index_base_b.uses_vcc, 1
	.set _ZN9rocsparseL18bsrxmvn_4x4_kernelILj128ELj32E21rocsparse_complex_numIdElidS2_S2_EEvT3_20rocsparse_direction_NS_24const_host_device_scalarIT1_EES3_PKS3_PKT2_SC_S9_PKT4_PKT5_S7_PT6_21rocsparse_index_base_b.uses_flat_scratch, 0
	.set _ZN9rocsparseL18bsrxmvn_4x4_kernelILj128ELj32E21rocsparse_complex_numIdElidS2_S2_EEvT3_20rocsparse_direction_NS_24const_host_device_scalarIT1_EES3_PKS3_PKT2_SC_S9_PKT4_PKT5_S7_PT6_21rocsparse_index_base_b.has_dyn_sized_stack, 0
	.set _ZN9rocsparseL18bsrxmvn_4x4_kernelILj128ELj32E21rocsparse_complex_numIdElidS2_S2_EEvT3_20rocsparse_direction_NS_24const_host_device_scalarIT1_EES3_PKS3_PKT2_SC_S9_PKT4_PKT5_S7_PT6_21rocsparse_index_base_b.has_recursion, 0
	.set _ZN9rocsparseL18bsrxmvn_4x4_kernelILj128ELj32E21rocsparse_complex_numIdElidS2_S2_EEvT3_20rocsparse_direction_NS_24const_host_device_scalarIT1_EES3_PKS3_PKT2_SC_S9_PKT4_PKT5_S7_PT6_21rocsparse_index_base_b.has_indirect_call, 0
	.section	.AMDGPU.csdata,"",@progbits
; Kernel info:
; codeLenInByte = 7556
; TotalNumSgprs: 35
; NumVgprs: 110
; NumAgprs: 0
; TotalNumVgprs: 110
; ScratchSize: 0
; MemoryBound: 0
; FloatMode: 240
; IeeeMode: 1
; LDSByteSize: 0 bytes/workgroup (compile time only)
; SGPRBlocks: 4
; VGPRBlocks: 13
; NumSGPRsForWavesPerEU: 35
; NumVGPRsForWavesPerEU: 110
; AccumOffset: 112
; Occupancy: 4
; WaveLimiterHint : 1
; COMPUTE_PGM_RSRC2:SCRATCH_EN: 0
; COMPUTE_PGM_RSRC2:USER_SGPR: 2
; COMPUTE_PGM_RSRC2:TRAP_HANDLER: 0
; COMPUTE_PGM_RSRC2:TGID_X_EN: 1
; COMPUTE_PGM_RSRC2:TGID_Y_EN: 0
; COMPUTE_PGM_RSRC2:TGID_Z_EN: 0
; COMPUTE_PGM_RSRC2:TIDIG_COMP_CNT: 0
; COMPUTE_PGM_RSRC3_GFX90A:ACCUM_OFFSET: 27
; COMPUTE_PGM_RSRC3_GFX90A:TG_SPLIT: 0
	.section	.text._ZN9rocsparseL18bsrxmvn_4x4_kernelILj128ELj64E21rocsparse_complex_numIdElidS2_S2_EEvT3_20rocsparse_direction_NS_24const_host_device_scalarIT1_EES3_PKS3_PKT2_SC_S9_PKT4_PKT5_S7_PT6_21rocsparse_index_base_b,"axG",@progbits,_ZN9rocsparseL18bsrxmvn_4x4_kernelILj128ELj64E21rocsparse_complex_numIdElidS2_S2_EEvT3_20rocsparse_direction_NS_24const_host_device_scalarIT1_EES3_PKS3_PKT2_SC_S9_PKT4_PKT5_S7_PT6_21rocsparse_index_base_b,comdat
	.globl	_ZN9rocsparseL18bsrxmvn_4x4_kernelILj128ELj64E21rocsparse_complex_numIdElidS2_S2_EEvT3_20rocsparse_direction_NS_24const_host_device_scalarIT1_EES3_PKS3_PKT2_SC_S9_PKT4_PKT5_S7_PT6_21rocsparse_index_base_b ; -- Begin function _ZN9rocsparseL18bsrxmvn_4x4_kernelILj128ELj64E21rocsparse_complex_numIdElidS2_S2_EEvT3_20rocsparse_direction_NS_24const_host_device_scalarIT1_EES3_PKS3_PKT2_SC_S9_PKT4_PKT5_S7_PT6_21rocsparse_index_base_b
	.p2align	8
	.type	_ZN9rocsparseL18bsrxmvn_4x4_kernelILj128ELj64E21rocsparse_complex_numIdElidS2_S2_EEvT3_20rocsparse_direction_NS_24const_host_device_scalarIT1_EES3_PKS3_PKT2_SC_S9_PKT4_PKT5_S7_PT6_21rocsparse_index_base_b,@function
_ZN9rocsparseL18bsrxmvn_4x4_kernelILj128ELj64E21rocsparse_complex_numIdElidS2_S2_EEvT3_20rocsparse_direction_NS_24const_host_device_scalarIT1_EES3_PKS3_PKT2_SC_S9_PKT4_PKT5_S7_PT6_21rocsparse_index_base_b: ; @_ZN9rocsparseL18bsrxmvn_4x4_kernelILj128ELj64E21rocsparse_complex_numIdElidS2_S2_EEvT3_20rocsparse_direction_NS_24const_host_device_scalarIT1_EES3_PKS3_PKT2_SC_S9_PKT4_PKT5_S7_PT6_21rocsparse_index_base_b
; %bb.0:
	s_load_dwordx2 s[4:5], s[0:1], 0x8
	s_load_dwordx2 s[12:13], s[0:1], 0x68
	s_add_u32 s3, s0, 8
	s_addc_u32 s8, s1, 0
	s_add_u32 s9, s0, 0x50
	s_load_dwordx2 s[6:7], s[0:1], 0x50
	s_addc_u32 s10, s1, 0
	s_waitcnt lgkmcnt(0)
	s_bitcmp1_b32 s13, 0
	s_cselect_b32 s5, s8, s5
	s_cselect_b32 s3, s3, s4
	v_mov_b32_e32 v2, s3
	v_mov_b32_e32 v3, s5
	flat_load_dwordx4 v[6:9], v[2:3]
	s_cselect_b32 s3, s10, s7
	s_cselect_b32 s4, s9, s6
	v_mov_b32_e32 v2, s4
	v_mov_b32_e32 v3, s3
	flat_load_dwordx4 v[2:5], v[2:3]
	s_waitcnt vmcnt(0) lgkmcnt(0)
	v_cmp_eq_f64_e32 vcc, 0, v[6:7]
	v_cmp_eq_f64_e64 s[4:5], 0, v[8:9]
	s_and_b64 s[8:9], vcc, s[4:5]
	s_mov_b64 s[4:5], -1
	s_and_saveexec_b64 s[6:7], s[8:9]
; %bb.1:
	v_cmp_neq_f64_e32 vcc, 1.0, v[2:3]
	v_cmp_neq_f64_e64 s[4:5], 0, v[4:5]
	s_or_b64 s[4:5], vcc, s[4:5]
	s_orn2_b64 s[4:5], s[4:5], exec
; %bb.2:
	s_or_b64 exec, exec, s[6:7]
	s_and_saveexec_b64 s[6:7], s[4:5]
	s_cbranch_execz .LBB144_8
; %bb.3:
	s_load_dwordx2 s[4:5], s[0:1], 0x20
	s_load_dwordx2 s[14:15], s[0:1], 0x0
	v_lshrrev_b32_e32 v1, 6, v0
	v_lshl_or_b32 v66, s2, 1, v1
	s_mov_b64 s[2:3], 0
	s_waitcnt lgkmcnt(0)
	s_cmp_lg_u64 s[4:5], 0
	s_cbranch_scc0 .LBB144_9
; %bb.4:
	s_load_dword s6, s[0:1], 0x18
                                        ; implicit-def: $vgpr1
	s_waitcnt lgkmcnt(0)
	v_cmp_gt_i32_e32 vcc, s6, v66
	s_and_saveexec_b64 s[6:7], vcc
	s_xor_b64 s[6:7], exec, s[6:7]
	s_cbranch_execz .LBB144_6
; %bb.5:
	v_ashrrev_i32_e32 v67, 31, v66
	v_lshl_add_u64 v[10:11], v[66:67], 2, s[4:5]
	global_load_dword v1, v[10:11], off
	s_mov_b64 s[2:3], exec
	s_waitcnt vmcnt(0)
	v_subrev_u32_e32 v1, s12, v1
.LBB144_6:
	s_or_b64 exec, exec, s[6:7]
	s_branch .LBB144_10
.LBB144_7:
	v_cmp_gt_i32_e32 vcc, s14, v66
	s_andn2_b64 s[2:3], s[2:3], exec
	s_and_b64 s[4:5], vcc, exec
	s_or_b64 s[2:3], s[2:3], s[4:5]
	s_and_b64 exec, exec, s[2:3]
	s_cbranch_execnz .LBB144_11
.LBB144_8:
	s_endpgm
.LBB144_9:
                                        ; implicit-def: $vgpr1
	s_cbranch_execnz .LBB144_7
.LBB144_10:
	v_mov_b32_e32 v66, v1
	s_and_b64 exec, exec, s[2:3]
	s_cbranch_execz .LBB144_8
.LBB144_11:
	s_load_dwordx8 s[4:11], s[0:1], 0x28
	v_ashrrev_i32_e32 v67, 31, v66
	v_lshlrev_b64 v[10:11], 3, v[66:67]
	v_and_b32_e32 v0, 63, v0
	v_mov_b32_e32 v1, 0
	s_waitcnt lgkmcnt(0)
	v_lshl_add_u64 v[12:13], s[4:5], 0, v[10:11]
	s_cmp_eq_u64 s[6:7], 0
	v_lshl_add_u64 v[10:11], s[6:7], 0, v[10:11]
	global_load_dwordx2 v[22:23], v[12:13], off
	v_lshl_add_u64 v[12:13], v[12:13], 0, 8
	s_cselect_b64 vcc, -1, 0
	v_cndmask_b32_e32 v11, v11, v13, vcc
	v_cndmask_b32_e32 v10, v10, v12, vcc
	global_load_dwordx2 v[10:11], v[10:11], off
	s_load_dwordx2 s[6:7], s[0:1], 0x48
	s_cmp_eq_u32 s15, 1
	s_waitcnt vmcnt(1)
	v_subrev_co_u32_e32 v12, vcc, s12, v22
	s_nop 1
	v_subbrev_co_u32_e32 v13, vcc, 0, v23, vcc
	v_lshl_add_u64 v[76:77], v[12:13], 0, v[0:1]
	s_waitcnt vmcnt(0)
	v_subrev_co_u32_e32 v80, vcc, s12, v10
	s_nop 1
	v_subbrev_co_u32_e32 v81, vcc, 0, v11, vcc
	v_lshlrev_b64 v[10:11], 7, v[76:77]
	v_lshl_add_u64 v[82:83], s[10:11], 0, v[10:11]
	v_cmp_lt_i64_e64 s[2:3], v[76:77], v[80:81]
	s_cbranch_scc1 .LBB144_23
; %bb.12:
	v_mov_b64_e32 v[84:85], 0
	v_mov_b64_e32 v[88:89], 0
	;; [unrolled: 1-line block ×8, first 2 shown]
	s_and_saveexec_b64 s[4:5], s[2:3]
	s_cbranch_execz .LBB144_22
; %bb.13:
	v_or_b32_e32 v1, 64, v0
	v_subrev_co_u32_e32 v10, vcc, s12, v1
	v_not_b32_e32 v13, v23
	s_nop 0
	v_subb_co_u32_e64 v11, s[10:11], 0, 0, vcc
	v_lshl_add_u64 v[10:11], v[10:11], 0, v[22:23]
	v_cmp_gt_i64_e32 vcc, v[10:11], v[80:81]
	v_not_b32_e32 v12, v22
	v_mov_b64_e32 v[70:71], 0
	v_cndmask_b32_e32 v11, v81, v11, vcc
	v_cndmask_b32_e32 v10, v80, v10, vcc
	v_sub_co_u32_e32 v14, vcc, s12, v0
	v_mov_b64_e32 v[68:69], 0
	s_nop 0
	v_subb_co_u32_e64 v15, s[10:11], 0, 0, vcc
	v_lshl_add_u64 v[12:13], v[14:15], 0, v[12:13]
	v_lshl_add_u64 v[28:29], v[12:13], 0, v[10:11]
	v_and_b32_e32 v10, 0xc0, v28
	v_mov_b32_e32 v11, 0
	s_mov_b64 s[10:11], 0xc0
	v_cmp_ne_u64_e32 vcc, s[10:11], v[10:11]
	v_mov_b64_e32 v[74:75], 0
	v_mov_b64_e32 v[72:73], 0
	;; [unrolled: 1-line block ×8, first 2 shown]
	s_and_saveexec_b64 s[10:11], vcc
	s_cbranch_execz .LBB144_17
; %bb.14:
	v_lshrrev_b32_e32 v1, 6, v28
	v_add_u32_e32 v1, 1, v1
	v_and_b32_e32 v1, 3, v1
	v_sub_co_u32_e32 v32, vcc, 0, v1
	v_lshl_add_u64 v[30:31], v[76:77], 2, s[8:9]
	s_nop 0
	v_subb_co_u32_e64 v33, s[16:17], 0, 0, vcc
	s_mov_b64 s[14:15], 0
	v_mov_b64_e32 v[84:85], 0
	s_mov_b64 s[16:17], 0x2000
	s_mov_b64 s[18:19], 0x100
	v_mov_b64_e32 v[26:27], v[76:77]
	v_mov_b64_e32 v[24:25], v[82:83]
	;; [unrolled: 1-line block ×9, first 2 shown]
.LBB144_15:                             ; =>This Inner Loop Header: Depth=1
	global_load_dword v1, v[30:31], off
	global_load_dwordx4 v[10:13], v[24:25], off offset:48
	global_load_dwordx4 v[18:21], v[24:25], off offset:32
	;; [unrolled: 1-line block ×3, first 2 shown]
	global_load_dwordx4 v[34:37], v[24:25], off
	global_load_dwordx4 v[38:41], v[24:25], off offset:112
	global_load_dwordx4 v[42:45], v[24:25], off offset:96
	;; [unrolled: 1-line block ×4, first 2 shown]
	v_lshl_add_u64 v[32:33], v[32:33], 0, 1
	v_cmp_eq_u64_e32 vcc, 0, v[32:33]
	v_lshl_add_u64 v[24:25], v[24:25], 0, s[16:17]
	v_lshl_add_u64 v[26:27], v[26:27], 0, 64
	;; [unrolled: 1-line block ×3, first 2 shown]
	s_or_b64 s[14:15], vcc, s[14:15]
	s_waitcnt vmcnt(8)
	v_subrev_u32_e32 v1, s12, v1
	v_lshlrev_b32_e32 v54, 2, v1
	v_ashrrev_i32_e32 v55, 31, v54
	s_waitcnt lgkmcnt(0)
	v_lshl_add_u64 v[94:95], v[54:55], 4, s[6:7]
	global_load_dwordx4 v[54:57], v[94:95], off
	global_load_dwordx4 v[58:61], v[94:95], off offset:16
	global_load_dwordx4 v[62:65], v[94:95], off offset:32
	;; [unrolled: 1-line block ×3, first 2 shown]
	s_waitcnt vmcnt(3)
	v_fmac_f64_e32 v[88:89], v[34:35], v[54:55]
	v_fmac_f64_e32 v[84:85], 0, v[54:55]
	v_fmac_f64_e32 v[86:87], v[18:19], v[54:55]
	v_fmac_f64_e32 v[78:79], 0, v[54:55]
	v_fmac_f64_e32 v[74:75], v[46:47], v[54:55]
	v_fmac_f64_e32 v[72:73], 0, v[54:55]
	v_fmac_f64_e32 v[70:71], v[42:43], v[54:55]
	v_fmac_f64_e32 v[68:69], 0, v[54:55]
	v_fmac_f64_e32 v[88:89], 0x80000000, v[56:57]
	v_fmac_f64_e32 v[84:85], v[34:35], v[56:57]
	v_fmac_f64_e32 v[86:87], 0x80000000, v[56:57]
	v_fmac_f64_e32 v[78:79], v[18:19], v[56:57]
	v_fmac_f64_e32 v[74:75], 0x80000000, v[56:57]
	v_fmac_f64_e32 v[72:73], v[46:47], v[56:57]
	v_fmac_f64_e32 v[70:71], 0x80000000, v[56:57]
	v_fmac_f64_e32 v[68:69], v[42:43], v[56:57]
	s_waitcnt vmcnt(2)
	v_fmac_f64_e32 v[88:89], v[36:37], v[58:59]
	v_fmac_f64_e32 v[84:85], 0, v[58:59]
	v_fmac_f64_e32 v[86:87], v[20:21], v[58:59]
	v_fmac_f64_e32 v[78:79], 0, v[58:59]
	v_fmac_f64_e32 v[74:75], v[48:49], v[58:59]
	v_fmac_f64_e32 v[72:73], 0, v[58:59]
	v_fmac_f64_e32 v[70:71], v[44:45], v[58:59]
	v_fmac_f64_e32 v[68:69], 0, v[58:59]
	v_fmac_f64_e32 v[84:85], v[36:37], v[60:61]
	v_fmac_f64_e32 v[78:79], v[20:21], v[60:61]
	v_fmac_f64_e32 v[88:89], 0x80000000, v[60:61]
	v_fmac_f64_e32 v[86:87], 0x80000000, v[60:61]
	v_fmac_f64_e32 v[74:75], 0x80000000, v[60:61]
	v_fmac_f64_e32 v[72:73], v[48:49], v[60:61]
	v_fmac_f64_e32 v[70:71], 0x80000000, v[60:61]
	v_fmac_f64_e32 v[68:69], v[44:45], v[60:61]
	;; [unrolled: 17-line block ×4, first 2 shown]
	s_andn2_b64 exec, exec, s[14:15]
	s_cbranch_execnz .LBB144_15
; %bb.16:
	s_or_b64 exec, exec, s[14:15]
.LBB144_17:
	s_or_b64 exec, exec, s[10:11]
	s_mov_b64 s[10:11], 0xbf
	v_cmp_lt_u64_e32 vcc, s[10:11], v[28:29]
	s_and_saveexec_b64 s[10:11], vcc
	s_cbranch_execz .LBB144_21
; %bb.18:
	v_lshl_add_u64 v[10:11], v[26:27], 2, s[8:9]
	s_mov_b64 s[14:15], 0x200
	v_lshl_add_u64 v[10:11], v[10:11], 0, s[14:15]
	s_mov_b64 s[14:15], 0
	s_mov_b64 s[16:17], 0x2000
	s_movk_i32 s13, 0x2000
	s_mov_b64 s[18:19], 0x4000
	s_movk_i32 s28, 0x4000
	;; [unrolled: 2-line block ×3, first 2 shown]
	s_mov_b64 s[22:23], 0x100
	s_mov_b64 s[24:25], 0x400
	;; [unrolled: 1-line block ×3, first 2 shown]
.LBB144_19:                             ; =>This Inner Loop Header: Depth=1
	global_load_dword v1, v[10:11], off offset:-512
	global_load_dwordx4 v[12:15], v[24:25], off offset:48
	global_load_dwordx4 v[16:19], v[24:25], off offset:32
	;; [unrolled: 1-line block ×3, first 2 shown]
	global_load_dwordx4 v[32:35], v[24:25], off
	v_lshl_add_u64 v[26:27], v[26:27], 0, s[22:23]
	s_waitcnt vmcnt(4)
	v_subrev_u32_e32 v1, s12, v1
	v_lshlrev_b32_e32 v20, 2, v1
	v_ashrrev_i32_e32 v21, 31, v20
	s_waitcnt lgkmcnt(0)
	v_lshl_add_u64 v[20:21], v[20:21], 4, s[6:7]
	global_load_dwordx4 v[36:39], v[20:21], off offset:48
	global_load_dwordx4 v[40:43], v[20:21], off offset:32
	;; [unrolled: 1-line block ×3, first 2 shown]
	global_load_dwordx4 v[48:51], v[20:21], off
	v_lshl_add_u64 v[20:21], v[24:25], 0, s[16:17]
	s_waitcnt vmcnt(0)
	v_fmac_f64_e32 v[84:85], 0, v[48:49]
	v_fmac_f64_e32 v[78:79], 0, v[48:49]
	;; [unrolled: 1-line block ×30, first 2 shown]
	global_load_dwordx4 v[12:15], v[24:25], off offset:112
	global_load_dwordx4 v[16:19], v[24:25], off offset:96
	;; [unrolled: 1-line block ×4, first 2 shown]
	global_load_dword v1, v[10:11], off offset:-256
	v_fmac_f64_e32 v[72:73], 0, v[48:49]
	v_fmac_f64_e32 v[68:69], 0, v[48:49]
	;; [unrolled: 1-line block ×4, first 2 shown]
	s_waitcnt vmcnt(3)
	v_fmac_f64_e32 v[70:71], v[16:17], v[48:49]
	v_fmac_f64_e32 v[70:71], 0x80000000, v[50:51]
	s_waitcnt vmcnt(1)
	v_fmac_f64_e32 v[74:75], v[32:33], v[48:49]
	v_fmac_f64_e32 v[74:75], 0x80000000, v[50:51]
	;; [unrolled: 1-line block ×20, first 2 shown]
	s_waitcnt vmcnt(0)
	v_subrev_u32_e32 v1, s12, v1
	v_fmac_f64_e32 v[74:75], v[30:31], v[36:37]
	v_fmac_f64_e32 v[72:73], 0, v[36:37]
	;; [unrolled: 1-line block ×4, first 2 shown]
	v_lshlrev_b32_e32 v36, 2, v1
	v_fmac_f64_e32 v[74:75], 0x80000000, v[38:39]
	v_fmac_f64_e32 v[72:73], v[30:31], v[38:39]
	;; [unrolled: 1-line block ×4, first 2 shown]
	v_add_co_u32_e32 v38, vcc, s13, v24
	v_ashrrev_i32_e32 v37, 31, v36
	s_nop 0
	v_addc_co_u32_e32 v39, vcc, 0, v25, vcc
	v_lshl_add_u64 v[52:53], v[36:37], 4, s[6:7]
	global_load_dwordx4 v[12:15], v[38:39], off
	global_load_dwordx4 v[16:19], v[20:21], off offset:48
	global_load_dwordx4 v[28:31], v[20:21], off offset:32
	global_load_dwordx4 v[32:35], v[20:21], off offset:16
	s_nop 0
	global_load_dwordx4 v[36:39], v[52:53], off offset:48
	global_load_dwordx4 v[40:43], v[52:53], off offset:32
	;; [unrolled: 1-line block ×3, first 2 shown]
	global_load_dwordx4 v[48:51], v[52:53], off
	v_lshl_add_u64 v[52:53], v[24:25], 0, s[18:19]
	s_waitcnt vmcnt(0)
	v_fmac_f64_e32 v[84:85], 0, v[48:49]
	v_fmac_f64_e32 v[78:79], 0, v[48:49]
	;; [unrolled: 1-line block ×30, first 2 shown]
	global_load_dwordx4 v[12:15], v[20:21], off offset:112
	global_load_dwordx4 v[16:19], v[20:21], off offset:96
	global_load_dwordx4 v[28:31], v[20:21], off offset:80
	global_load_dwordx4 v[32:35], v[20:21], off offset:64
	global_load_dword v1, v[10:11], off
	v_fmac_f64_e32 v[72:73], 0, v[48:49]
	v_fmac_f64_e32 v[68:69], 0, v[48:49]
	v_fmac_f64_e32 v[88:89], 0x80000000, v[38:39]
	v_fmac_f64_e32 v[86:87], 0x80000000, v[38:39]
	s_waitcnt vmcnt(3)
	v_fmac_f64_e32 v[70:71], v[16:17], v[48:49]
	v_fmac_f64_e32 v[70:71], 0x80000000, v[50:51]
	s_waitcnt vmcnt(1)
	v_fmac_f64_e32 v[74:75], v[32:33], v[48:49]
	v_fmac_f64_e32 v[74:75], 0x80000000, v[50:51]
	;; [unrolled: 1-line block ×16, first 2 shown]
	s_waitcnt vmcnt(0)
	v_subrev_u32_e32 v1, s12, v1
	v_fmac_f64_e32 v[74:75], 0x80000000, v[42:43]
	v_fmac_f64_e32 v[72:73], v[28:29], v[42:43]
	v_fmac_f64_e32 v[70:71], 0x80000000, v[42:43]
	v_fmac_f64_e32 v[68:69], v[12:13], v[42:43]
	v_lshlrev_b32_e32 v12, 2, v1
	v_fmac_f64_e32 v[74:75], v[30:31], v[36:37]
	v_fmac_f64_e32 v[72:73], 0, v[36:37]
	;; [unrolled: 1-line block ×4, first 2 shown]
	v_add_co_u32_e32 v36, vcc, s28, v24
	v_ashrrev_i32_e32 v13, 31, v12
	s_nop 0
	v_addc_co_u32_e32 v37, vcc, 0, v25, vcc
	v_lshl_add_u64 v[12:13], v[12:13], 4, s[6:7]
	v_fmac_f64_e32 v[74:75], 0x80000000, v[38:39]
	v_fmac_f64_e32 v[72:73], v[30:31], v[38:39]
	;; [unrolled: 1-line block ×4, first 2 shown]
	global_load_dwordx4 v[14:17], v[36:37], off
	global_load_dwordx4 v[18:21], v[52:53], off offset:48
	global_load_dwordx4 v[28:31], v[52:53], off offset:32
	;; [unrolled: 1-line block ×3, first 2 shown]
	s_nop 0
	global_load_dwordx4 v[36:39], v[12:13], off offset:48
	global_load_dwordx4 v[40:43], v[12:13], off offset:32
	;; [unrolled: 1-line block ×3, first 2 shown]
	global_load_dwordx4 v[48:51], v[12:13], off
	s_waitcnt vmcnt(0)
	v_fmac_f64_e32 v[84:85], 0, v[48:49]
	v_fmac_f64_e32 v[88:89], v[14:15], v[48:49]
	;; [unrolled: 1-line block ×26, first 2 shown]
	global_load_dwordx4 v[12:15], v[52:53], off offset:112
	global_load_dwordx4 v[16:19], v[52:53], off offset:96
	;; [unrolled: 1-line block ×4, first 2 shown]
	global_load_dword v1, v[10:11], off offset:256
	v_fmac_f64_e32 v[72:73], 0, v[48:49]
	v_fmac_f64_e32 v[68:69], 0, v[48:49]
	;; [unrolled: 1-line block ×8, first 2 shown]
	v_lshl_add_u64 v[52:53], v[24:25], 0, s[20:21]
	v_lshl_add_u64 v[10:11], v[10:11], 0, s[24:25]
	s_waitcnt vmcnt(3)
	v_fmac_f64_e32 v[70:71], v[16:17], v[48:49]
	v_fmac_f64_e32 v[70:71], 0x80000000, v[50:51]
	s_waitcnt vmcnt(1)
	v_fmac_f64_e32 v[74:75], v[32:33], v[48:49]
	v_fmac_f64_e32 v[74:75], 0x80000000, v[50:51]
	;; [unrolled: 1-line block ×16, first 2 shown]
	s_waitcnt vmcnt(0)
	v_subrev_u32_e32 v1, s12, v1
	v_fmac_f64_e32 v[74:75], 0x80000000, v[42:43]
	v_fmac_f64_e32 v[72:73], v[28:29], v[42:43]
	;; [unrolled: 1-line block ×4, first 2 shown]
	v_lshlrev_b32_e32 v20, 2, v1
	v_fmac_f64_e32 v[74:75], v[30:31], v[36:37]
	v_fmac_f64_e32 v[72:73], 0, v[36:37]
	;; [unrolled: 1-line block ×4, first 2 shown]
	v_add_co_u32_e32 v36, vcc, s29, v24
	v_ashrrev_i32_e32 v21, 31, v20
	s_nop 0
	v_addc_co_u32_e32 v37, vcc, 0, v25, vcc
	v_lshl_add_u64 v[20:21], v[20:21], 4, s[6:7]
	v_fmac_f64_e32 v[74:75], 0x80000000, v[38:39]
	v_fmac_f64_e32 v[72:73], v[30:31], v[38:39]
	;; [unrolled: 1-line block ×4, first 2 shown]
	global_load_dwordx4 v[12:15], v[36:37], off
	global_load_dwordx4 v[16:19], v[52:53], off offset:48
	global_load_dwordx4 v[28:31], v[52:53], off offset:32
	;; [unrolled: 1-line block ×3, first 2 shown]
	s_nop 0
	global_load_dwordx4 v[36:39], v[20:21], off offset:48
	global_load_dwordx4 v[40:43], v[20:21], off offset:32
	;; [unrolled: 1-line block ×3, first 2 shown]
	global_load_dwordx4 v[48:51], v[20:21], off
	v_cmp_ge_i64_e32 vcc, v[26:27], v[80:81]
	v_lshl_add_u64 v[24:25], v[24:25], 0, s[26:27]
	s_or_b64 s[14:15], vcc, s[14:15]
	s_waitcnt vmcnt(0)
	v_fmac_f64_e32 v[84:85], 0, v[48:49]
	v_fmac_f64_e32 v[78:79], 0, v[48:49]
	;; [unrolled: 1-line block ×30, first 2 shown]
	global_load_dwordx4 v[12:15], v[52:53], off offset:112
	global_load_dwordx4 v[16:19], v[52:53], off offset:96
	;; [unrolled: 1-line block ×4, first 2 shown]
	v_fmac_f64_e32 v[72:73], 0, v[48:49]
	v_fmac_f64_e32 v[68:69], 0, v[48:49]
	v_fmac_f64_e32 v[88:89], 0x80000000, v[38:39]
	v_fmac_f64_e32 v[86:87], 0x80000000, v[38:39]
	s_waitcnt vmcnt(2)
	v_fmac_f64_e32 v[70:71], v[16:17], v[48:49]
	v_fmac_f64_e32 v[70:71], 0x80000000, v[50:51]
	s_waitcnt vmcnt(0)
	v_fmac_f64_e32 v[74:75], v[32:33], v[48:49]
	v_fmac_f64_e32 v[74:75], 0x80000000, v[50:51]
	;; [unrolled: 1-line block ×28, first 2 shown]
	s_andn2_b64 exec, exec, s[14:15]
	s_cbranch_execnz .LBB144_19
; %bb.20:
	s_or_b64 exec, exec, s[14:15]
.LBB144_21:
	s_or_b64 exec, exec, s[10:11]
.LBB144_22:
	s_or_b64 exec, exec, s[4:5]
	s_cbranch_execz .LBB144_24
	s_branch .LBB144_35
.LBB144_23:
                                        ; implicit-def: $vgpr84_vgpr85
                                        ; implicit-def: $vgpr88_vgpr89
                                        ; implicit-def: $vgpr78_vgpr79
                                        ; implicit-def: $vgpr86_vgpr87
                                        ; implicit-def: $vgpr72_vgpr73
                                        ; implicit-def: $vgpr74_vgpr75
                                        ; implicit-def: $vgpr68_vgpr69
                                        ; implicit-def: $vgpr70_vgpr71
.LBB144_24:
	v_mov_b64_e32 v[84:85], 0
	v_mov_b64_e32 v[88:89], 0
	;; [unrolled: 1-line block ×8, first 2 shown]
	s_and_saveexec_b64 s[10:11], s[2:3]
	s_cbranch_execz .LBB144_34
; %bb.25:
	v_or_b32_e32 v1, 64, v0
	v_subrev_co_u32_e32 v10, vcc, s12, v1
	v_not_b32_e32 v13, v23
	s_nop 0
	v_subb_co_u32_e64 v11, s[2:3], 0, 0, vcc
	v_lshl_add_u64 v[10:11], v[10:11], 0, v[22:23]
	v_cmp_gt_i64_e32 vcc, v[10:11], v[80:81]
	v_not_b32_e32 v12, v22
	v_mov_b64_e32 v[70:71], 0
	v_cndmask_b32_e32 v11, v81, v11, vcc
	v_cndmask_b32_e32 v10, v80, v10, vcc
	v_sub_co_u32_e32 v14, vcc, s12, v0
	v_mov_b64_e32 v[68:69], 0
	s_nop 0
	v_subb_co_u32_e64 v15, s[2:3], 0, 0, vcc
	v_lshl_add_u64 v[12:13], v[14:15], 0, v[12:13]
	v_lshl_add_u64 v[10:11], v[12:13], 0, v[10:11]
	v_and_b32_e32 v12, 0xc0, v10
	v_mov_b32_e32 v13, 0
	s_mov_b64 s[2:3], 0xc0
	v_cmp_ne_u64_e32 vcc, s[2:3], v[12:13]
	v_mov_b64_e32 v[74:75], 0
	v_mov_b64_e32 v[72:73], 0
	;; [unrolled: 1-line block ×6, first 2 shown]
	s_and_saveexec_b64 s[2:3], vcc
	s_cbranch_execz .LBB144_29
; %bb.26:
	v_lshrrev_b32_e32 v1, 6, v10
	v_add_u32_e32 v1, 1, v1
	v_and_b32_e32 v1, 3, v1
	v_sub_co_u32_e32 v14, vcc, 0, v1
	v_lshl_add_u64 v[12:13], v[76:77], 2, s[8:9]
	s_nop 0
	v_subb_co_u32_e64 v15, s[14:15], 0, 0, vcc
	s_mov_b64 s[4:5], 0
	v_mov_b64_e32 v[84:85], 0
	s_mov_b64 s[14:15], 0x2000
	s_mov_b64 s[16:17], 0x100
	v_mov_b64_e32 v[88:89], 0
	v_mov_b64_e32 v[78:79], 0
	;; [unrolled: 1-line block ×7, first 2 shown]
.LBB144_27:                             ; =>This Inner Loop Header: Depth=1
	global_load_dword v1, v[12:13], off
	global_load_dwordx4 v[16:19], v[82:83], off offset:48
	global_load_dwordx4 v[20:23], v[82:83], off offset:32
	;; [unrolled: 1-line block ×3, first 2 shown]
	global_load_dwordx4 v[28:31], v[82:83], off
	global_load_dwordx4 v[32:35], v[82:83], off offset:96
	global_load_dwordx4 v[36:39], v[82:83], off offset:80
	;; [unrolled: 1-line block ×3, first 2 shown]
	v_lshl_add_u64 v[14:15], v[14:15], 0, 1
	v_cmp_eq_u64_e32 vcc, 0, v[14:15]
	v_lshl_add_u64 v[76:77], v[76:77], 0, 64
	v_lshl_add_u64 v[12:13], v[12:13], 0, s[16:17]
	s_or_b64 s[4:5], vcc, s[4:5]
	s_waitcnt vmcnt(7)
	v_subrev_u32_e32 v1, s12, v1
	v_lshlrev_b32_e32 v44, 2, v1
	v_ashrrev_i32_e32 v45, 31, v44
	s_waitcnt lgkmcnt(0)
	v_lshl_add_u64 v[64:65], v[44:45], 4, s[6:7]
	global_load_dwordx4 v[44:47], v[64:65], off
	global_load_dwordx4 v[48:51], v[64:65], off offset:16
	global_load_dwordx4 v[52:55], v[64:65], off offset:32
	global_load_dwordx4 v[56:59], v[64:65], off offset:48
	global_load_dwordx4 v[60:63], v[82:83], off offset:112
	v_lshl_add_u64 v[82:83], v[82:83], 0, s[14:15]
	s_waitcnt vmcnt(4)
	v_fmac_f64_e32 v[88:89], v[28:29], v[44:45]
	v_fmac_f64_e32 v[84:85], 0, v[44:45]
	v_fmac_f64_e32 v[86:87], v[30:31], v[44:45]
	v_fmac_f64_e32 v[78:79], 0, v[44:45]
	v_fmac_f64_e32 v[74:75], v[24:25], v[44:45]
	v_fmac_f64_e32 v[72:73], 0, v[44:45]
	v_fmac_f64_e32 v[70:71], v[26:27], v[44:45]
	v_fmac_f64_e32 v[68:69], 0, v[44:45]
	v_fmac_f64_e32 v[88:89], 0x80000000, v[46:47]
	v_fmac_f64_e32 v[84:85], v[28:29], v[46:47]
	v_fmac_f64_e32 v[86:87], 0x80000000, v[46:47]
	v_fmac_f64_e32 v[78:79], v[30:31], v[46:47]
	v_fmac_f64_e32 v[74:75], 0x80000000, v[46:47]
	v_fmac_f64_e32 v[72:73], v[24:25], v[46:47]
	v_fmac_f64_e32 v[70:71], 0x80000000, v[46:47]
	v_fmac_f64_e32 v[68:69], v[26:27], v[46:47]
	s_waitcnt vmcnt(3)
	v_fmac_f64_e32 v[88:89], v[20:21], v[48:49]
	v_fmac_f64_e32 v[84:85], 0, v[48:49]
	v_fmac_f64_e32 v[86:87], v[22:23], v[48:49]
	v_fmac_f64_e32 v[78:79], 0, v[48:49]
	v_fmac_f64_e32 v[74:75], v[16:17], v[48:49]
	v_fmac_f64_e32 v[72:73], 0, v[48:49]
	v_fmac_f64_e32 v[70:71], v[18:19], v[48:49]
	v_fmac_f64_e32 v[68:69], 0, v[48:49]
	v_fmac_f64_e32 v[88:89], 0x80000000, v[50:51]
	v_fmac_f64_e32 v[84:85], v[20:21], v[50:51]
	v_fmac_f64_e32 v[86:87], 0x80000000, v[50:51]
	v_fmac_f64_e32 v[78:79], v[22:23], v[50:51]
	v_fmac_f64_e32 v[74:75], 0x80000000, v[50:51]
	v_fmac_f64_e32 v[72:73], v[16:17], v[50:51]
	v_fmac_f64_e32 v[70:71], 0x80000000, v[50:51]
	v_fmac_f64_e32 v[68:69], v[18:19], v[50:51]
	;; [unrolled: 17-line block ×3, first 2 shown]
	s_waitcnt vmcnt(1)
	v_fmac_f64_e32 v[88:89], v[32:33], v[56:57]
	v_fmac_f64_e32 v[84:85], 0, v[56:57]
	;; [unrolled: 1-line block ×4, first 2 shown]
	s_waitcnt vmcnt(0)
	v_fmac_f64_e32 v[74:75], v[60:61], v[56:57]
	v_fmac_f64_e32 v[72:73], 0, v[56:57]
	;; [unrolled: 1-line block ×12, first 2 shown]
	s_andn2_b64 exec, exec, s[4:5]
	s_cbranch_execnz .LBB144_27
; %bb.28:
	s_or_b64 exec, exec, s[4:5]
.LBB144_29:
	s_or_b64 exec, exec, s[2:3]
	s_mov_b64 s[2:3], 0xbf
	v_cmp_lt_u64_e32 vcc, s[2:3], v[10:11]
	s_and_saveexec_b64 s[14:15], vcc
	s_cbranch_execz .LBB144_33
; %bb.30:
	v_lshl_add_u64 v[10:11], v[76:77], 2, s[8:9]
	s_mov_b64 s[2:3], 0x200
	v_lshl_add_u64 v[90:91], v[10:11], 0, s[2:3]
	s_mov_b64 s[8:9], 0
	s_mov_b64 s[16:17], 0x2000
	s_movk_i32 s13, 0x2000
	s_mov_b64 s[18:19], 0x4000
	s_movk_i32 s28, 0x4000
	;; [unrolled: 2-line block ×3, first 2 shown]
	s_mov_b64 s[22:23], 0x100
	s_mov_b64 s[24:25], 0x400
	s_mov_b64 s[26:27], 0x8000
.LBB144_31:                             ; =>This Inner Loop Header: Depth=1
	global_load_dword v1, v[90:91], off offset:-512
	global_load_dwordx4 v[10:13], v[82:83], off offset:48
	global_load_dwordx4 v[14:17], v[82:83], off offset:32
	;; [unrolled: 1-line block ×3, first 2 shown]
	global_load_dwordx4 v[30:33], v[82:83], off
	global_load_dwordx4 v[18:21], v[82:83], off offset:112
	global_load_dwordx4 v[26:29], v[82:83], off offset:96
	;; [unrolled: 1-line block ×4, first 2 shown]
	v_lshl_add_u64 v[48:49], v[82:83], 0, s[16:17]
	global_load_dword v58, v[90:91], off offset:-256
	global_load_dword v67, v[90:91], off
	global_load_dword v100, v[90:91], off offset:256
	global_load_dwordx4 v[62:65], v[48:49], off offset:48
	global_load_dwordx4 v[102:105], v[48:49], off offset:32
	v_lshl_add_u64 v[96:97], v[82:83], 0, s[18:19]
	global_load_dwordx4 v[54:57], v[48:49], off offset:96
	global_load_dwordx4 v[106:109], v[48:49], off offset:80
	v_add_co_u32_e32 v46, vcc, s13, v82
	v_lshl_add_u64 v[98:99], v[82:83], 0, s[20:21]
	s_nop 0
	v_addc_co_u32_e32 v47, vcc, 0, v83, vcc
	v_add_co_u32_e64 v92, s[2:3], s28, v82
	v_add_co_u32_e64 v94, s[4:5], s29, v82
	s_nop 0
	v_addc_co_u32_e64 v93, vcc, 0, v83, s[2:3]
	v_addc_co_u32_e64 v95, vcc, 0, v83, s[4:5]
	v_lshl_add_u64 v[76:77], v[76:77], 0, s[22:23]
	v_cmp_ge_i64_e32 vcc, v[76:77], v[80:81]
	v_lshl_add_u64 v[90:91], v[90:91], 0, s[24:25]
	v_lshl_add_u64 v[82:83], v[82:83], 0, s[26:27]
	s_or_b64 s[8:9], vcc, s[8:9]
	s_waitcnt vmcnt(15)
	v_subrev_u32_e32 v1, s12, v1
	v_lshlrev_b32_e32 v42, 2, v1
	v_ashrrev_i32_e32 v43, 31, v42
	s_waitcnt lgkmcnt(0)
	v_lshl_add_u64 v[60:61], v[42:43], 4, s[6:7]
	global_load_dwordx4 v[50:53], v[60:61], off
	global_load_dwordx4 v[42:45], v[48:49], off offset:112
	s_waitcnt vmcnt(8)
	v_subrev_u32_e32 v1, s12, v58
	s_waitcnt vmcnt(1)
	v_fmac_f64_e32 v[72:73], 0, v[50:51]
	v_fmac_f64_e32 v[68:69], 0, v[50:51]
	;; [unrolled: 1-line block ×6, first 2 shown]
	global_load_dwordx4 v[22:25], v[60:61], off offset:16
	v_fmac_f64_e32 v[74:75], 0x80000000, v[52:53]
	v_fmac_f64_e32 v[70:71], 0x80000000, v[52:53]
	;; [unrolled: 1-line block ×10, first 2 shown]
	global_load_dwordx4 v[30:33], v[48:49], off offset:16
	s_waitcnt vmcnt(1)
	v_fmac_f64_e32 v[72:73], 0, v[22:23]
	v_fmac_f64_e32 v[68:69], 0, v[22:23]
	;; [unrolled: 1-line block ×6, first 2 shown]
	global_load_dwordx4 v[10:13], v[60:61], off offset:32
	v_fmac_f64_e32 v[88:89], v[14:15], v[22:23]
	v_fmac_f64_e32 v[84:85], 0, v[22:23]
	v_fmac_f64_e32 v[86:87], v[16:17], v[22:23]
	v_fmac_f64_e32 v[78:79], 0, v[22:23]
	v_fmac_f64_e32 v[74:75], 0x80000000, v[24:25]
	v_fmac_f64_e32 v[70:71], 0x80000000, v[24:25]
	v_fmac_f64_e32 v[84:85], v[14:15], v[24:25]
	v_fmac_f64_e32 v[78:79], v[16:17], v[24:25]
	v_fmac_f64_e32 v[88:89], 0x80000000, v[24:25]
	v_fmac_f64_e32 v[86:87], 0x80000000, v[24:25]
	global_load_dwordx4 v[22:25], v[48:49], off offset:64
	s_waitcnt vmcnt(1)
	v_fmac_f64_e32 v[72:73], 0, v[10:11]
	v_fmac_f64_e32 v[68:69], 0, v[10:11]
	;; [unrolled: 1-line block ×6, first 2 shown]
	global_load_dwordx4 v[34:37], v[96:97], off offset:32
	global_load_dwordx4 v[50:53], v[96:97], off offset:16
	;; [unrolled: 1-line block ×3, first 2 shown]
	v_fmac_f64_e32 v[88:89], v[38:39], v[10:11]
	v_fmac_f64_e32 v[84:85], 0, v[10:11]
	;; [unrolled: 1-line block ×10, first 2 shown]
	global_load_dwordx4 v[10:13], v[96:97], off offset:112
	global_load_dwordx4 v[58:61], v[96:97], off offset:48
	s_waitcnt vmcnt(2)
	v_fmac_f64_e32 v[88:89], v[26:27], v[14:15]
	v_fmac_f64_e32 v[84:85], 0, v[14:15]
	v_fmac_f64_e32 v[86:87], v[28:29], v[14:15]
	v_fmac_f64_e32 v[78:79], 0, v[14:15]
	v_fmac_f64_e32 v[74:75], v[18:19], v[14:15]
	v_fmac_f64_e32 v[72:73], 0, v[14:15]
	v_fmac_f64_e32 v[70:71], v[20:21], v[14:15]
	v_fmac_f64_e32 v[68:69], 0, v[14:15]
	v_lshlrev_b32_e32 v14, 2, v1
	v_ashrrev_i32_e32 v15, 31, v14
	v_lshl_add_u64 v[110:111], v[14:15], 4, s[6:7]
	v_fmac_f64_e32 v[84:85], v[26:27], v[16:17]
	v_fmac_f64_e32 v[78:79], v[28:29], v[16:17]
	global_load_dwordx4 v[26:29], v[110:111], off
	v_fmac_f64_e32 v[72:73], v[18:19], v[16:17]
	v_fmac_f64_e32 v[68:69], v[20:21], v[16:17]
	global_load_dwordx4 v[18:21], v[46:47], off
	v_fmac_f64_e32 v[88:89], 0x80000000, v[16:17]
	v_fmac_f64_e32 v[86:87], 0x80000000, v[16:17]
	;; [unrolled: 1-line block ×4, first 2 shown]
	global_load_dwordx4 v[14:17], v[96:97], off offset:96
	global_load_dwordx4 v[46:49], v[96:97], off offset:80
	v_subrev_u32_e32 v1, s12, v67
	s_waitcnt vmcnt(3)
	v_fmac_f64_e32 v[84:85], 0, v[26:27]
	v_fmac_f64_e32 v[78:79], 0, v[26:27]
	v_fmac_f64_e32 v[74:75], v[30:31], v[26:27]
	s_waitcnt vmcnt(2)
	v_fmac_f64_e32 v[88:89], v[18:19], v[26:27]
	v_fmac_f64_e32 v[86:87], v[20:21], v[26:27]
	v_fmac_f64_e32 v[84:85], v[18:19], v[28:29]
	v_fmac_f64_e32 v[78:79], v[20:21], v[28:29]
	global_load_dwordx4 v[18:21], v[110:111], off offset:16
	v_fmac_f64_e32 v[72:73], 0, v[26:27]
	v_fmac_f64_e32 v[70:71], v[32:33], v[26:27]
	;; [unrolled: 1-line block ×9, first 2 shown]
	global_load_dwordx4 v[30:33], v[98:99], off offset:16
	s_waitcnt vmcnt(1)
	v_fmac_f64_e32 v[88:89], v[102:103], v[18:19]
	v_fmac_f64_e32 v[84:85], 0, v[18:19]
	;; [unrolled: 1-line block ×16, first 2 shown]
	global_load_dwordx4 v[18:21], v[110:111], off offset:32
	global_load_dwordx4 v[62:65], v[96:97], off offset:64
	s_waitcnt vmcnt(1)
	v_fmac_f64_e32 v[88:89], v[22:23], v[18:19]
	v_fmac_f64_e32 v[84:85], 0, v[18:19]
	;; [unrolled: 1-line block ×10, first 2 shown]
	global_load_dwordx4 v[22:25], v[98:99], off offset:32
	v_fmac_f64_e32 v[72:73], v[106:107], v[20:21]
	v_fmac_f64_e32 v[68:69], v[108:109], v[20:21]
	;; [unrolled: 1-line block ×6, first 2 shown]
	global_load_dwordx4 v[18:21], v[98:99], off offset:112
	global_load_dwordx4 v[38:41], v[110:111], off offset:48
	;; [unrolled: 1-line block ×3, first 2 shown]
	s_waitcnt vmcnt(1)
	v_fmac_f64_e32 v[88:89], v[54:55], v[38:39]
	v_fmac_f64_e32 v[84:85], 0, v[38:39]
	;; [unrolled: 1-line block ×8, first 2 shown]
	v_lshlrev_b32_e32 v38, 2, v1
	v_ashrrev_i32_e32 v39, 31, v38
	v_fmac_f64_e32 v[72:73], v[42:43], v[40:41]
	v_fmac_f64_e32 v[68:69], v[44:45], v[40:41]
	global_load_dwordx4 v[42:45], v[92:93], off
	v_lshl_add_u64 v[92:93], v[38:39], 4, s[6:7]
	v_fmac_f64_e32 v[84:85], v[54:55], v[40:41]
	v_fmac_f64_e32 v[78:79], v[56:57], v[40:41]
	global_load_dwordx4 v[54:57], v[92:93], off
	v_fmac_f64_e32 v[88:89], 0x80000000, v[40:41]
	v_fmac_f64_e32 v[86:87], 0x80000000, v[40:41]
	;; [unrolled: 1-line block ×4, first 2 shown]
	global_load_dwordx4 v[38:41], v[98:99], off offset:80
	v_subrev_u32_e32 v1, s12, v100
	s_waitcnt vmcnt(1)
	v_fmac_f64_e32 v[88:89], v[42:43], v[54:55]
	v_fmac_f64_e32 v[84:85], 0, v[54:55]
	;; [unrolled: 1-line block ×12, first 2 shown]
	global_load_dwordx4 v[42:45], v[98:99], off offset:48
	global_load_dwordx4 v[50:53], v[98:99], off offset:64
	v_fmac_f64_e32 v[88:89], 0x80000000, v[56:57]
	v_fmac_f64_e32 v[86:87], 0x80000000, v[56:57]
	;; [unrolled: 1-line block ×4, first 2 shown]
	global_load_dwordx4 v[54:57], v[92:93], off offset:16
	s_waitcnt vmcnt(0)
	v_fmac_f64_e32 v[72:73], 0, v[54:55]
	v_fmac_f64_e32 v[68:69], 0, v[54:55]
	;; [unrolled: 1-line block ×6, first 2 shown]
	global_load_dwordx4 v[58:61], v[92:93], off offset:32
	v_fmac_f64_e32 v[84:85], 0, v[54:55]
	v_fmac_f64_e32 v[78:79], 0, v[54:55]
	;; [unrolled: 1-line block ×6, first 2 shown]
	global_load_dwordx4 v[34:37], v[94:95], off
	v_lshlrev_b32_e32 v94, 2, v1
	v_ashrrev_i32_e32 v95, 31, v94
	v_fmac_f64_e32 v[88:89], 0x80000000, v[56:57]
	v_fmac_f64_e32 v[86:87], 0x80000000, v[56:57]
	;; [unrolled: 1-line block ×4, first 2 shown]
	global_load_dwordx4 v[54:57], v[92:93], off offset:48
	v_lshl_add_u64 v[96:97], v[94:95], 4, s[6:7]
	s_waitcnt vmcnt(2)
	v_fmac_f64_e32 v[84:85], 0, v[58:59]
	v_fmac_f64_e32 v[78:79], 0, v[58:59]
	;; [unrolled: 1-line block ×6, first 2 shown]
	global_load_dwordx4 v[62:65], v[96:97], off
	v_fmac_f64_e32 v[72:73], 0, v[58:59]
	v_fmac_f64_e32 v[68:69], 0, v[58:59]
	;; [unrolled: 1-line block ×6, first 2 shown]
	global_load_dwordx4 v[46:49], v[96:97], off offset:16
	v_fmac_f64_e32 v[88:89], 0x80000000, v[60:61]
	v_fmac_f64_e32 v[86:87], 0x80000000, v[60:61]
	;; [unrolled: 1-line block ×4, first 2 shown]
	global_load_dwordx4 v[58:61], v[96:97], off offset:32
	global_load_dwordx4 v[92:95], v[96:97], off offset:48
	s_waitcnt vmcnt(4)
	v_fmac_f64_e32 v[88:89], v[14:15], v[54:55]
	v_fmac_f64_e32 v[84:85], 0, v[54:55]
	v_fmac_f64_e32 v[86:87], v[16:17], v[54:55]
	v_fmac_f64_e32 v[78:79], 0, v[54:55]
	v_fmac_f64_e32 v[74:75], v[10:11], v[54:55]
	v_fmac_f64_e32 v[72:73], 0, v[54:55]
	v_fmac_f64_e32 v[70:71], v[12:13], v[54:55]
	v_fmac_f64_e32 v[68:69], 0, v[54:55]
	v_fmac_f64_e32 v[88:89], 0x80000000, v[56:57]
	v_fmac_f64_e32 v[84:85], v[14:15], v[56:57]
	v_fmac_f64_e32 v[86:87], 0x80000000, v[56:57]
	v_fmac_f64_e32 v[78:79], v[16:17], v[56:57]
	v_fmac_f64_e32 v[74:75], 0x80000000, v[56:57]
	v_fmac_f64_e32 v[72:73], v[10:11], v[56:57]
	v_fmac_f64_e32 v[70:71], 0x80000000, v[56:57]
	v_fmac_f64_e32 v[68:69], v[12:13], v[56:57]
	s_waitcnt vmcnt(3)
	v_fmac_f64_e32 v[88:89], v[34:35], v[62:63]
	v_fmac_f64_e32 v[84:85], 0, v[62:63]
	v_fmac_f64_e32 v[86:87], v[36:37], v[62:63]
	v_fmac_f64_e32 v[78:79], 0, v[62:63]
	v_fmac_f64_e32 v[74:75], v[30:31], v[62:63]
	v_fmac_f64_e32 v[72:73], 0, v[62:63]
	v_fmac_f64_e32 v[70:71], v[32:33], v[62:63]
	v_fmac_f64_e32 v[68:69], 0, v[62:63]
	v_fmac_f64_e32 v[88:89], 0x80000000, v[64:65]
	v_fmac_f64_e32 v[84:85], v[34:35], v[64:65]
	v_fmac_f64_e32 v[86:87], 0x80000000, v[64:65]
	v_fmac_f64_e32 v[78:79], v[36:37], v[64:65]
	v_fmac_f64_e32 v[74:75], 0x80000000, v[64:65]
	v_fmac_f64_e32 v[72:73], v[30:31], v[64:65]
	v_fmac_f64_e32 v[70:71], 0x80000000, v[64:65]
	v_fmac_f64_e32 v[68:69], v[32:33], v[64:65]
	;; [unrolled: 17-line block ×5, first 2 shown]
	s_andn2_b64 exec, exec, s[8:9]
	s_cbranch_execnz .LBB144_31
; %bb.32:
	s_or_b64 exec, exec, s[8:9]
.LBB144_33:
	s_or_b64 exec, exec, s[14:15]
.LBB144_34:
	s_or_b64 exec, exec, s[10:11]
.LBB144_35:
	v_mov_b32_dpp v10, v88 row_shr:1 row_mask:0xf bank_mask:0xf
	v_mov_b32_dpp v11, v89 row_shr:1 row_mask:0xf bank_mask:0xf
	v_mov_b32_dpp v14, v84 row_shr:1 row_mask:0xf bank_mask:0xf
	v_mov_b32_dpp v15, v85 row_shr:1 row_mask:0xf bank_mask:0xf
	v_mov_b32_dpp v18, v86 row_shr:1 row_mask:0xf bank_mask:0xf
	v_mov_b32_dpp v19, v87 row_shr:1 row_mask:0xf bank_mask:0xf
	v_mov_b32_dpp v22, v78 row_shr:1 row_mask:0xf bank_mask:0xf
	v_mov_b32_dpp v23, v79 row_shr:1 row_mask:0xf bank_mask:0xf
	v_mov_b32_dpp v26, v74 row_shr:1 row_mask:0xf bank_mask:0xf
	v_mov_b32_dpp v27, v75 row_shr:1 row_mask:0xf bank_mask:0xf
	v_mov_b32_dpp v30, v72 row_shr:1 row_mask:0xf bank_mask:0xf
	v_mov_b32_dpp v31, v73 row_shr:1 row_mask:0xf bank_mask:0xf
	v_mov_b32_dpp v34, v70 row_shr:1 row_mask:0xf bank_mask:0xf
	v_mov_b32_dpp v35, v71 row_shr:1 row_mask:0xf bank_mask:0xf
	v_mov_b32_dpp v38, v68 row_shr:1 row_mask:0xf bank_mask:0xf
	v_mov_b32_dpp v39, v69 row_shr:1 row_mask:0xf bank_mask:0xf
	v_add_f64 v[10:11], v[88:89], v[10:11]
	v_add_f64 v[14:15], v[84:85], v[14:15]
	v_add_f64 v[18:19], v[86:87], v[18:19]
	v_add_f64 v[22:23], v[78:79], v[22:23]
	v_add_f64 v[26:27], v[74:75], v[26:27]
	v_add_f64 v[30:31], v[72:73], v[30:31]
	v_add_f64 v[34:35], v[70:71], v[34:35]
	v_add_f64 v[38:39], v[68:69], v[38:39]
	v_mov_b32_dpp v12, v10 row_shr:2 row_mask:0xf bank_mask:0xf
	v_mov_b32_dpp v13, v11 row_shr:2 row_mask:0xf bank_mask:0xf
	v_mov_b32_dpp v16, v14 row_shr:2 row_mask:0xf bank_mask:0xf
	v_mov_b32_dpp v17, v15 row_shr:2 row_mask:0xf bank_mask:0xf
	v_mov_b32_dpp v20, v18 row_shr:2 row_mask:0xf bank_mask:0xf
	v_mov_b32_dpp v21, v19 row_shr:2 row_mask:0xf bank_mask:0xf
	v_mov_b32_dpp v24, v22 row_shr:2 row_mask:0xf bank_mask:0xf
	v_mov_b32_dpp v25, v23 row_shr:2 row_mask:0xf bank_mask:0xf
	v_mov_b32_dpp v28, v26 row_shr:2 row_mask:0xf bank_mask:0xf
	v_mov_b32_dpp v29, v27 row_shr:2 row_mask:0xf bank_mask:0xf
	v_mov_b32_dpp v32, v30 row_shr:2 row_mask:0xf bank_mask:0xf
	v_mov_b32_dpp v33, v31 row_shr:2 row_mask:0xf bank_mask:0xf
	v_mov_b32_dpp v36, v34 row_shr:2 row_mask:0xf bank_mask:0xf
	v_mov_b32_dpp v37, v35 row_shr:2 row_mask:0xf bank_mask:0xf
	v_mov_b32_dpp v40, v38 row_shr:2 row_mask:0xf bank_mask:0xf
	v_mov_b32_dpp v41, v39 row_shr:2 row_mask:0xf bank_mask:0xf
	v_add_f64 v[10:11], v[10:11], v[12:13]
	v_add_f64 v[14:15], v[14:15], v[16:17]
	v_add_f64 v[18:19], v[18:19], v[20:21]
	v_add_f64 v[22:23], v[22:23], v[24:25]
	v_add_f64 v[26:27], v[26:27], v[28:29]
	v_add_f64 v[30:31], v[30:31], v[32:33]
	v_add_f64 v[34:35], v[34:35], v[36:37]
	v_add_f64 v[38:39], v[38:39], v[40:41]
	;; [unrolled: 24-line block ×4, first 2 shown]
	v_mov_b32_dpp v12, v10 row_bcast:15 row_mask:0xa bank_mask:0xf
	v_mov_b32_dpp v13, v11 row_bcast:15 row_mask:0xa bank_mask:0xf
	;; [unrolled: 1-line block ×16, first 2 shown]
	v_add_f64 v[10:11], v[10:11], v[12:13]
	v_add_f64 v[14:15], v[14:15], v[16:17]
	;; [unrolled: 1-line block ×8, first 2 shown]
	v_mov_b32_dpp v12, v10 row_bcast:31 row_mask:0xc bank_mask:0xf
	v_mov_b32_dpp v13, v11 row_bcast:31 row_mask:0xc bank_mask:0xf
	v_mov_b32_dpp v16, v14 row_bcast:31 row_mask:0xc bank_mask:0xf
	v_mov_b32_dpp v17, v15 row_bcast:31 row_mask:0xc bank_mask:0xf
	v_mov_b32_dpp v20, v18 row_bcast:31 row_mask:0xc bank_mask:0xf
	v_mov_b32_dpp v21, v19 row_bcast:31 row_mask:0xc bank_mask:0xf
	v_mov_b32_dpp v24, v22 row_bcast:31 row_mask:0xc bank_mask:0xf
	v_mov_b32_dpp v25, v23 row_bcast:31 row_mask:0xc bank_mask:0xf
	v_mov_b32_dpp v28, v26 row_bcast:31 row_mask:0xc bank_mask:0xf
	v_mov_b32_dpp v29, v27 row_bcast:31 row_mask:0xc bank_mask:0xf
	v_mov_b32_dpp v32, v30 row_bcast:31 row_mask:0xc bank_mask:0xf
	v_mov_b32_dpp v33, v31 row_bcast:31 row_mask:0xc bank_mask:0xf
	v_mov_b32_dpp v36, v34 row_bcast:31 row_mask:0xc bank_mask:0xf
	v_mov_b32_dpp v37, v35 row_bcast:31 row_mask:0xc bank_mask:0xf
	v_mov_b32_dpp v40, v38 row_bcast:31 row_mask:0xc bank_mask:0xf
	v_mov_b32_dpp v41, v39 row_bcast:31 row_mask:0xc bank_mask:0xf
	v_cmp_eq_u32_e32 vcc, 63, v0
	s_and_b64 exec, exec, vcc
	s_cbranch_execz .LBB144_8
; %bb.36:
	s_load_dwordx2 s[2:3], s[0:1], 0x60
	v_add_f64 v[0:1], v[10:11], v[12:13]
	v_add_f64 v[10:11], v[14:15], v[16:17]
	;; [unrolled: 1-line block ×8, first 2 shown]
	v_cmp_eq_f64_e32 vcc, 0, v[2:3]
	v_cmp_eq_f64_e64 s[0:1], 0, v[4:5]
	v_mul_f64 v[22:23], v[10:11], -v[8:9]
	v_mul_f64 v[24:25], v[6:7], v[10:11]
	v_mul_f64 v[18:19], v[12:13], -v[8:9]
	v_mul_f64 v[20:21], v[6:7], v[12:13]
	v_mul_f64 v[14:15], v[16:17], -v[8:9]
	v_mul_f64 v[16:17], v[6:7], v[16:17]
	v_mul_f64 v[10:11], v[30:31], -v[8:9]
	v_mul_f64 v[12:13], v[6:7], v[30:31]
	s_and_b64 s[0:1], vcc, s[0:1]
	v_fmac_f64_e32 v[22:23], v[6:7], v[0:1]
	v_fmac_f64_e32 v[24:25], v[8:9], v[0:1]
	v_lshlrev_b32_e32 v0, 2, v66
	v_fmac_f64_e32 v[18:19], v[6:7], v[42:43]
	v_fmac_f64_e32 v[20:21], v[8:9], v[42:43]
	;; [unrolled: 1-line block ×6, first 2 shown]
	s_and_saveexec_b64 s[4:5], s[0:1]
	s_xor_b64 s[0:1], exec, s[4:5]
	s_cbranch_execz .LBB144_38
; %bb.37:
	v_ashrrev_i32_e32 v1, 31, v0
	s_waitcnt lgkmcnt(0)
	v_lshl_add_u64 v[0:1], v[0:1], 4, s[2:3]
	global_store_dwordx4 v[0:1], v[22:25], off
	global_store_dwordx4 v[0:1], v[18:21], off offset:16
	global_store_dwordx4 v[0:1], v[14:17], off offset:32
	global_store_dwordx4 v[0:1], v[10:13], off offset:48
                                        ; implicit-def: $vgpr4_vgpr5
                                        ; implicit-def: $vgpr22_vgpr23
                                        ; implicit-def: $vgpr0
                                        ; implicit-def: $vgpr18_vgpr19
                                        ; implicit-def: $vgpr14_vgpr15
                                        ; implicit-def: $vgpr10_vgpr11
.LBB144_38:
	s_andn2_saveexec_b64 s[0:1], s[0:1]
	s_cbranch_execz .LBB144_8
; %bb.39:
	v_ashrrev_i32_e32 v1, 31, v0
	s_waitcnt lgkmcnt(0)
	v_lshl_add_u64 v[0:1], v[0:1], 4, s[2:3]
	global_load_dwordx4 v[6:9], v[0:1], off
	global_load_dwordx4 v[26:29], v[0:1], off offset:16
	global_load_dwordx4 v[30:33], v[0:1], off offset:32
	;; [unrolled: 1-line block ×3, first 2 shown]
	s_waitcnt vmcnt(3)
	v_fmac_f64_e32 v[22:23], v[2:3], v[6:7]
	v_fmac_f64_e32 v[24:25], v[4:5], v[6:7]
	s_waitcnt vmcnt(2)
	v_fmac_f64_e32 v[18:19], v[2:3], v[26:27]
	v_fmac_f64_e32 v[20:21], v[4:5], v[26:27]
	;; [unrolled: 3-line block ×4, first 2 shown]
	v_fma_f64 v[22:23], -v[4:5], v[8:9], v[22:23]
	v_fmac_f64_e32 v[24:25], v[2:3], v[8:9]
	v_fma_f64 v[18:19], -v[4:5], v[28:29], v[18:19]
	v_fmac_f64_e32 v[20:21], v[2:3], v[28:29]
	;; [unrolled: 2-line block ×4, first 2 shown]
	global_store_dwordx4 v[0:1], v[22:25], off
	global_store_dwordx4 v[0:1], v[18:21], off offset:16
	global_store_dwordx4 v[0:1], v[14:17], off offset:32
	;; [unrolled: 1-line block ×3, first 2 shown]
	s_endpgm
	.section	.rodata,"a",@progbits
	.p2align	6, 0x0
	.amdhsa_kernel _ZN9rocsparseL18bsrxmvn_4x4_kernelILj128ELj64E21rocsparse_complex_numIdElidS2_S2_EEvT3_20rocsparse_direction_NS_24const_host_device_scalarIT1_EES3_PKS3_PKT2_SC_S9_PKT4_PKT5_S7_PT6_21rocsparse_index_base_b
		.amdhsa_group_segment_fixed_size 0
		.amdhsa_private_segment_fixed_size 0
		.amdhsa_kernarg_size 112
		.amdhsa_user_sgpr_count 2
		.amdhsa_user_sgpr_dispatch_ptr 0
		.amdhsa_user_sgpr_queue_ptr 0
		.amdhsa_user_sgpr_kernarg_segment_ptr 1
		.amdhsa_user_sgpr_dispatch_id 0
		.amdhsa_user_sgpr_kernarg_preload_length 0
		.amdhsa_user_sgpr_kernarg_preload_offset 0
		.amdhsa_user_sgpr_private_segment_size 0
		.amdhsa_uses_dynamic_stack 0
		.amdhsa_enable_private_segment 0
		.amdhsa_system_sgpr_workgroup_id_x 1
		.amdhsa_system_sgpr_workgroup_id_y 0
		.amdhsa_system_sgpr_workgroup_id_z 0
		.amdhsa_system_sgpr_workgroup_info 0
		.amdhsa_system_vgpr_workitem_id 0
		.amdhsa_next_free_vgpr 112
		.amdhsa_next_free_sgpr 30
		.amdhsa_accum_offset 112
		.amdhsa_reserve_vcc 1
		.amdhsa_float_round_mode_32 0
		.amdhsa_float_round_mode_16_64 0
		.amdhsa_float_denorm_mode_32 3
		.amdhsa_float_denorm_mode_16_64 3
		.amdhsa_dx10_clamp 1
		.amdhsa_ieee_mode 1
		.amdhsa_fp16_overflow 0
		.amdhsa_tg_split 0
		.amdhsa_exception_fp_ieee_invalid_op 0
		.amdhsa_exception_fp_denorm_src 0
		.amdhsa_exception_fp_ieee_div_zero 0
		.amdhsa_exception_fp_ieee_overflow 0
		.amdhsa_exception_fp_ieee_underflow 0
		.amdhsa_exception_fp_ieee_inexact 0
		.amdhsa_exception_int_div_zero 0
	.end_amdhsa_kernel
	.section	.text._ZN9rocsparseL18bsrxmvn_4x4_kernelILj128ELj64E21rocsparse_complex_numIdElidS2_S2_EEvT3_20rocsparse_direction_NS_24const_host_device_scalarIT1_EES3_PKS3_PKT2_SC_S9_PKT4_PKT5_S7_PT6_21rocsparse_index_base_b,"axG",@progbits,_ZN9rocsparseL18bsrxmvn_4x4_kernelILj128ELj64E21rocsparse_complex_numIdElidS2_S2_EEvT3_20rocsparse_direction_NS_24const_host_device_scalarIT1_EES3_PKS3_PKT2_SC_S9_PKT4_PKT5_S7_PT6_21rocsparse_index_base_b,comdat
.Lfunc_end144:
	.size	_ZN9rocsparseL18bsrxmvn_4x4_kernelILj128ELj64E21rocsparse_complex_numIdElidS2_S2_EEvT3_20rocsparse_direction_NS_24const_host_device_scalarIT1_EES3_PKS3_PKT2_SC_S9_PKT4_PKT5_S7_PT6_21rocsparse_index_base_b, .Lfunc_end144-_ZN9rocsparseL18bsrxmvn_4x4_kernelILj128ELj64E21rocsparse_complex_numIdElidS2_S2_EEvT3_20rocsparse_direction_NS_24const_host_device_scalarIT1_EES3_PKS3_PKT2_SC_S9_PKT4_PKT5_S7_PT6_21rocsparse_index_base_b
                                        ; -- End function
	.set _ZN9rocsparseL18bsrxmvn_4x4_kernelILj128ELj64E21rocsparse_complex_numIdElidS2_S2_EEvT3_20rocsparse_direction_NS_24const_host_device_scalarIT1_EES3_PKS3_PKT2_SC_S9_PKT4_PKT5_S7_PT6_21rocsparse_index_base_b.num_vgpr, 112
	.set _ZN9rocsparseL18bsrxmvn_4x4_kernelILj128ELj64E21rocsparse_complex_numIdElidS2_S2_EEvT3_20rocsparse_direction_NS_24const_host_device_scalarIT1_EES3_PKS3_PKT2_SC_S9_PKT4_PKT5_S7_PT6_21rocsparse_index_base_b.num_agpr, 0
	.set _ZN9rocsparseL18bsrxmvn_4x4_kernelILj128ELj64E21rocsparse_complex_numIdElidS2_S2_EEvT3_20rocsparse_direction_NS_24const_host_device_scalarIT1_EES3_PKS3_PKT2_SC_S9_PKT4_PKT5_S7_PT6_21rocsparse_index_base_b.numbered_sgpr, 30
	.set _ZN9rocsparseL18bsrxmvn_4x4_kernelILj128ELj64E21rocsparse_complex_numIdElidS2_S2_EEvT3_20rocsparse_direction_NS_24const_host_device_scalarIT1_EES3_PKS3_PKT2_SC_S9_PKT4_PKT5_S7_PT6_21rocsparse_index_base_b.num_named_barrier, 0
	.set _ZN9rocsparseL18bsrxmvn_4x4_kernelILj128ELj64E21rocsparse_complex_numIdElidS2_S2_EEvT3_20rocsparse_direction_NS_24const_host_device_scalarIT1_EES3_PKS3_PKT2_SC_S9_PKT4_PKT5_S7_PT6_21rocsparse_index_base_b.private_seg_size, 0
	.set _ZN9rocsparseL18bsrxmvn_4x4_kernelILj128ELj64E21rocsparse_complex_numIdElidS2_S2_EEvT3_20rocsparse_direction_NS_24const_host_device_scalarIT1_EES3_PKS3_PKT2_SC_S9_PKT4_PKT5_S7_PT6_21rocsparse_index_base_b.uses_vcc, 1
	.set _ZN9rocsparseL18bsrxmvn_4x4_kernelILj128ELj64E21rocsparse_complex_numIdElidS2_S2_EEvT3_20rocsparse_direction_NS_24const_host_device_scalarIT1_EES3_PKS3_PKT2_SC_S9_PKT4_PKT5_S7_PT6_21rocsparse_index_base_b.uses_flat_scratch, 0
	.set _ZN9rocsparseL18bsrxmvn_4x4_kernelILj128ELj64E21rocsparse_complex_numIdElidS2_S2_EEvT3_20rocsparse_direction_NS_24const_host_device_scalarIT1_EES3_PKS3_PKT2_SC_S9_PKT4_PKT5_S7_PT6_21rocsparse_index_base_b.has_dyn_sized_stack, 0
	.set _ZN9rocsparseL18bsrxmvn_4x4_kernelILj128ELj64E21rocsparse_complex_numIdElidS2_S2_EEvT3_20rocsparse_direction_NS_24const_host_device_scalarIT1_EES3_PKS3_PKT2_SC_S9_PKT4_PKT5_S7_PT6_21rocsparse_index_base_b.has_recursion, 0
	.set _ZN9rocsparseL18bsrxmvn_4x4_kernelILj128ELj64E21rocsparse_complex_numIdElidS2_S2_EEvT3_20rocsparse_direction_NS_24const_host_device_scalarIT1_EES3_PKS3_PKT2_SC_S9_PKT4_PKT5_S7_PT6_21rocsparse_index_base_b.has_indirect_call, 0
	.section	.AMDGPU.csdata,"",@progbits
; Kernel info:
; codeLenInByte = 7804
; TotalNumSgprs: 36
; NumVgprs: 112
; NumAgprs: 0
; TotalNumVgprs: 112
; ScratchSize: 0
; MemoryBound: 0
; FloatMode: 240
; IeeeMode: 1
; LDSByteSize: 0 bytes/workgroup (compile time only)
; SGPRBlocks: 4
; VGPRBlocks: 13
; NumSGPRsForWavesPerEU: 36
; NumVGPRsForWavesPerEU: 112
; AccumOffset: 112
; Occupancy: 4
; WaveLimiterHint : 1
; COMPUTE_PGM_RSRC2:SCRATCH_EN: 0
; COMPUTE_PGM_RSRC2:USER_SGPR: 2
; COMPUTE_PGM_RSRC2:TRAP_HANDLER: 0
; COMPUTE_PGM_RSRC2:TGID_X_EN: 1
; COMPUTE_PGM_RSRC2:TGID_Y_EN: 0
; COMPUTE_PGM_RSRC2:TGID_Z_EN: 0
; COMPUTE_PGM_RSRC2:TIDIG_COMP_CNT: 0
; COMPUTE_PGM_RSRC3_GFX90A:ACCUM_OFFSET: 27
; COMPUTE_PGM_RSRC3_GFX90A:TG_SPLIT: 0
	.section	.text._ZN9rocsparseL18bsrxmvn_4x4_kernelILj128ELj4E21rocsparse_complex_numIdElldS2_S2_EEvT3_20rocsparse_direction_NS_24const_host_device_scalarIT1_EES3_PKS3_PKT2_SC_S9_PKT4_PKT5_S7_PT6_21rocsparse_index_base_b,"axG",@progbits,_ZN9rocsparseL18bsrxmvn_4x4_kernelILj128ELj4E21rocsparse_complex_numIdElldS2_S2_EEvT3_20rocsparse_direction_NS_24const_host_device_scalarIT1_EES3_PKS3_PKT2_SC_S9_PKT4_PKT5_S7_PT6_21rocsparse_index_base_b,comdat
	.globl	_ZN9rocsparseL18bsrxmvn_4x4_kernelILj128ELj4E21rocsparse_complex_numIdElldS2_S2_EEvT3_20rocsparse_direction_NS_24const_host_device_scalarIT1_EES3_PKS3_PKT2_SC_S9_PKT4_PKT5_S7_PT6_21rocsparse_index_base_b ; -- Begin function _ZN9rocsparseL18bsrxmvn_4x4_kernelILj128ELj4E21rocsparse_complex_numIdElldS2_S2_EEvT3_20rocsparse_direction_NS_24const_host_device_scalarIT1_EES3_PKS3_PKT2_SC_S9_PKT4_PKT5_S7_PT6_21rocsparse_index_base_b
	.p2align	8
	.type	_ZN9rocsparseL18bsrxmvn_4x4_kernelILj128ELj4E21rocsparse_complex_numIdElldS2_S2_EEvT3_20rocsparse_direction_NS_24const_host_device_scalarIT1_EES3_PKS3_PKT2_SC_S9_PKT4_PKT5_S7_PT6_21rocsparse_index_base_b,@function
_ZN9rocsparseL18bsrxmvn_4x4_kernelILj128ELj4E21rocsparse_complex_numIdElldS2_S2_EEvT3_20rocsparse_direction_NS_24const_host_device_scalarIT1_EES3_PKS3_PKT2_SC_S9_PKT4_PKT5_S7_PT6_21rocsparse_index_base_b: ; @_ZN9rocsparseL18bsrxmvn_4x4_kernelILj128ELj4E21rocsparse_complex_numIdElldS2_S2_EEvT3_20rocsparse_direction_NS_24const_host_device_scalarIT1_EES3_PKS3_PKT2_SC_S9_PKT4_PKT5_S7_PT6_21rocsparse_index_base_b
; %bb.0:
	s_load_dwordx2 s[4:5], s[0:1], 0x10
	s_load_dwordx2 s[6:7], s[0:1], 0x70
	s_add_u32 s3, s0, 16
	s_addc_u32 s10, s1, 0
	s_add_u32 s11, s0, 0x58
	s_load_dwordx2 s[8:9], s[0:1], 0x58
	s_addc_u32 s12, s1, 0
	s_waitcnt lgkmcnt(0)
	s_bitcmp1_b32 s7, 0
	s_cselect_b32 s5, s10, s5
	s_cselect_b32 s3, s3, s4
	v_mov_b32_e32 v2, s3
	v_mov_b32_e32 v3, s5
	flat_load_dwordx4 v[6:9], v[2:3]
	s_cselect_b32 s3, s12, s9
	s_cselect_b32 s4, s11, s8
	v_mov_b32_e32 v2, s4
	v_mov_b32_e32 v3, s3
	flat_load_dwordx4 v[2:5], v[2:3]
	s_waitcnt vmcnt(0) lgkmcnt(0)
	v_cmp_eq_f64_e32 vcc, 0, v[6:7]
	v_cmp_eq_f64_e64 s[4:5], 0, v[8:9]
	s_and_b64 s[10:11], vcc, s[4:5]
	s_mov_b64 s[4:5], -1
	s_and_saveexec_b64 s[8:9], s[10:11]
; %bb.1:
	v_cmp_neq_f64_e32 vcc, 1.0, v[2:3]
	v_cmp_neq_f64_e64 s[4:5], 0, v[4:5]
	s_or_b64 s[4:5], vcc, s[4:5]
	s_orn2_b64 s[4:5], s[4:5], exec
; %bb.2:
	s_or_b64 exec, exec, s[8:9]
	s_and_saveexec_b64 s[8:9], s[4:5]
	s_cbranch_execz .LBB145_8
; %bb.3:
	s_load_dwordx2 s[4:5], s[0:1], 0x28
	v_lshrrev_b32_e32 v1, 2, v0
	v_lshl_or_b32 v10, s2, 5, v1
	v_mov_b32_e32 v11, 0
	s_mov_b64 s[2:3], 0
	s_waitcnt lgkmcnt(0)
	s_cmp_lg_u64 s[4:5], 0
	s_cbranch_scc0 .LBB145_9
; %bb.4:
	s_load_dwordx2 s[8:9], s[0:1], 0x20
                                        ; implicit-def: $vgpr70_vgpr71
                                        ; implicit-def: $vgpr72_vgpr73
	s_waitcnt lgkmcnt(0)
	v_cmp_gt_i64_e32 vcc, s[8:9], v[10:11]
	s_and_saveexec_b64 s[8:9], vcc
	s_xor_b64 s[8:9], exec, s[8:9]
	s_cbranch_execz .LBB145_6
; %bb.5:
	v_lshl_add_u64 v[12:13], v[10:11], 3, s[4:5]
	global_load_dwordx2 v[12:13], v[12:13], off
	s_mov_b32 s7, 0
	s_mov_b64 s[2:3], exec
	v_mov_b64_e32 v[72:73], s[6:7]
	s_waitcnt vmcnt(0)
	v_subrev_co_u32_e32 v70, vcc, s6, v12
	s_nop 1
	v_subbrev_co_u32_e32 v71, vcc, 0, v13, vcc
.LBB145_6:
	s_or_b64 exec, exec, s[8:9]
.LBB145_7:
	s_and_b64 exec, exec, s[2:3]
	s_cbranch_execnz .LBB145_13
.LBB145_8:
	s_endpgm
.LBB145_9:
                                        ; implicit-def: $vgpr70_vgpr71
                                        ; implicit-def: $vgpr72_vgpr73
	s_cbranch_execz .LBB145_7
; %bb.10:
	s_load_dwordx2 s[4:5], s[0:1], 0x0
	s_waitcnt lgkmcnt(0)
	v_cmp_gt_i64_e32 vcc, s[4:5], v[10:11]
	s_and_saveexec_b64 s[4:5], vcc
; %bb.11:
	s_mov_b32 s7, 0
	s_or_b64 s[2:3], s[2:3], exec
; %bb.12:
	s_or_b64 exec, exec, s[4:5]
	v_mov_b64_e32 v[72:73], s[6:7]
	v_mov_b64_e32 v[70:71], v[10:11]
	s_and_b64 exec, exec, s[2:3]
	s_cbranch_execz .LBB145_8
.LBB145_13:
	s_load_dwordx8 s[4:11], s[0:1], 0x30
	v_lshlrev_b64 v[10:11], 3, v[70:71]
	v_and_b32_e32 v0, 3, v0
	v_mov_b32_e32 v1, 0
	s_waitcnt lgkmcnt(0)
	v_lshl_add_u64 v[12:13], s[4:5], 0, v[10:11]
	s_cmp_eq_u64 s[6:7], 0
	v_lshl_add_u64 v[10:11], s[6:7], 0, v[10:11]
	global_load_dwordx2 v[26:27], v[12:13], off
	v_lshl_add_u64 v[12:13], v[12:13], 0, 8
	s_cselect_b64 vcc, -1, 0
	v_cndmask_b32_e32 v11, v11, v13, vcc
	v_cndmask_b32_e32 v10, v10, v12, vcc
	global_load_dwordx2 v[10:11], v[10:11], off
	s_load_dword s2, s[0:1], 0x8
	s_load_dwordx2 s[4:5], s[0:1], 0x50
	s_waitcnt lgkmcnt(0)
	s_cmp_eq_u32 s2, 1
	s_waitcnt vmcnt(1)
	v_sub_co_u32_e32 v12, vcc, v26, v72
	s_nop 1
	v_subb_co_u32_e32 v13, vcc, v27, v73, vcc
	v_lshl_add_u64 v[74:75], v[12:13], 0, v[0:1]
	s_waitcnt vmcnt(0)
	v_sub_co_u32_e32 v76, vcc, v10, v72
	s_nop 1
	v_subb_co_u32_e32 v77, vcc, v11, v73, vcc
	v_lshlrev_b64 v[10:11], 7, v[74:75]
	v_lshl_add_u64 v[78:79], s[10:11], 0, v[10:11]
	v_cmp_lt_i64_e64 s[2:3], v[74:75], v[76:77]
	s_cbranch_scc1 .LBB145_25
; %bb.14:
	v_mov_b64_e32 v[84:85], 0
	v_mov_b64_e32 v[94:95], 0
	v_mov_b64_e32 v[88:89], 0
	v_mov_b64_e32 v[92:93], 0
	v_mov_b64_e32 v[86:87], 0
	v_mov_b64_e32 v[90:91], 0
	v_mov_b64_e32 v[82:83], 0
	v_mov_b64_e32 v[80:81], 0
	s_and_saveexec_b64 s[6:7], s[2:3]
	s_cbranch_execz .LBB145_24
; %bb.15:
	v_or_b32_e32 v1, 4, v0
	v_sub_co_u32_e32 v10, vcc, v1, v72
	v_not_b32_e32 v13, v27
	s_nop 0
	v_subb_co_u32_e32 v11, vcc, 0, v73, vcc
	v_lshl_add_u64 v[10:11], v[10:11], 0, v[26:27]
	v_cmp_gt_i64_e32 vcc, v[10:11], v[76:77]
	v_not_b32_e32 v12, v26
	v_mov_b64_e32 v[80:81], 0
	v_cndmask_b32_e32 v11, v77, v11, vcc
	v_cndmask_b32_e32 v10, v76, v10, vcc
	v_sub_co_u32_e32 v14, vcc, v72, v0
	v_mov_b64_e32 v[82:83], 0
	s_nop 0
	v_subbrev_co_u32_e32 v15, vcc, 0, v73, vcc
	v_lshl_add_u64 v[12:13], v[14:15], 0, v[12:13]
	v_lshl_add_u64 v[22:23], v[12:13], 0, v[10:11]
	v_and_b32_e32 v10, 12, v22
	v_mov_b32_e32 v11, 0
	v_cmp_ne_u64_e32 vcc, 12, v[10:11]
	v_mov_b64_e32 v[90:91], 0
	v_mov_b64_e32 v[86:87], 0
	;; [unrolled: 1-line block ×8, first 2 shown]
	s_and_saveexec_b64 s[10:11], vcc
	s_cbranch_execz .LBB145_19
; %bb.16:
	v_lshrrev_b32_e32 v1, 2, v22
	v_add_u32_e32 v1, 1, v1
	v_and_b32_e32 v1, 3, v1
	v_sub_co_u32_e32 v32, vcc, 0, v1
	v_lshl_add_u64 v[24:25], v[74:75], 3, s[8:9]
	s_nop 0
	v_subb_co_u32_e64 v33, s[14:15], 0, 0, vcc
	s_mov_b64 s[12:13], 0
	v_mov_b64_e32 v[84:85], 0
	s_mov_b64 s[14:15], 0x200
	v_mov_b64_e32 v[30:31], v[74:75]
	v_mov_b64_e32 v[28:29], v[78:79]
	;; [unrolled: 1-line block ×9, first 2 shown]
.LBB145_17:                             ; =>This Inner Loop Header: Depth=1
	global_load_dwordx2 v[54:55], v[24:25], off
	global_load_dwordx4 v[10:13], v[28:29], off offset:48
	global_load_dwordx4 v[18:21], v[28:29], off offset:32
	global_load_dwordx4 v[14:17], v[28:29], off offset:16
	global_load_dwordx4 v[34:37], v[28:29], off
	global_load_dwordx4 v[38:41], v[28:29], off offset:112
	global_load_dwordx4 v[42:45], v[28:29], off offset:96
	;; [unrolled: 1-line block ×4, first 2 shown]
	v_lshl_add_u64 v[32:33], v[32:33], 0, 1
	v_lshl_add_u64 v[28:29], v[28:29], 0, s[14:15]
	;; [unrolled: 1-line block ×4, first 2 shown]
	s_waitcnt vmcnt(8)
	v_sub_co_u32_e32 v54, vcc, v54, v72
	s_nop 1
	v_subb_co_u32_e32 v55, vcc, v55, v73, vcc
	v_lshlrev_b64 v[54:55], 6, v[54:55]
	v_lshl_add_u64 v[96:97], s[4:5], 0, v[54:55]
	global_load_dwordx4 v[54:57], v[96:97], off
	global_load_dwordx4 v[58:61], v[96:97], off offset:16
	global_load_dwordx4 v[62:65], v[96:97], off offset:32
	;; [unrolled: 1-line block ×3, first 2 shown]
	v_cmp_eq_u64_e32 vcc, 0, v[32:33]
	s_or_b64 s[12:13], vcc, s[12:13]
	s_waitcnt vmcnt(3)
	v_fmac_f64_e32 v[94:95], v[34:35], v[54:55]
	v_fmac_f64_e32 v[84:85], 0, v[54:55]
	v_fmac_f64_e32 v[92:93], v[18:19], v[54:55]
	v_fmac_f64_e32 v[88:89], 0, v[54:55]
	v_fmac_f64_e32 v[90:91], v[46:47], v[54:55]
	v_fmac_f64_e32 v[86:87], 0, v[54:55]
	v_fmac_f64_e32 v[80:81], v[42:43], v[54:55]
	v_fmac_f64_e32 v[82:83], 0, v[54:55]
	v_fmac_f64_e32 v[94:95], 0x80000000, v[56:57]
	v_fmac_f64_e32 v[84:85], v[34:35], v[56:57]
	v_fmac_f64_e32 v[92:93], 0x80000000, v[56:57]
	v_fmac_f64_e32 v[88:89], v[18:19], v[56:57]
	v_fmac_f64_e32 v[90:91], 0x80000000, v[56:57]
	v_fmac_f64_e32 v[86:87], v[46:47], v[56:57]
	v_fmac_f64_e32 v[80:81], 0x80000000, v[56:57]
	v_fmac_f64_e32 v[82:83], v[42:43], v[56:57]
	s_waitcnt vmcnt(2)
	v_fmac_f64_e32 v[94:95], v[36:37], v[58:59]
	v_fmac_f64_e32 v[84:85], 0, v[58:59]
	v_fmac_f64_e32 v[92:93], v[20:21], v[58:59]
	v_fmac_f64_e32 v[88:89], 0, v[58:59]
	v_fmac_f64_e32 v[90:91], v[48:49], v[58:59]
	v_fmac_f64_e32 v[86:87], 0, v[58:59]
	v_fmac_f64_e32 v[80:81], v[44:45], v[58:59]
	v_fmac_f64_e32 v[82:83], 0, v[58:59]
	v_fmac_f64_e32 v[84:85], v[36:37], v[60:61]
	v_fmac_f64_e32 v[88:89], v[20:21], v[60:61]
	v_fmac_f64_e32 v[86:87], v[48:49], v[60:61]
	v_fmac_f64_e32 v[94:95], 0x80000000, v[60:61]
	v_fmac_f64_e32 v[92:93], 0x80000000, v[60:61]
	v_fmac_f64_e32 v[90:91], 0x80000000, v[60:61]
	v_fmac_f64_e32 v[80:81], 0x80000000, v[60:61]
	v_fmac_f64_e32 v[82:83], v[44:45], v[60:61]
	;; [unrolled: 17-line block ×4, first 2 shown]
	s_andn2_b64 exec, exec, s[12:13]
	s_cbranch_execnz .LBB145_17
; %bb.18:
	s_or_b64 exec, exec, s[12:13]
.LBB145_19:
	s_or_b64 exec, exec, s[10:11]
	v_cmp_lt_u64_e32 vcc, 11, v[22:23]
	s_and_saveexec_b64 s[10:11], vcc
	s_cbranch_execz .LBB145_23
; %bb.20:
	v_lshl_add_u64 v[10:11], v[30:31], 3, s[8:9]
	v_lshl_add_u64 v[32:33], v[10:11], 0, 64
	s_mov_b64 s[12:13], 0
	s_mov_b64 s[14:15], 0x800
	;; [unrolled: 1-line block ×3, first 2 shown]
.LBB145_21:                             ; =>This Inner Loop Header: Depth=1
	global_load_dwordx2 v[10:11], v[32:33], off offset:-64
	v_lshl_add_u64 v[30:31], v[30:31], 0, 16
	s_waitcnt vmcnt(0)
	v_sub_co_u32_e32 v34, vcc, v10, v72
	s_nop 1
	v_subb_co_u32_e32 v35, vcc, v11, v73, vcc
	v_lshlrev_b64 v[34:35], 6, v[34:35]
	v_lshl_add_u64 v[50:51], s[4:5], 0, v[34:35]
	global_load_dwordx4 v[10:13], v[28:29], off offset:48
	global_load_dwordx4 v[14:17], v[28:29], off offset:32
	;; [unrolled: 1-line block ×3, first 2 shown]
	global_load_dwordx4 v[22:25], v[28:29], off
	global_load_dwordx4 v[34:37], v[50:51], off offset:48
	global_load_dwordx4 v[38:41], v[50:51], off offset:32
	;; [unrolled: 1-line block ×3, first 2 shown]
	global_load_dwordx4 v[46:49], v[50:51], off
	s_waitcnt vmcnt(0)
	v_fmac_f64_e32 v[84:85], 0, v[46:47]
	v_fmac_f64_e32 v[88:89], 0, v[46:47]
	;; [unrolled: 1-line block ×30, first 2 shown]
	global_load_dwordx4 v[10:13], v[28:29], off offset:112
	global_load_dwordx4 v[14:17], v[28:29], off offset:96
	;; [unrolled: 1-line block ×4, first 2 shown]
	v_fmac_f64_e32 v[82:83], 0, v[46:47]
	v_fmac_f64_e32 v[86:87], 0, v[46:47]
	v_fmac_f64_e32 v[94:95], 0x80000000, v[36:37]
	v_fmac_f64_e32 v[92:93], 0x80000000, v[36:37]
	s_waitcnt vmcnt(2)
	v_fmac_f64_e32 v[80:81], v[14:15], v[46:47]
	v_fmac_f64_e32 v[82:83], v[14:15], v[48:49]
	;; [unrolled: 1-line block ×10, first 2 shown]
	global_load_dwordx2 v[10:11], v[32:33], off offset:-32
	s_waitcnt vmcnt(1)
	v_fmac_f64_e32 v[90:91], v[22:23], v[46:47]
	v_fmac_f64_e32 v[90:91], 0x80000000, v[48:49]
	;; [unrolled: 1-line block ×20, first 2 shown]
	s_waitcnt vmcnt(0)
	v_sub_co_u32_e32 v34, vcc, v10, v72
	s_nop 1
	v_subb_co_u32_e32 v35, vcc, v11, v73, vcc
	v_lshlrev_b64 v[34:35], 6, v[34:35]
	v_lshl_add_u64 v[50:51], s[4:5], 0, v[34:35]
	global_load_dwordx4 v[10:13], v[28:29], off offset:560
	global_load_dwordx4 v[14:17], v[28:29], off offset:544
	;; [unrolled: 1-line block ×7, first 2 shown]
	global_load_dwordx4 v[46:49], v[50:51], off
	s_waitcnt vmcnt(0)
	v_fmac_f64_e32 v[84:85], 0, v[46:47]
	v_fmac_f64_e32 v[88:89], 0, v[46:47]
	;; [unrolled: 1-line block ×30, first 2 shown]
	global_load_dwordx4 v[10:13], v[28:29], off offset:624
	global_load_dwordx4 v[14:17], v[28:29], off offset:608
	;; [unrolled: 1-line block ×4, first 2 shown]
	v_fmac_f64_e32 v[82:83], 0, v[46:47]
	v_fmac_f64_e32 v[86:87], 0, v[46:47]
	;; [unrolled: 1-line block ×4, first 2 shown]
	s_waitcnt vmcnt(2)
	v_fmac_f64_e32 v[80:81], v[14:15], v[46:47]
	v_fmac_f64_e32 v[82:83], v[14:15], v[48:49]
	;; [unrolled: 1-line block ×10, first 2 shown]
	global_load_dwordx2 v[10:11], v[32:33], off
	s_waitcnt vmcnt(1)
	v_fmac_f64_e32 v[90:91], v[22:23], v[46:47]
	v_fmac_f64_e32 v[90:91], 0x80000000, v[48:49]
	v_fmac_f64_e32 v[86:87], v[22:23], v[48:49]
	v_fmac_f64_e32 v[90:91], v[24:25], v[42:43]
	v_fmac_f64_e32 v[86:87], 0, v[42:43]
	v_fmac_f64_e32 v[90:91], 0x80000000, v[44:45]
	v_fmac_f64_e32 v[86:87], v[24:25], v[44:45]
	v_fmac_f64_e32 v[90:91], v[18:19], v[38:39]
	v_fmac_f64_e32 v[86:87], 0, v[38:39]
	v_fmac_f64_e32 v[90:91], 0x80000000, v[40:41]
	v_fmac_f64_e32 v[86:87], v[18:19], v[40:41]
	v_fmac_f64_e32 v[80:81], 0x80000000, v[40:41]
	v_fmac_f64_e32 v[90:91], v[20:21], v[34:35]
	v_fmac_f64_e32 v[86:87], 0, v[34:35]
	v_fmac_f64_e32 v[80:81], v[12:13], v[34:35]
	v_fmac_f64_e32 v[82:83], 0, v[34:35]
	v_fmac_f64_e32 v[90:91], 0x80000000, v[36:37]
	v_fmac_f64_e32 v[86:87], v[20:21], v[36:37]
	v_fmac_f64_e32 v[80:81], 0x80000000, v[36:37]
	v_fmac_f64_e32 v[82:83], v[12:13], v[36:37]
	s_waitcnt vmcnt(0)
	v_sub_co_u32_e32 v34, vcc, v10, v72
	s_nop 1
	v_subb_co_u32_e32 v35, vcc, v11, v73, vcc
	v_lshlrev_b64 v[34:35], 6, v[34:35]
	v_lshl_add_u64 v[50:51], s[4:5], 0, v[34:35]
	global_load_dwordx4 v[10:13], v[28:29], off offset:1072
	global_load_dwordx4 v[14:17], v[28:29], off offset:1056
	;; [unrolled: 1-line block ×7, first 2 shown]
	global_load_dwordx4 v[46:49], v[50:51], off
	s_waitcnt vmcnt(0)
	v_fmac_f64_e32 v[84:85], 0, v[46:47]
	v_fmac_f64_e32 v[88:89], 0, v[46:47]
	;; [unrolled: 1-line block ×30, first 2 shown]
	global_load_dwordx4 v[10:13], v[28:29], off offset:1136
	global_load_dwordx4 v[14:17], v[28:29], off offset:1120
	global_load_dwordx4 v[18:21], v[28:29], off offset:1104
	global_load_dwordx4 v[22:25], v[28:29], off offset:1088
	v_fmac_f64_e32 v[82:83], 0, v[46:47]
	v_fmac_f64_e32 v[86:87], 0, v[46:47]
	;; [unrolled: 1-line block ×4, first 2 shown]
	s_waitcnt vmcnt(2)
	v_fmac_f64_e32 v[80:81], v[14:15], v[46:47]
	v_fmac_f64_e32 v[82:83], v[14:15], v[48:49]
	;; [unrolled: 1-line block ×10, first 2 shown]
	global_load_dwordx2 v[10:11], v[32:33], off offset:32
	s_waitcnt vmcnt(1)
	v_fmac_f64_e32 v[90:91], v[22:23], v[46:47]
	v_fmac_f64_e32 v[90:91], 0x80000000, v[48:49]
	;; [unrolled: 1-line block ×20, first 2 shown]
	global_load_dwordx4 v[34:37], v[28:29], off offset:1584
	global_load_dwordx4 v[38:41], v[28:29], off offset:1568
	global_load_dwordx4 v[42:45], v[28:29], off offset:1552
	global_load_dwordx4 v[46:49], v[28:29], off offset:1536
	v_lshl_add_u64 v[32:33], v[32:33], 0, s[16:17]
	s_waitcnt vmcnt(4)
	v_sub_co_u32_e32 v10, vcc, v10, v72
	s_nop 1
	v_subb_co_u32_e32 v11, vcc, v11, v73, vcc
	v_lshlrev_b64 v[10:11], 6, v[10:11]
	v_lshl_add_u64 v[50:51], s[4:5], 0, v[10:11]
	global_load_dwordx4 v[10:13], v[50:51], off offset:48
	global_load_dwordx4 v[14:17], v[50:51], off offset:32
	;; [unrolled: 1-line block ×3, first 2 shown]
	global_load_dwordx4 v[22:25], v[50:51], off
	v_cmp_ge_i64_e32 vcc, v[30:31], v[76:77]
	s_or_b64 s[12:13], vcc, s[12:13]
	s_waitcnt vmcnt(0)
	v_fmac_f64_e32 v[84:85], 0, v[22:23]
	v_fmac_f64_e32 v[88:89], 0, v[22:23]
	;; [unrolled: 1-line block ×30, first 2 shown]
	global_load_dwordx4 v[34:37], v[28:29], off offset:1648
	global_load_dwordx4 v[38:41], v[28:29], off offset:1632
	;; [unrolled: 1-line block ×4, first 2 shown]
	v_fmac_f64_e32 v[86:87], 0, v[22:23]
	v_fmac_f64_e32 v[82:83], 0, v[22:23]
	;; [unrolled: 1-line block ×4, first 2 shown]
	v_lshl_add_u64 v[28:29], v[28:29], 0, s[14:15]
	s_waitcnt vmcnt(2)
	v_fmac_f64_e32 v[80:81], v[38:39], v[22:23]
	v_fmac_f64_e32 v[80:81], 0x80000000, v[24:25]
	s_waitcnt vmcnt(0)
	v_fmac_f64_e32 v[90:91], v[46:47], v[22:23]
	v_fmac_f64_e32 v[90:91], 0x80000000, v[24:25]
	;; [unrolled: 1-line block ×28, first 2 shown]
	s_andn2_b64 exec, exec, s[12:13]
	s_cbranch_execnz .LBB145_21
; %bb.22:
	s_or_b64 exec, exec, s[12:13]
.LBB145_23:
	s_or_b64 exec, exec, s[10:11]
.LBB145_24:
	s_or_b64 exec, exec, s[6:7]
	s_cbranch_execz .LBB145_26
	s_branch .LBB145_37
.LBB145_25:
                                        ; implicit-def: $vgpr84_vgpr85
                                        ; implicit-def: $vgpr94_vgpr95
                                        ; implicit-def: $vgpr88_vgpr89
                                        ; implicit-def: $vgpr92_vgpr93
                                        ; implicit-def: $vgpr86_vgpr87
                                        ; implicit-def: $vgpr90_vgpr91
                                        ; implicit-def: $vgpr82_vgpr83
                                        ; implicit-def: $vgpr80_vgpr81
.LBB145_26:
	v_mov_b64_e32 v[84:85], 0
	v_mov_b64_e32 v[94:95], 0
	;; [unrolled: 1-line block ×8, first 2 shown]
	s_and_saveexec_b64 s[6:7], s[2:3]
	s_cbranch_execz .LBB145_36
; %bb.27:
	v_or_b32_e32 v1, 4, v0
	v_sub_co_u32_e32 v10, vcc, v1, v72
	v_not_b32_e32 v13, v27
	s_nop 0
	v_subb_co_u32_e32 v11, vcc, 0, v73, vcc
	v_lshl_add_u64 v[10:11], v[10:11], 0, v[26:27]
	v_cmp_gt_i64_e32 vcc, v[10:11], v[76:77]
	v_not_b32_e32 v12, v26
	v_mov_b64_e32 v[80:81], 0
	v_cndmask_b32_e32 v11, v77, v11, vcc
	v_cndmask_b32_e32 v10, v76, v10, vcc
	v_sub_co_u32_e32 v14, vcc, v72, v0
	v_mov_b64_e32 v[82:83], 0
	s_nop 0
	v_subbrev_co_u32_e32 v15, vcc, 0, v73, vcc
	v_lshl_add_u64 v[12:13], v[14:15], 0, v[12:13]
	v_lshl_add_u64 v[10:11], v[12:13], 0, v[10:11]
	v_and_b32_e32 v12, 12, v10
	v_mov_b32_e32 v13, 0
	v_cmp_ne_u64_e32 vcc, 12, v[12:13]
	v_mov_b64_e32 v[90:91], 0
	v_mov_b64_e32 v[86:87], 0
	;; [unrolled: 1-line block ×6, first 2 shown]
	s_and_saveexec_b64 s[2:3], vcc
	s_cbranch_execz .LBB145_31
; %bb.28:
	v_lshrrev_b32_e32 v1, 2, v10
	v_add_u32_e32 v1, 1, v1
	v_and_b32_e32 v1, 3, v1
	v_sub_co_u32_e32 v14, vcc, 0, v1
	v_lshl_add_u64 v[12:13], v[74:75], 3, s[8:9]
	s_nop 0
	v_subb_co_u32_e64 v15, s[12:13], 0, 0, vcc
	s_mov_b64 s[10:11], 0
	v_mov_b64_e32 v[84:85], 0
	s_mov_b64 s[12:13], 0x200
	v_mov_b64_e32 v[94:95], 0
	v_mov_b64_e32 v[88:89], 0
	;; [unrolled: 1-line block ×7, first 2 shown]
.LBB145_29:                             ; =>This Inner Loop Header: Depth=1
	global_load_dwordx2 v[44:45], v[12:13], off
	global_load_dwordx4 v[16:19], v[78:79], off offset:48
	global_load_dwordx4 v[20:23], v[78:79], off offset:32
	;; [unrolled: 1-line block ×3, first 2 shown]
	global_load_dwordx4 v[28:31], v[78:79], off
	global_load_dwordx4 v[32:35], v[78:79], off offset:96
	global_load_dwordx4 v[36:39], v[78:79], off offset:80
	;; [unrolled: 1-line block ×3, first 2 shown]
	v_lshl_add_u64 v[14:15], v[14:15], 0, 1
	v_lshl_add_u64 v[74:75], v[74:75], 0, 4
	;; [unrolled: 1-line block ×3, first 2 shown]
	s_waitcnt vmcnt(7)
	v_sub_co_u32_e32 v44, vcc, v44, v72
	s_nop 1
	v_subb_co_u32_e32 v45, vcc, v45, v73, vcc
	v_lshlrev_b64 v[44:45], 6, v[44:45]
	v_lshl_add_u64 v[64:65], s[4:5], 0, v[44:45]
	global_load_dwordx4 v[44:47], v[64:65], off
	global_load_dwordx4 v[48:51], v[64:65], off offset:16
	global_load_dwordx4 v[52:55], v[64:65], off offset:32
	;; [unrolled: 1-line block ×4, first 2 shown]
	v_cmp_eq_u64_e32 vcc, 0, v[14:15]
	v_lshl_add_u64 v[78:79], v[78:79], 0, s[12:13]
	s_or_b64 s[10:11], vcc, s[10:11]
	s_waitcnt vmcnt(4)
	v_fmac_f64_e32 v[94:95], v[28:29], v[44:45]
	v_fmac_f64_e32 v[84:85], 0, v[44:45]
	v_fmac_f64_e32 v[92:93], v[30:31], v[44:45]
	v_fmac_f64_e32 v[88:89], 0, v[44:45]
	v_fmac_f64_e32 v[90:91], v[24:25], v[44:45]
	v_fmac_f64_e32 v[86:87], 0, v[44:45]
	v_fmac_f64_e32 v[80:81], v[26:27], v[44:45]
	v_fmac_f64_e32 v[82:83], 0, v[44:45]
	v_fmac_f64_e32 v[94:95], 0x80000000, v[46:47]
	v_fmac_f64_e32 v[84:85], v[28:29], v[46:47]
	v_fmac_f64_e32 v[92:93], 0x80000000, v[46:47]
	v_fmac_f64_e32 v[88:89], v[30:31], v[46:47]
	v_fmac_f64_e32 v[90:91], 0x80000000, v[46:47]
	v_fmac_f64_e32 v[86:87], v[24:25], v[46:47]
	v_fmac_f64_e32 v[80:81], 0x80000000, v[46:47]
	v_fmac_f64_e32 v[82:83], v[26:27], v[46:47]
	s_waitcnt vmcnt(3)
	v_fmac_f64_e32 v[94:95], v[20:21], v[48:49]
	v_fmac_f64_e32 v[84:85], 0, v[48:49]
	v_fmac_f64_e32 v[92:93], v[22:23], v[48:49]
	v_fmac_f64_e32 v[88:89], 0, v[48:49]
	v_fmac_f64_e32 v[90:91], v[16:17], v[48:49]
	v_fmac_f64_e32 v[86:87], 0, v[48:49]
	v_fmac_f64_e32 v[80:81], v[18:19], v[48:49]
	v_fmac_f64_e32 v[82:83], 0, v[48:49]
	v_fmac_f64_e32 v[94:95], 0x80000000, v[50:51]
	v_fmac_f64_e32 v[84:85], v[20:21], v[50:51]
	v_fmac_f64_e32 v[92:93], 0x80000000, v[50:51]
	v_fmac_f64_e32 v[88:89], v[22:23], v[50:51]
	v_fmac_f64_e32 v[90:91], 0x80000000, v[50:51]
	v_fmac_f64_e32 v[86:87], v[16:17], v[50:51]
	v_fmac_f64_e32 v[80:81], 0x80000000, v[50:51]
	v_fmac_f64_e32 v[82:83], v[18:19], v[50:51]
	;; [unrolled: 17-line block ×3, first 2 shown]
	s_waitcnt vmcnt(1)
	v_fmac_f64_e32 v[94:95], v[32:33], v[56:57]
	v_fmac_f64_e32 v[84:85], 0, v[56:57]
	;; [unrolled: 1-line block ×4, first 2 shown]
	s_waitcnt vmcnt(0)
	v_fmac_f64_e32 v[90:91], v[60:61], v[56:57]
	v_fmac_f64_e32 v[86:87], 0, v[56:57]
	;; [unrolled: 1-line block ×12, first 2 shown]
	s_andn2_b64 exec, exec, s[10:11]
	s_cbranch_execnz .LBB145_29
; %bb.30:
	s_or_b64 exec, exec, s[10:11]
.LBB145_31:
	s_or_b64 exec, exec, s[2:3]
	v_cmp_lt_u64_e32 vcc, 11, v[10:11]
	s_and_saveexec_b64 s[2:3], vcc
	s_cbranch_execz .LBB145_35
; %bb.32:
	v_lshl_add_u64 v[10:11], v[74:75], 3, s[8:9]
	v_lshl_add_u64 v[96:97], v[10:11], 0, 64
	s_mov_b64 s[8:9], 0
	s_mov_b64 s[10:11], 0x800
	;; [unrolled: 1-line block ×3, first 2 shown]
.LBB145_33:                             ; =>This Inner Loop Header: Depth=1
	global_load_dwordx2 v[58:59], v[96:97], off offset:-64
	global_load_dwordx4 v[10:13], v[78:79], off offset:48
	global_load_dwordx4 v[22:25], v[78:79], off offset:32
	;; [unrolled: 1-line block ×3, first 2 shown]
	global_load_dwordx4 v[62:65], v[78:79], off
	global_load_dwordx4 v[26:29], v[78:79], off offset:112
	global_load_dwordx4 v[38:41], v[78:79], off offset:96
	;; [unrolled: 1-line block ×9, first 2 shown]
	v_lshl_add_u64 v[74:75], v[74:75], 0, 16
	s_waitcnt vmcnt(13)
	v_sub_co_u32_e32 v58, vcc, v58, v72
	s_nop 1
	v_subb_co_u32_e32 v59, vcc, v59, v73, vcc
	v_lshlrev_b64 v[58:59], 6, v[58:59]
	v_lshl_add_u64 v[100:101], s[4:5], 0, v[58:59]
	global_load_dwordx4 v[58:61], v[100:101], off
	global_load_dwordx2 v[108:109], v[96:97], off offset:-32
	global_load_dwordx2 v[102:103], v[96:97], off
	global_load_dwordx4 v[66:69], v[78:79], off offset:608
	global_load_dwordx2 v[98:99], v[96:97], off offset:32
	v_lshl_add_u64 v[96:97], v[96:97], 0, s[12:13]
	global_load_dwordx4 v[104:107], v[78:79], off offset:576
	s_waitcnt vmcnt(5)
	v_fmac_f64_e32 v[86:87], 0, v[58:59]
	v_fmac_f64_e32 v[82:83], 0, v[58:59]
	;; [unrolled: 1-line block ×6, first 2 shown]
	global_load_dwordx4 v[34:37], v[100:101], off offset:16
	v_fmac_f64_e32 v[90:91], 0x80000000, v[60:61]
	v_fmac_f64_e32 v[80:81], 0x80000000, v[60:61]
	;; [unrolled: 1-line block ×10, first 2 shown]
	global_load_dwordx4 v[62:65], v[78:79], off offset:1056
	global_load_dwordx4 v[58:61], v[78:79], off offset:1072
	s_waitcnt vmcnt(2)
	v_fmac_f64_e32 v[86:87], 0, v[34:35]
	v_fmac_f64_e32 v[82:83], 0, v[34:35]
	;; [unrolled: 1-line block ×6, first 2 shown]
	global_load_dwordx4 v[10:13], v[100:101], off offset:32
	v_fmac_f64_e32 v[94:95], v[22:23], v[34:35]
	v_fmac_f64_e32 v[84:85], 0, v[34:35]
	;; [unrolled: 1-line block ×10, first 2 shown]
	global_load_dwordx4 v[22:25], v[78:79], off offset:592
	global_load_dwordx4 v[34:37], v[78:79], off offset:1040
	s_waitcnt vmcnt(2)
	v_fmac_f64_e32 v[94:95], v[50:51], v[10:11]
	v_fmac_f64_e32 v[84:85], 0, v[10:11]
	;; [unrolled: 1-line block ×16, first 2 shown]
	global_load_dwordx4 v[10:13], v[100:101], off offset:48
	v_sub_co_u32_e32 v46, vcc, v108, v72
	global_load_dwordx4 v[50:53], v[78:79], off offset:1104
	s_nop 0
	v_subb_co_u32_e32 v47, vcc, v109, v73, vcc
	s_waitcnt vmcnt(1)
	v_fmac_f64_e32 v[94:95], v[38:39], v[10:11]
	v_fmac_f64_e32 v[84:85], 0, v[10:11]
	v_fmac_f64_e32 v[92:93], v[40:41], v[10:11]
	v_fmac_f64_e32 v[88:89], 0, v[10:11]
	v_fmac_f64_e32 v[90:91], v[26:27], v[10:11]
	v_fmac_f64_e32 v[86:87], 0, v[10:11]
	v_fmac_f64_e32 v[80:81], v[28:29], v[10:11]
	v_fmac_f64_e32 v[82:83], 0, v[10:11]
	v_lshlrev_b64 v[10:11], 6, v[46:47]
	v_lshl_add_u64 v[100:101], s[4:5], 0, v[10:11]
	v_fmac_f64_e32 v[86:87], v[26:27], v[12:13]
	v_fmac_f64_e32 v[82:83], v[28:29], v[12:13]
	global_load_dwordx4 v[26:29], v[100:101], off
	v_fmac_f64_e32 v[84:85], v[38:39], v[12:13]
	v_fmac_f64_e32 v[88:89], v[40:41], v[12:13]
	;; [unrolled: 1-line block ×6, first 2 shown]
	global_load_dwordx4 v[38:41], v[78:79], off offset:1024
	global_load_dwordx4 v[10:13], v[78:79], off offset:1136
	;; [unrolled: 1-line block ×3, first 2 shown]
	s_waitcnt vmcnt(3)
	v_fmac_f64_e32 v[94:95], v[54:55], v[26:27]
	v_fmac_f64_e32 v[84:85], 0, v[26:27]
	;; [unrolled: 1-line block ×16, first 2 shown]
	global_load_dwordx4 v[26:29], v[100:101], off offset:16
	global_load_dwordx4 v[54:57], v[78:79], off offset:1088
	s_waitcnt vmcnt(1)
	v_fmac_f64_e32 v[94:95], v[30:31], v[26:27]
	v_fmac_f64_e32 v[84:85], 0, v[26:27]
	;; [unrolled: 1-line block ×16, first 2 shown]
	global_load_dwordx4 v[26:29], v[100:101], off offset:32
	global_load_dwordx4 v[30:33], v[100:101], off offset:48
	;; [unrolled: 1-line block ×3, first 2 shown]
	s_waitcnt vmcnt(2)
	v_fmac_f64_e32 v[94:95], v[104:105], v[26:27]
	v_fmac_f64_e32 v[84:85], 0, v[26:27]
	;; [unrolled: 1-line block ×16, first 2 shown]
	s_waitcnt vmcnt(1)
	v_fmac_f64_e32 v[94:95], v[66:67], v[30:31]
	v_fmac_f64_e32 v[84:85], 0, v[30:31]
	;; [unrolled: 1-line block ×8, first 2 shown]
	v_sub_co_u32_e32 v30, vcc, v102, v72
	v_fmac_f64_e32 v[84:85], v[66:67], v[32:33]
	s_nop 0
	v_subb_co_u32_e32 v31, vcc, v103, v73, vcc
	v_lshlrev_b64 v[30:31], 6, v[30:31]
	v_lshl_add_u64 v[100:101], s[4:5], 0, v[30:31]
	global_load_dwordx4 v[42:45], v[100:101], off
	v_fmac_f64_e32 v[88:89], v[68:69], v[32:33]
	global_load_dwordx4 v[66:69], v[100:101], off offset:16
	v_fmac_f64_e32 v[86:87], v[14:15], v[32:33]
	v_fmac_f64_e32 v[82:83], v[16:17], v[32:33]
	;; [unrolled: 1-line block ×6, first 2 shown]
	global_load_dwordx4 v[22:25], v[78:79], off offset:1568
	global_load_dwordx4 v[26:29], v[78:79], off offset:1552
	;; [unrolled: 1-line block ×4, first 2 shown]
	s_waitcnt vmcnt(5)
	v_fmac_f64_e32 v[94:95], v[38:39], v[42:43]
	v_fmac_f64_e32 v[84:85], 0, v[42:43]
	;; [unrolled: 1-line block ×16, first 2 shown]
	s_waitcnt vmcnt(4)
	v_fmac_f64_e32 v[94:95], v[62:63], v[66:67]
	v_fmac_f64_e32 v[84:85], 0, v[66:67]
	;; [unrolled: 1-line block ×8, first 2 shown]
	global_load_dwordx4 v[34:37], v[78:79], off offset:1632
	global_load_dwordx4 v[38:41], v[78:79], off offset:1616
	v_fmac_f64_e32 v[84:85], v[62:63], v[68:69]
	v_fmac_f64_e32 v[88:89], v[64:65], v[68:69]
	;; [unrolled: 1-line block ×4, first 2 shown]
	global_load_dwordx4 v[42:45], v[78:79], off offset:1600
	v_fmac_f64_e32 v[94:95], 0x80000000, v[68:69]
	v_fmac_f64_e32 v[92:93], 0x80000000, v[68:69]
	;; [unrolled: 1-line block ×4, first 2 shown]
	global_load_dwordx4 v[66:69], v[100:101], off offset:32
	global_load_dwordx4 v[62:65], v[100:101], off offset:48
	v_sub_co_u32_e32 v58, vcc, v98, v72
	v_lshl_add_u64 v[78:79], v[78:79], 0, s[10:11]
	s_nop 0
	v_subb_co_u32_e32 v59, vcc, v99, v73, vcc
	v_lshlrev_b64 v[58:59], 6, v[58:59]
	v_lshl_add_u64 v[98:99], s[4:5], 0, v[58:59]
	global_load_dwordx4 v[58:61], v[98:99], off
	v_cmp_ge_i64_e32 vcc, v[74:75], v[76:77]
	s_or_b64 s[8:9], vcc, s[8:9]
	s_waitcnt vmcnt(2)
	v_fmac_f64_e32 v[84:85], 0, v[66:67]
	v_fmac_f64_e32 v[88:89], 0, v[66:67]
	;; [unrolled: 1-line block ×6, first 2 shown]
	global_load_dwordx4 v[54:57], v[98:99], off offset:16
	v_fmac_f64_e32 v[86:87], 0, v[66:67]
	v_fmac_f64_e32 v[82:83], 0, v[66:67]
	;; [unrolled: 1-line block ×6, first 2 shown]
	global_load_dwordx4 v[50:53], v[98:99], off offset:32
	v_fmac_f64_e32 v[94:95], 0x80000000, v[68:69]
	v_fmac_f64_e32 v[92:93], 0x80000000, v[68:69]
	s_waitcnt vmcnt(3)
	v_fmac_f64_e32 v[84:85], 0, v[62:63]
	v_fmac_f64_e32 v[88:89], 0, v[62:63]
	;; [unrolled: 1-line block ×6, first 2 shown]
	global_load_dwordx4 v[46:49], v[98:99], off offset:48
	v_fmac_f64_e32 v[90:91], 0x80000000, v[68:69]
	v_fmac_f64_e32 v[80:81], 0x80000000, v[68:69]
	v_fmac_f64_e32 v[90:91], v[10:11], v[62:63]
	v_fmac_f64_e32 v[86:87], 0, v[62:63]
	v_fmac_f64_e32 v[80:81], v[12:13], v[62:63]
	v_fmac_f64_e32 v[82:83], 0, v[62:63]
	v_fmac_f64_e32 v[94:95], 0x80000000, v[64:65]
	v_fmac_f64_e32 v[92:93], 0x80000000, v[64:65]
	v_fmac_f64_e32 v[90:91], 0x80000000, v[64:65]
	v_fmac_f64_e32 v[86:87], v[10:11], v[64:65]
	v_fmac_f64_e32 v[80:81], 0x80000000, v[64:65]
	v_fmac_f64_e32 v[82:83], v[12:13], v[64:65]
	s_waitcnt vmcnt(3)
	v_fmac_f64_e32 v[94:95], v[14:15], v[58:59]
	v_fmac_f64_e32 v[84:85], 0, v[58:59]
	v_fmac_f64_e32 v[92:93], v[16:17], v[58:59]
	v_fmac_f64_e32 v[88:89], 0, v[58:59]
	v_fmac_f64_e32 v[90:91], v[26:27], v[58:59]
	v_fmac_f64_e32 v[86:87], 0, v[58:59]
	v_fmac_f64_e32 v[80:81], v[28:29], v[58:59]
	v_fmac_f64_e32 v[82:83], 0, v[58:59]
	v_fmac_f64_e32 v[94:95], 0x80000000, v[60:61]
	v_fmac_f64_e32 v[84:85], v[14:15], v[60:61]
	v_fmac_f64_e32 v[92:93], 0x80000000, v[60:61]
	v_fmac_f64_e32 v[88:89], v[16:17], v[60:61]
	v_fmac_f64_e32 v[90:91], 0x80000000, v[60:61]
	v_fmac_f64_e32 v[86:87], v[26:27], v[60:61]
	v_fmac_f64_e32 v[80:81], 0x80000000, v[60:61]
	v_fmac_f64_e32 v[82:83], v[28:29], v[60:61]
	s_waitcnt vmcnt(2)
	v_fmac_f64_e32 v[94:95], v[22:23], v[54:55]
	v_fmac_f64_e32 v[84:85], 0, v[54:55]
	v_fmac_f64_e32 v[92:93], v[24:25], v[54:55]
	v_fmac_f64_e32 v[88:89], 0, v[54:55]
	;; [unrolled: 17-line block ×4, first 2 shown]
	v_fmac_f64_e32 v[90:91], v[30:31], v[46:47]
	v_fmac_f64_e32 v[86:87], 0, v[46:47]
	;; [unrolled: 1-line block ×12, first 2 shown]
	s_andn2_b64 exec, exec, s[8:9]
	s_cbranch_execnz .LBB145_33
; %bb.34:
	s_or_b64 exec, exec, s[8:9]
.LBB145_35:
	s_or_b64 exec, exec, s[2:3]
.LBB145_36:
	s_or_b64 exec, exec, s[6:7]
.LBB145_37:
	v_mov_b32_dpp v10, v94 row_shr:1 row_mask:0xf bank_mask:0xf
	v_mov_b32_dpp v11, v95 row_shr:1 row_mask:0xf bank_mask:0xf
	;; [unrolled: 1-line block ×16, first 2 shown]
	v_add_f64 v[10:11], v[94:95], v[10:11]
	v_add_f64 v[14:15], v[84:85], v[14:15]
	;; [unrolled: 1-line block ×8, first 2 shown]
	v_mov_b32_dpp v12, v10 row_shr:2 row_mask:0xf bank_mask:0xf
	v_mov_b32_dpp v13, v11 row_shr:2 row_mask:0xf bank_mask:0xf
	;; [unrolled: 1-line block ×16, first 2 shown]
	v_cmp_eq_u32_e32 vcc, 3, v0
	s_and_b64 exec, exec, vcc
	s_cbranch_execz .LBB145_8
; %bb.38:
	s_load_dwordx2 s[2:3], s[0:1], 0x68
	v_add_f64 v[0:1], v[10:11], v[12:13]
	v_add_f64 v[10:11], v[14:15], v[16:17]
	;; [unrolled: 1-line block ×8, first 2 shown]
	v_cmp_eq_f64_e32 vcc, 0, v[2:3]
	v_cmp_eq_f64_e64 s[0:1], 0, v[4:5]
	v_mul_f64 v[22:23], v[10:11], -v[8:9]
	v_mul_f64 v[24:25], v[6:7], v[10:11]
	v_mul_f64 v[18:19], v[12:13], -v[8:9]
	v_mul_f64 v[20:21], v[6:7], v[12:13]
	v_mul_f64 v[14:15], v[16:17], -v[8:9]
	v_mul_f64 v[16:17], v[6:7], v[16:17]
	v_mul_f64 v[10:11], v[30:31], -v[8:9]
	v_mul_f64 v[12:13], v[6:7], v[30:31]
	s_and_b64 s[0:1], vcc, s[0:1]
	v_fmac_f64_e32 v[22:23], v[6:7], v[0:1]
	v_fmac_f64_e32 v[24:25], v[8:9], v[0:1]
	v_lshlrev_b64 v[0:1], 6, v[70:71]
	v_fmac_f64_e32 v[18:19], v[6:7], v[42:43]
	v_fmac_f64_e32 v[20:21], v[8:9], v[42:43]
	;; [unrolled: 1-line block ×6, first 2 shown]
	s_and_saveexec_b64 s[4:5], s[0:1]
	s_xor_b64 s[0:1], exec, s[4:5]
	s_cbranch_execz .LBB145_40
; %bb.39:
	s_waitcnt lgkmcnt(0)
	v_lshl_add_u64 v[0:1], s[2:3], 0, v[0:1]
	global_store_dwordx4 v[0:1], v[22:25], off
	global_store_dwordx4 v[0:1], v[18:21], off offset:16
	global_store_dwordx4 v[0:1], v[14:17], off offset:32
	global_store_dwordx4 v[0:1], v[10:13], off offset:48
                                        ; implicit-def: $vgpr4_vgpr5
                                        ; implicit-def: $vgpr22_vgpr23
                                        ; implicit-def: $vgpr0_vgpr1
                                        ; implicit-def: $vgpr18_vgpr19
                                        ; implicit-def: $vgpr14_vgpr15
                                        ; implicit-def: $vgpr10_vgpr11
.LBB145_40:
	s_andn2_saveexec_b64 s[0:1], s[0:1]
	s_cbranch_execz .LBB145_8
; %bb.41:
	s_waitcnt lgkmcnt(0)
	v_lshl_add_u64 v[0:1], s[2:3], 0, v[0:1]
	global_load_dwordx4 v[6:9], v[0:1], off
	global_load_dwordx4 v[26:29], v[0:1], off offset:16
	global_load_dwordx4 v[30:33], v[0:1], off offset:32
	;; [unrolled: 1-line block ×3, first 2 shown]
	s_waitcnt vmcnt(3)
	v_fmac_f64_e32 v[22:23], v[2:3], v[6:7]
	v_fmac_f64_e32 v[24:25], v[4:5], v[6:7]
	s_waitcnt vmcnt(2)
	v_fmac_f64_e32 v[18:19], v[2:3], v[26:27]
	v_fmac_f64_e32 v[20:21], v[4:5], v[26:27]
	;; [unrolled: 3-line block ×4, first 2 shown]
	v_fma_f64 v[22:23], -v[4:5], v[8:9], v[22:23]
	v_fmac_f64_e32 v[24:25], v[2:3], v[8:9]
	v_fma_f64 v[18:19], -v[4:5], v[28:29], v[18:19]
	v_fmac_f64_e32 v[20:21], v[2:3], v[28:29]
	;; [unrolled: 2-line block ×4, first 2 shown]
	global_store_dwordx4 v[0:1], v[22:25], off
	global_store_dwordx4 v[0:1], v[18:21], off offset:16
	global_store_dwordx4 v[0:1], v[14:17], off offset:32
	;; [unrolled: 1-line block ×3, first 2 shown]
	s_endpgm
	.section	.rodata,"a",@progbits
	.p2align	6, 0x0
	.amdhsa_kernel _ZN9rocsparseL18bsrxmvn_4x4_kernelILj128ELj4E21rocsparse_complex_numIdElldS2_S2_EEvT3_20rocsparse_direction_NS_24const_host_device_scalarIT1_EES3_PKS3_PKT2_SC_S9_PKT4_PKT5_S7_PT6_21rocsparse_index_base_b
		.amdhsa_group_segment_fixed_size 0
		.amdhsa_private_segment_fixed_size 0
		.amdhsa_kernarg_size 120
		.amdhsa_user_sgpr_count 2
		.amdhsa_user_sgpr_dispatch_ptr 0
		.amdhsa_user_sgpr_queue_ptr 0
		.amdhsa_user_sgpr_kernarg_segment_ptr 1
		.amdhsa_user_sgpr_dispatch_id 0
		.amdhsa_user_sgpr_kernarg_preload_length 0
		.amdhsa_user_sgpr_kernarg_preload_offset 0
		.amdhsa_user_sgpr_private_segment_size 0
		.amdhsa_uses_dynamic_stack 0
		.amdhsa_enable_private_segment 0
		.amdhsa_system_sgpr_workgroup_id_x 1
		.amdhsa_system_sgpr_workgroup_id_y 0
		.amdhsa_system_sgpr_workgroup_id_z 0
		.amdhsa_system_sgpr_workgroup_info 0
		.amdhsa_system_vgpr_workitem_id 0
		.amdhsa_next_free_vgpr 110
		.amdhsa_next_free_sgpr 18
		.amdhsa_accum_offset 112
		.amdhsa_reserve_vcc 1
		.amdhsa_float_round_mode_32 0
		.amdhsa_float_round_mode_16_64 0
		.amdhsa_float_denorm_mode_32 3
		.amdhsa_float_denorm_mode_16_64 3
		.amdhsa_dx10_clamp 1
		.amdhsa_ieee_mode 1
		.amdhsa_fp16_overflow 0
		.amdhsa_tg_split 0
		.amdhsa_exception_fp_ieee_invalid_op 0
		.amdhsa_exception_fp_denorm_src 0
		.amdhsa_exception_fp_ieee_div_zero 0
		.amdhsa_exception_fp_ieee_overflow 0
		.amdhsa_exception_fp_ieee_underflow 0
		.amdhsa_exception_fp_ieee_inexact 0
		.amdhsa_exception_int_div_zero 0
	.end_amdhsa_kernel
	.section	.text._ZN9rocsparseL18bsrxmvn_4x4_kernelILj128ELj4E21rocsparse_complex_numIdElldS2_S2_EEvT3_20rocsparse_direction_NS_24const_host_device_scalarIT1_EES3_PKS3_PKT2_SC_S9_PKT4_PKT5_S7_PT6_21rocsparse_index_base_b,"axG",@progbits,_ZN9rocsparseL18bsrxmvn_4x4_kernelILj128ELj4E21rocsparse_complex_numIdElldS2_S2_EEvT3_20rocsparse_direction_NS_24const_host_device_scalarIT1_EES3_PKS3_PKT2_SC_S9_PKT4_PKT5_S7_PT6_21rocsparse_index_base_b,comdat
.Lfunc_end145:
	.size	_ZN9rocsparseL18bsrxmvn_4x4_kernelILj128ELj4E21rocsparse_complex_numIdElldS2_S2_EEvT3_20rocsparse_direction_NS_24const_host_device_scalarIT1_EES3_PKS3_PKT2_SC_S9_PKT4_PKT5_S7_PT6_21rocsparse_index_base_b, .Lfunc_end145-_ZN9rocsparseL18bsrxmvn_4x4_kernelILj128ELj4E21rocsparse_complex_numIdElldS2_S2_EEvT3_20rocsparse_direction_NS_24const_host_device_scalarIT1_EES3_PKS3_PKT2_SC_S9_PKT4_PKT5_S7_PT6_21rocsparse_index_base_b
                                        ; -- End function
	.set _ZN9rocsparseL18bsrxmvn_4x4_kernelILj128ELj4E21rocsparse_complex_numIdElldS2_S2_EEvT3_20rocsparse_direction_NS_24const_host_device_scalarIT1_EES3_PKS3_PKT2_SC_S9_PKT4_PKT5_S7_PT6_21rocsparse_index_base_b.num_vgpr, 110
	.set _ZN9rocsparseL18bsrxmvn_4x4_kernelILj128ELj4E21rocsparse_complex_numIdElldS2_S2_EEvT3_20rocsparse_direction_NS_24const_host_device_scalarIT1_EES3_PKS3_PKT2_SC_S9_PKT4_PKT5_S7_PT6_21rocsparse_index_base_b.num_agpr, 0
	.set _ZN9rocsparseL18bsrxmvn_4x4_kernelILj128ELj4E21rocsparse_complex_numIdElldS2_S2_EEvT3_20rocsparse_direction_NS_24const_host_device_scalarIT1_EES3_PKS3_PKT2_SC_S9_PKT4_PKT5_S7_PT6_21rocsparse_index_base_b.numbered_sgpr, 18
	.set _ZN9rocsparseL18bsrxmvn_4x4_kernelILj128ELj4E21rocsparse_complex_numIdElldS2_S2_EEvT3_20rocsparse_direction_NS_24const_host_device_scalarIT1_EES3_PKS3_PKT2_SC_S9_PKT4_PKT5_S7_PT6_21rocsparse_index_base_b.num_named_barrier, 0
	.set _ZN9rocsparseL18bsrxmvn_4x4_kernelILj128ELj4E21rocsparse_complex_numIdElldS2_S2_EEvT3_20rocsparse_direction_NS_24const_host_device_scalarIT1_EES3_PKS3_PKT2_SC_S9_PKT4_PKT5_S7_PT6_21rocsparse_index_base_b.private_seg_size, 0
	.set _ZN9rocsparseL18bsrxmvn_4x4_kernelILj128ELj4E21rocsparse_complex_numIdElldS2_S2_EEvT3_20rocsparse_direction_NS_24const_host_device_scalarIT1_EES3_PKS3_PKT2_SC_S9_PKT4_PKT5_S7_PT6_21rocsparse_index_base_b.uses_vcc, 1
	.set _ZN9rocsparseL18bsrxmvn_4x4_kernelILj128ELj4E21rocsparse_complex_numIdElldS2_S2_EEvT3_20rocsparse_direction_NS_24const_host_device_scalarIT1_EES3_PKS3_PKT2_SC_S9_PKT4_PKT5_S7_PT6_21rocsparse_index_base_b.uses_flat_scratch, 0
	.set _ZN9rocsparseL18bsrxmvn_4x4_kernelILj128ELj4E21rocsparse_complex_numIdElldS2_S2_EEvT3_20rocsparse_direction_NS_24const_host_device_scalarIT1_EES3_PKS3_PKT2_SC_S9_PKT4_PKT5_S7_PT6_21rocsparse_index_base_b.has_dyn_sized_stack, 0
	.set _ZN9rocsparseL18bsrxmvn_4x4_kernelILj128ELj4E21rocsparse_complex_numIdElldS2_S2_EEvT3_20rocsparse_direction_NS_24const_host_device_scalarIT1_EES3_PKS3_PKT2_SC_S9_PKT4_PKT5_S7_PT6_21rocsparse_index_base_b.has_recursion, 0
	.set _ZN9rocsparseL18bsrxmvn_4x4_kernelILj128ELj4E21rocsparse_complex_numIdElldS2_S2_EEvT3_20rocsparse_direction_NS_24const_host_device_scalarIT1_EES3_PKS3_PKT2_SC_S9_PKT4_PKT5_S7_PT6_21rocsparse_index_base_b.has_indirect_call, 0
	.section	.AMDGPU.csdata,"",@progbits
; Kernel info:
; codeLenInByte = 6800
; TotalNumSgprs: 24
; NumVgprs: 110
; NumAgprs: 0
; TotalNumVgprs: 110
; ScratchSize: 0
; MemoryBound: 0
; FloatMode: 240
; IeeeMode: 1
; LDSByteSize: 0 bytes/workgroup (compile time only)
; SGPRBlocks: 2
; VGPRBlocks: 13
; NumSGPRsForWavesPerEU: 24
; NumVGPRsForWavesPerEU: 110
; AccumOffset: 112
; Occupancy: 4
; WaveLimiterHint : 1
; COMPUTE_PGM_RSRC2:SCRATCH_EN: 0
; COMPUTE_PGM_RSRC2:USER_SGPR: 2
; COMPUTE_PGM_RSRC2:TRAP_HANDLER: 0
; COMPUTE_PGM_RSRC2:TGID_X_EN: 1
; COMPUTE_PGM_RSRC2:TGID_Y_EN: 0
; COMPUTE_PGM_RSRC2:TGID_Z_EN: 0
; COMPUTE_PGM_RSRC2:TIDIG_COMP_CNT: 0
; COMPUTE_PGM_RSRC3_GFX90A:ACCUM_OFFSET: 27
; COMPUTE_PGM_RSRC3_GFX90A:TG_SPLIT: 0
	.section	.text._ZN9rocsparseL18bsrxmvn_4x4_kernelILj128ELj8E21rocsparse_complex_numIdElldS2_S2_EEvT3_20rocsparse_direction_NS_24const_host_device_scalarIT1_EES3_PKS3_PKT2_SC_S9_PKT4_PKT5_S7_PT6_21rocsparse_index_base_b,"axG",@progbits,_ZN9rocsparseL18bsrxmvn_4x4_kernelILj128ELj8E21rocsparse_complex_numIdElldS2_S2_EEvT3_20rocsparse_direction_NS_24const_host_device_scalarIT1_EES3_PKS3_PKT2_SC_S9_PKT4_PKT5_S7_PT6_21rocsparse_index_base_b,comdat
	.globl	_ZN9rocsparseL18bsrxmvn_4x4_kernelILj128ELj8E21rocsparse_complex_numIdElldS2_S2_EEvT3_20rocsparse_direction_NS_24const_host_device_scalarIT1_EES3_PKS3_PKT2_SC_S9_PKT4_PKT5_S7_PT6_21rocsparse_index_base_b ; -- Begin function _ZN9rocsparseL18bsrxmvn_4x4_kernelILj128ELj8E21rocsparse_complex_numIdElldS2_S2_EEvT3_20rocsparse_direction_NS_24const_host_device_scalarIT1_EES3_PKS3_PKT2_SC_S9_PKT4_PKT5_S7_PT6_21rocsparse_index_base_b
	.p2align	8
	.type	_ZN9rocsparseL18bsrxmvn_4x4_kernelILj128ELj8E21rocsparse_complex_numIdElldS2_S2_EEvT3_20rocsparse_direction_NS_24const_host_device_scalarIT1_EES3_PKS3_PKT2_SC_S9_PKT4_PKT5_S7_PT6_21rocsparse_index_base_b,@function
_ZN9rocsparseL18bsrxmvn_4x4_kernelILj128ELj8E21rocsparse_complex_numIdElldS2_S2_EEvT3_20rocsparse_direction_NS_24const_host_device_scalarIT1_EES3_PKS3_PKT2_SC_S9_PKT4_PKT5_S7_PT6_21rocsparse_index_base_b: ; @_ZN9rocsparseL18bsrxmvn_4x4_kernelILj128ELj8E21rocsparse_complex_numIdElldS2_S2_EEvT3_20rocsparse_direction_NS_24const_host_device_scalarIT1_EES3_PKS3_PKT2_SC_S9_PKT4_PKT5_S7_PT6_21rocsparse_index_base_b
; %bb.0:
	s_load_dwordx2 s[4:5], s[0:1], 0x10
	s_load_dwordx2 s[6:7], s[0:1], 0x70
	s_add_u32 s3, s0, 16
	s_addc_u32 s10, s1, 0
	s_add_u32 s11, s0, 0x58
	s_load_dwordx2 s[8:9], s[0:1], 0x58
	s_addc_u32 s12, s1, 0
	s_waitcnt lgkmcnt(0)
	s_bitcmp1_b32 s7, 0
	s_cselect_b32 s5, s10, s5
	s_cselect_b32 s3, s3, s4
	v_mov_b32_e32 v2, s3
	v_mov_b32_e32 v3, s5
	flat_load_dwordx4 v[6:9], v[2:3]
	s_cselect_b32 s3, s12, s9
	s_cselect_b32 s4, s11, s8
	v_mov_b32_e32 v2, s4
	v_mov_b32_e32 v3, s3
	flat_load_dwordx4 v[2:5], v[2:3]
	s_waitcnt vmcnt(0) lgkmcnt(0)
	v_cmp_eq_f64_e32 vcc, 0, v[6:7]
	v_cmp_eq_f64_e64 s[4:5], 0, v[8:9]
	s_and_b64 s[10:11], vcc, s[4:5]
	s_mov_b64 s[4:5], -1
	s_and_saveexec_b64 s[8:9], s[10:11]
; %bb.1:
	v_cmp_neq_f64_e32 vcc, 1.0, v[2:3]
	v_cmp_neq_f64_e64 s[4:5], 0, v[4:5]
	s_or_b64 s[4:5], vcc, s[4:5]
	s_orn2_b64 s[4:5], s[4:5], exec
; %bb.2:
	s_or_b64 exec, exec, s[8:9]
	s_and_saveexec_b64 s[8:9], s[4:5]
	s_cbranch_execz .LBB146_8
; %bb.3:
	s_load_dwordx2 s[4:5], s[0:1], 0x28
	v_lshrrev_b32_e32 v1, 3, v0
	v_lshl_or_b32 v10, s2, 4, v1
	v_mov_b32_e32 v11, 0
	s_mov_b64 s[2:3], 0
	s_waitcnt lgkmcnt(0)
	s_cmp_lg_u64 s[4:5], 0
	s_cbranch_scc0 .LBB146_9
; %bb.4:
	s_load_dwordx2 s[8:9], s[0:1], 0x20
                                        ; implicit-def: $vgpr70_vgpr71
                                        ; implicit-def: $vgpr72_vgpr73
	s_waitcnt lgkmcnt(0)
	v_cmp_gt_i64_e32 vcc, s[8:9], v[10:11]
	s_and_saveexec_b64 s[8:9], vcc
	s_xor_b64 s[8:9], exec, s[8:9]
	s_cbranch_execz .LBB146_6
; %bb.5:
	v_lshl_add_u64 v[12:13], v[10:11], 3, s[4:5]
	global_load_dwordx2 v[12:13], v[12:13], off
	s_mov_b32 s7, 0
	s_mov_b64 s[2:3], exec
	v_mov_b64_e32 v[72:73], s[6:7]
	s_waitcnt vmcnt(0)
	v_subrev_co_u32_e32 v70, vcc, s6, v12
	s_nop 1
	v_subbrev_co_u32_e32 v71, vcc, 0, v13, vcc
.LBB146_6:
	s_or_b64 exec, exec, s[8:9]
.LBB146_7:
	s_and_b64 exec, exec, s[2:3]
	s_cbranch_execnz .LBB146_13
.LBB146_8:
	s_endpgm
.LBB146_9:
                                        ; implicit-def: $vgpr70_vgpr71
                                        ; implicit-def: $vgpr72_vgpr73
	s_cbranch_execz .LBB146_7
; %bb.10:
	s_load_dwordx2 s[4:5], s[0:1], 0x0
	s_waitcnt lgkmcnt(0)
	v_cmp_gt_i64_e32 vcc, s[4:5], v[10:11]
	s_and_saveexec_b64 s[4:5], vcc
; %bb.11:
	s_mov_b32 s7, 0
	s_or_b64 s[2:3], s[2:3], exec
; %bb.12:
	s_or_b64 exec, exec, s[4:5]
	v_mov_b64_e32 v[72:73], s[6:7]
	v_mov_b64_e32 v[70:71], v[10:11]
	s_and_b64 exec, exec, s[2:3]
	s_cbranch_execz .LBB146_8
.LBB146_13:
	s_load_dwordx8 s[4:11], s[0:1], 0x30
	v_lshlrev_b64 v[10:11], 3, v[70:71]
	v_and_b32_e32 v0, 7, v0
	v_mov_b32_e32 v1, 0
	s_waitcnt lgkmcnt(0)
	v_lshl_add_u64 v[12:13], s[4:5], 0, v[10:11]
	s_cmp_eq_u64 s[6:7], 0
	v_lshl_add_u64 v[10:11], s[6:7], 0, v[10:11]
	global_load_dwordx2 v[26:27], v[12:13], off
	v_lshl_add_u64 v[12:13], v[12:13], 0, 8
	s_cselect_b64 vcc, -1, 0
	v_cndmask_b32_e32 v11, v11, v13, vcc
	v_cndmask_b32_e32 v10, v10, v12, vcc
	global_load_dwordx2 v[10:11], v[10:11], off
	s_load_dword s2, s[0:1], 0x8
	s_load_dwordx2 s[4:5], s[0:1], 0x50
	s_waitcnt lgkmcnt(0)
	s_cmp_eq_u32 s2, 1
	s_waitcnt vmcnt(1)
	v_sub_co_u32_e32 v12, vcc, v26, v72
	s_nop 1
	v_subb_co_u32_e32 v13, vcc, v27, v73, vcc
	v_lshl_add_u64 v[74:75], v[12:13], 0, v[0:1]
	s_waitcnt vmcnt(0)
	v_sub_co_u32_e32 v76, vcc, v10, v72
	s_nop 1
	v_subb_co_u32_e32 v77, vcc, v11, v73, vcc
	v_lshlrev_b64 v[10:11], 7, v[74:75]
	v_lshl_add_u64 v[80:81], s[10:11], 0, v[10:11]
	v_cmp_lt_i64_e64 s[2:3], v[74:75], v[76:77]
	s_cbranch_scc1 .LBB146_25
; %bb.14:
	v_mov_b64_e32 v[90:91], 0
	v_mov_b64_e32 v[94:95], 0
	;; [unrolled: 1-line block ×8, first 2 shown]
	s_and_saveexec_b64 s[6:7], s[2:3]
	s_cbranch_execz .LBB146_24
; %bb.15:
	v_or_b32_e32 v1, 8, v0
	v_sub_co_u32_e32 v10, vcc, v1, v72
	v_not_b32_e32 v13, v27
	s_nop 0
	v_subb_co_u32_e32 v11, vcc, 0, v73, vcc
	v_lshl_add_u64 v[10:11], v[10:11], 0, v[26:27]
	v_cmp_gt_i64_e32 vcc, v[10:11], v[76:77]
	v_not_b32_e32 v12, v26
	v_mov_b64_e32 v[78:79], 0
	v_cndmask_b32_e32 v11, v77, v11, vcc
	v_cndmask_b32_e32 v10, v76, v10, vcc
	v_sub_co_u32_e32 v14, vcc, v72, v0
	v_mov_b64_e32 v[82:83], 0
	s_nop 0
	v_subbrev_co_u32_e32 v15, vcc, 0, v73, vcc
	v_lshl_add_u64 v[12:13], v[14:15], 0, v[12:13]
	v_lshl_add_u64 v[22:23], v[12:13], 0, v[10:11]
	v_and_b32_e32 v10, 24, v22
	v_mov_b32_e32 v11, 0
	v_cmp_ne_u64_e32 vcc, 24, v[10:11]
	v_mov_b64_e32 v[86:87], 0
	v_mov_b64_e32 v[84:85], 0
	;; [unrolled: 1-line block ×8, first 2 shown]
	s_and_saveexec_b64 s[10:11], vcc
	s_cbranch_execz .LBB146_19
; %bb.16:
	v_lshrrev_b32_e32 v1, 3, v22
	v_add_u32_e32 v1, 1, v1
	v_and_b32_e32 v1, 3, v1
	v_sub_co_u32_e32 v32, vcc, 0, v1
	v_lshl_add_u64 v[24:25], v[74:75], 3, s[8:9]
	s_nop 0
	v_subb_co_u32_e64 v33, s[14:15], 0, 0, vcc
	s_mov_b64 s[12:13], 0
	v_mov_b64_e32 v[90:91], 0
	s_mov_b64 s[14:15], 0x400
	v_mov_b64_e32 v[30:31], v[74:75]
	v_mov_b64_e32 v[28:29], v[80:81]
	;; [unrolled: 1-line block ×9, first 2 shown]
.LBB146_17:                             ; =>This Inner Loop Header: Depth=1
	global_load_dwordx2 v[54:55], v[24:25], off
	global_load_dwordx4 v[10:13], v[28:29], off offset:48
	global_load_dwordx4 v[18:21], v[28:29], off offset:32
	;; [unrolled: 1-line block ×3, first 2 shown]
	global_load_dwordx4 v[34:37], v[28:29], off
	global_load_dwordx4 v[38:41], v[28:29], off offset:112
	global_load_dwordx4 v[42:45], v[28:29], off offset:96
	;; [unrolled: 1-line block ×4, first 2 shown]
	v_lshl_add_u64 v[32:33], v[32:33], 0, 1
	v_lshl_add_u64 v[28:29], v[28:29], 0, s[14:15]
	;; [unrolled: 1-line block ×4, first 2 shown]
	s_waitcnt vmcnt(8)
	v_sub_co_u32_e32 v54, vcc, v54, v72
	s_nop 1
	v_subb_co_u32_e32 v55, vcc, v55, v73, vcc
	v_lshlrev_b64 v[54:55], 6, v[54:55]
	v_lshl_add_u64 v[96:97], s[4:5], 0, v[54:55]
	global_load_dwordx4 v[54:57], v[96:97], off
	global_load_dwordx4 v[58:61], v[96:97], off offset:16
	global_load_dwordx4 v[62:65], v[96:97], off offset:32
	global_load_dwordx4 v[66:69], v[96:97], off offset:48
	v_cmp_eq_u64_e32 vcc, 0, v[32:33]
	s_or_b64 s[12:13], vcc, s[12:13]
	s_waitcnt vmcnt(3)
	v_fmac_f64_e32 v[94:95], v[34:35], v[54:55]
	v_fmac_f64_e32 v[90:91], 0, v[54:55]
	v_fmac_f64_e32 v[92:93], v[18:19], v[54:55]
	v_fmac_f64_e32 v[88:89], 0, v[54:55]
	v_fmac_f64_e32 v[86:87], v[46:47], v[54:55]
	v_fmac_f64_e32 v[84:85], 0, v[54:55]
	v_fmac_f64_e32 v[78:79], v[42:43], v[54:55]
	v_fmac_f64_e32 v[82:83], 0, v[54:55]
	v_fmac_f64_e32 v[94:95], 0x80000000, v[56:57]
	v_fmac_f64_e32 v[90:91], v[34:35], v[56:57]
	v_fmac_f64_e32 v[92:93], 0x80000000, v[56:57]
	v_fmac_f64_e32 v[88:89], v[18:19], v[56:57]
	v_fmac_f64_e32 v[86:87], 0x80000000, v[56:57]
	v_fmac_f64_e32 v[84:85], v[46:47], v[56:57]
	v_fmac_f64_e32 v[78:79], 0x80000000, v[56:57]
	v_fmac_f64_e32 v[82:83], v[42:43], v[56:57]
	s_waitcnt vmcnt(2)
	v_fmac_f64_e32 v[94:95], v[36:37], v[58:59]
	v_fmac_f64_e32 v[90:91], 0, v[58:59]
	v_fmac_f64_e32 v[92:93], v[20:21], v[58:59]
	v_fmac_f64_e32 v[88:89], 0, v[58:59]
	v_fmac_f64_e32 v[86:87], v[48:49], v[58:59]
	v_fmac_f64_e32 v[84:85], 0, v[58:59]
	v_fmac_f64_e32 v[78:79], v[44:45], v[58:59]
	v_fmac_f64_e32 v[82:83], 0, v[58:59]
	v_fmac_f64_e32 v[90:91], v[36:37], v[60:61]
	v_fmac_f64_e32 v[88:89], v[20:21], v[60:61]
	v_fmac_f64_e32 v[84:85], v[48:49], v[60:61]
	v_fmac_f64_e32 v[94:95], 0x80000000, v[60:61]
	v_fmac_f64_e32 v[92:93], 0x80000000, v[60:61]
	v_fmac_f64_e32 v[86:87], 0x80000000, v[60:61]
	v_fmac_f64_e32 v[78:79], 0x80000000, v[60:61]
	v_fmac_f64_e32 v[82:83], v[44:45], v[60:61]
	;; [unrolled: 17-line block ×4, first 2 shown]
	s_andn2_b64 exec, exec, s[12:13]
	s_cbranch_execnz .LBB146_17
; %bb.18:
	s_or_b64 exec, exec, s[12:13]
.LBB146_19:
	s_or_b64 exec, exec, s[10:11]
	v_cmp_lt_u64_e32 vcc, 23, v[22:23]
	s_and_saveexec_b64 s[10:11], vcc
	s_cbranch_execz .LBB146_23
; %bb.20:
	v_lshl_add_u64 v[10:11], v[30:31], 3, s[8:9]
	s_mov_b64 s[12:13], 0x80
	v_lshl_add_u64 v[32:33], v[10:11], 0, s[12:13]
	s_mov_b64 s[12:13], 0
	s_mov_b64 s[14:15], 0x1000
	;; [unrolled: 1-line block ×3, first 2 shown]
.LBB146_21:                             ; =>This Inner Loop Header: Depth=1
	global_load_dwordx2 v[10:11], v[32:33], off offset:-128
	v_lshl_add_u64 v[30:31], v[30:31], 0, 32
	s_waitcnt vmcnt(0)
	v_sub_co_u32_e32 v34, vcc, v10, v72
	s_nop 1
	v_subb_co_u32_e32 v35, vcc, v11, v73, vcc
	v_lshlrev_b64 v[34:35], 6, v[34:35]
	v_lshl_add_u64 v[50:51], s[4:5], 0, v[34:35]
	global_load_dwordx4 v[10:13], v[28:29], off offset:48
	global_load_dwordx4 v[14:17], v[28:29], off offset:32
	global_load_dwordx4 v[18:21], v[28:29], off offset:16
	global_load_dwordx4 v[22:25], v[28:29], off
	global_load_dwordx4 v[34:37], v[50:51], off offset:48
	global_load_dwordx4 v[38:41], v[50:51], off offset:32
	;; [unrolled: 1-line block ×3, first 2 shown]
	global_load_dwordx4 v[46:49], v[50:51], off
	s_waitcnt vmcnt(0)
	v_fmac_f64_e32 v[90:91], 0, v[46:47]
	v_fmac_f64_e32 v[88:89], 0, v[46:47]
	;; [unrolled: 1-line block ×30, first 2 shown]
	global_load_dwordx4 v[10:13], v[28:29], off offset:112
	global_load_dwordx4 v[14:17], v[28:29], off offset:96
	;; [unrolled: 1-line block ×4, first 2 shown]
	v_fmac_f64_e32 v[82:83], 0, v[46:47]
	v_fmac_f64_e32 v[84:85], 0, v[46:47]
	;; [unrolled: 1-line block ×4, first 2 shown]
	s_waitcnt vmcnt(2)
	v_fmac_f64_e32 v[78:79], v[14:15], v[46:47]
	v_fmac_f64_e32 v[82:83], v[14:15], v[48:49]
	;; [unrolled: 1-line block ×10, first 2 shown]
	global_load_dwordx2 v[10:11], v[32:33], off offset:-64
	s_waitcnt vmcnt(1)
	v_fmac_f64_e32 v[86:87], v[22:23], v[46:47]
	v_fmac_f64_e32 v[86:87], 0x80000000, v[48:49]
	v_fmac_f64_e32 v[84:85], v[22:23], v[48:49]
	v_fmac_f64_e32 v[86:87], v[24:25], v[42:43]
	v_fmac_f64_e32 v[84:85], 0, v[42:43]
	v_fmac_f64_e32 v[86:87], 0x80000000, v[44:45]
	v_fmac_f64_e32 v[84:85], v[24:25], v[44:45]
	v_fmac_f64_e32 v[86:87], v[18:19], v[38:39]
	v_fmac_f64_e32 v[84:85], 0, v[38:39]
	v_fmac_f64_e32 v[86:87], 0x80000000, v[40:41]
	v_fmac_f64_e32 v[84:85], v[18:19], v[40:41]
	v_fmac_f64_e32 v[78:79], 0x80000000, v[40:41]
	v_fmac_f64_e32 v[86:87], v[20:21], v[34:35]
	v_fmac_f64_e32 v[84:85], 0, v[34:35]
	v_fmac_f64_e32 v[78:79], v[12:13], v[34:35]
	v_fmac_f64_e32 v[82:83], 0, v[34:35]
	v_fmac_f64_e32 v[86:87], 0x80000000, v[36:37]
	v_fmac_f64_e32 v[84:85], v[20:21], v[36:37]
	v_fmac_f64_e32 v[78:79], 0x80000000, v[36:37]
	v_fmac_f64_e32 v[82:83], v[12:13], v[36:37]
	s_waitcnt vmcnt(0)
	v_sub_co_u32_e32 v34, vcc, v10, v72
	s_nop 1
	v_subb_co_u32_e32 v35, vcc, v11, v73, vcc
	v_lshlrev_b64 v[34:35], 6, v[34:35]
	v_lshl_add_u64 v[50:51], s[4:5], 0, v[34:35]
	global_load_dwordx4 v[10:13], v[28:29], off offset:1072
	global_load_dwordx4 v[14:17], v[28:29], off offset:1056
	;; [unrolled: 1-line block ×7, first 2 shown]
	global_load_dwordx4 v[46:49], v[50:51], off
	s_waitcnt vmcnt(0)
	v_fmac_f64_e32 v[90:91], 0, v[46:47]
	v_fmac_f64_e32 v[88:89], 0, v[46:47]
	;; [unrolled: 1-line block ×30, first 2 shown]
	global_load_dwordx4 v[10:13], v[28:29], off offset:1136
	global_load_dwordx4 v[14:17], v[28:29], off offset:1120
	;; [unrolled: 1-line block ×4, first 2 shown]
	v_fmac_f64_e32 v[82:83], 0, v[46:47]
	v_fmac_f64_e32 v[84:85], 0, v[46:47]
	;; [unrolled: 1-line block ×4, first 2 shown]
	s_waitcnt vmcnt(2)
	v_fmac_f64_e32 v[78:79], v[14:15], v[46:47]
	v_fmac_f64_e32 v[82:83], v[14:15], v[48:49]
	;; [unrolled: 1-line block ×10, first 2 shown]
	global_load_dwordx2 v[10:11], v[32:33], off
	s_waitcnt vmcnt(1)
	v_fmac_f64_e32 v[86:87], v[22:23], v[46:47]
	v_fmac_f64_e32 v[86:87], 0x80000000, v[48:49]
	;; [unrolled: 1-line block ×20, first 2 shown]
	s_waitcnt vmcnt(0)
	v_sub_co_u32_e32 v34, vcc, v10, v72
	s_nop 1
	v_subb_co_u32_e32 v35, vcc, v11, v73, vcc
	v_lshlrev_b64 v[34:35], 6, v[34:35]
	v_lshl_add_u64 v[50:51], s[4:5], 0, v[34:35]
	global_load_dwordx4 v[10:13], v[28:29], off offset:2096
	global_load_dwordx4 v[14:17], v[28:29], off offset:2080
	;; [unrolled: 1-line block ×7, first 2 shown]
	global_load_dwordx4 v[46:49], v[50:51], off
	s_waitcnt vmcnt(0)
	v_fmac_f64_e32 v[90:91], 0, v[46:47]
	v_fmac_f64_e32 v[88:89], 0, v[46:47]
	;; [unrolled: 1-line block ×30, first 2 shown]
	global_load_dwordx4 v[10:13], v[28:29], off offset:2160
	global_load_dwordx4 v[14:17], v[28:29], off offset:2144
	;; [unrolled: 1-line block ×4, first 2 shown]
	v_fmac_f64_e32 v[82:83], 0, v[46:47]
	v_fmac_f64_e32 v[84:85], 0, v[46:47]
	;; [unrolled: 1-line block ×4, first 2 shown]
	s_waitcnt vmcnt(2)
	v_fmac_f64_e32 v[78:79], v[14:15], v[46:47]
	v_fmac_f64_e32 v[82:83], v[14:15], v[48:49]
	;; [unrolled: 1-line block ×10, first 2 shown]
	global_load_dwordx2 v[10:11], v[32:33], off offset:64
	s_waitcnt vmcnt(1)
	v_fmac_f64_e32 v[86:87], v[22:23], v[46:47]
	v_fmac_f64_e32 v[86:87], 0x80000000, v[48:49]
	;; [unrolled: 1-line block ×20, first 2 shown]
	global_load_dwordx4 v[34:37], v[28:29], off offset:3120
	global_load_dwordx4 v[38:41], v[28:29], off offset:3104
	;; [unrolled: 1-line block ×4, first 2 shown]
	v_lshl_add_u64 v[32:33], v[32:33], 0, s[16:17]
	s_waitcnt vmcnt(4)
	v_sub_co_u32_e32 v10, vcc, v10, v72
	s_nop 1
	v_subb_co_u32_e32 v11, vcc, v11, v73, vcc
	v_lshlrev_b64 v[10:11], 6, v[10:11]
	v_lshl_add_u64 v[50:51], s[4:5], 0, v[10:11]
	global_load_dwordx4 v[10:13], v[50:51], off offset:48
	global_load_dwordx4 v[14:17], v[50:51], off offset:32
	;; [unrolled: 1-line block ×3, first 2 shown]
	global_load_dwordx4 v[22:25], v[50:51], off
	v_cmp_ge_i64_e32 vcc, v[30:31], v[76:77]
	s_or_b64 s[12:13], vcc, s[12:13]
	s_waitcnt vmcnt(0)
	v_fmac_f64_e32 v[90:91], 0, v[22:23]
	v_fmac_f64_e32 v[88:89], 0, v[22:23]
	;; [unrolled: 1-line block ×30, first 2 shown]
	global_load_dwordx4 v[34:37], v[28:29], off offset:3184
	global_load_dwordx4 v[38:41], v[28:29], off offset:3168
	;; [unrolled: 1-line block ×4, first 2 shown]
	v_fmac_f64_e32 v[84:85], 0, v[22:23]
	v_fmac_f64_e32 v[82:83], 0, v[22:23]
	;; [unrolled: 1-line block ×4, first 2 shown]
	v_lshl_add_u64 v[28:29], v[28:29], 0, s[14:15]
	s_waitcnt vmcnt(2)
	v_fmac_f64_e32 v[78:79], v[38:39], v[22:23]
	v_fmac_f64_e32 v[78:79], 0x80000000, v[24:25]
	s_waitcnt vmcnt(0)
	v_fmac_f64_e32 v[86:87], v[46:47], v[22:23]
	v_fmac_f64_e32 v[86:87], 0x80000000, v[24:25]
	;; [unrolled: 1-line block ×28, first 2 shown]
	s_andn2_b64 exec, exec, s[12:13]
	s_cbranch_execnz .LBB146_21
; %bb.22:
	s_or_b64 exec, exec, s[12:13]
.LBB146_23:
	s_or_b64 exec, exec, s[10:11]
.LBB146_24:
	s_or_b64 exec, exec, s[6:7]
	s_cbranch_execz .LBB146_26
	s_branch .LBB146_37
.LBB146_25:
                                        ; implicit-def: $vgpr90_vgpr91
                                        ; implicit-def: $vgpr94_vgpr95
                                        ; implicit-def: $vgpr88_vgpr89
                                        ; implicit-def: $vgpr92_vgpr93
                                        ; implicit-def: $vgpr84_vgpr85
                                        ; implicit-def: $vgpr86_vgpr87
                                        ; implicit-def: $vgpr82_vgpr83
                                        ; implicit-def: $vgpr78_vgpr79
.LBB146_26:
	v_mov_b64_e32 v[90:91], 0
	v_mov_b64_e32 v[94:95], 0
	v_mov_b64_e32 v[88:89], 0
	v_mov_b64_e32 v[92:93], 0
	v_mov_b64_e32 v[84:85], 0
	v_mov_b64_e32 v[86:87], 0
	v_mov_b64_e32 v[82:83], 0
	v_mov_b64_e32 v[78:79], 0
	s_and_saveexec_b64 s[6:7], s[2:3]
	s_cbranch_execz .LBB146_36
; %bb.27:
	v_or_b32_e32 v1, 8, v0
	v_sub_co_u32_e32 v10, vcc, v1, v72
	v_not_b32_e32 v13, v27
	s_nop 0
	v_subb_co_u32_e32 v11, vcc, 0, v73, vcc
	v_lshl_add_u64 v[10:11], v[10:11], 0, v[26:27]
	v_cmp_gt_i64_e32 vcc, v[10:11], v[76:77]
	v_not_b32_e32 v12, v26
	v_mov_b64_e32 v[78:79], 0
	v_cndmask_b32_e32 v11, v77, v11, vcc
	v_cndmask_b32_e32 v10, v76, v10, vcc
	v_sub_co_u32_e32 v14, vcc, v72, v0
	v_mov_b64_e32 v[82:83], 0
	s_nop 0
	v_subbrev_co_u32_e32 v15, vcc, 0, v73, vcc
	v_lshl_add_u64 v[12:13], v[14:15], 0, v[12:13]
	v_lshl_add_u64 v[10:11], v[12:13], 0, v[10:11]
	v_and_b32_e32 v12, 24, v10
	v_mov_b32_e32 v13, 0
	v_cmp_ne_u64_e32 vcc, 24, v[12:13]
	v_mov_b64_e32 v[86:87], 0
	v_mov_b64_e32 v[84:85], 0
	;; [unrolled: 1-line block ×6, first 2 shown]
	s_and_saveexec_b64 s[2:3], vcc
	s_cbranch_execz .LBB146_31
; %bb.28:
	v_lshrrev_b32_e32 v1, 3, v10
	v_add_u32_e32 v1, 1, v1
	v_and_b32_e32 v1, 3, v1
	v_sub_co_u32_e32 v14, vcc, 0, v1
	v_lshl_add_u64 v[12:13], v[74:75], 3, s[8:9]
	s_nop 0
	v_subb_co_u32_e64 v15, s[12:13], 0, 0, vcc
	s_mov_b64 s[10:11], 0
	v_mov_b64_e32 v[90:91], 0
	s_mov_b64 s[12:13], 0x400
	v_mov_b64_e32 v[94:95], 0
	v_mov_b64_e32 v[88:89], 0
	;; [unrolled: 1-line block ×7, first 2 shown]
.LBB146_29:                             ; =>This Inner Loop Header: Depth=1
	global_load_dwordx2 v[44:45], v[12:13], off
	global_load_dwordx4 v[16:19], v[80:81], off offset:48
	global_load_dwordx4 v[20:23], v[80:81], off offset:32
	;; [unrolled: 1-line block ×3, first 2 shown]
	global_load_dwordx4 v[28:31], v[80:81], off
	global_load_dwordx4 v[32:35], v[80:81], off offset:96
	global_load_dwordx4 v[36:39], v[80:81], off offset:80
	;; [unrolled: 1-line block ×3, first 2 shown]
	v_lshl_add_u64 v[14:15], v[14:15], 0, 1
	v_lshl_add_u64 v[74:75], v[74:75], 0, 8
	;; [unrolled: 1-line block ×3, first 2 shown]
	s_waitcnt vmcnt(7)
	v_sub_co_u32_e32 v44, vcc, v44, v72
	s_nop 1
	v_subb_co_u32_e32 v45, vcc, v45, v73, vcc
	v_lshlrev_b64 v[44:45], 6, v[44:45]
	v_lshl_add_u64 v[64:65], s[4:5], 0, v[44:45]
	global_load_dwordx4 v[44:47], v[64:65], off
	global_load_dwordx4 v[48:51], v[64:65], off offset:16
	global_load_dwordx4 v[52:55], v[64:65], off offset:32
	;; [unrolled: 1-line block ×4, first 2 shown]
	v_cmp_eq_u64_e32 vcc, 0, v[14:15]
	v_lshl_add_u64 v[80:81], v[80:81], 0, s[12:13]
	s_or_b64 s[10:11], vcc, s[10:11]
	s_waitcnt vmcnt(4)
	v_fmac_f64_e32 v[94:95], v[28:29], v[44:45]
	v_fmac_f64_e32 v[90:91], 0, v[44:45]
	v_fmac_f64_e32 v[92:93], v[30:31], v[44:45]
	v_fmac_f64_e32 v[88:89], 0, v[44:45]
	v_fmac_f64_e32 v[86:87], v[24:25], v[44:45]
	v_fmac_f64_e32 v[84:85], 0, v[44:45]
	v_fmac_f64_e32 v[78:79], v[26:27], v[44:45]
	v_fmac_f64_e32 v[82:83], 0, v[44:45]
	v_fmac_f64_e32 v[94:95], 0x80000000, v[46:47]
	v_fmac_f64_e32 v[90:91], v[28:29], v[46:47]
	v_fmac_f64_e32 v[92:93], 0x80000000, v[46:47]
	v_fmac_f64_e32 v[88:89], v[30:31], v[46:47]
	v_fmac_f64_e32 v[86:87], 0x80000000, v[46:47]
	v_fmac_f64_e32 v[84:85], v[24:25], v[46:47]
	v_fmac_f64_e32 v[78:79], 0x80000000, v[46:47]
	v_fmac_f64_e32 v[82:83], v[26:27], v[46:47]
	s_waitcnt vmcnt(3)
	v_fmac_f64_e32 v[94:95], v[20:21], v[48:49]
	v_fmac_f64_e32 v[90:91], 0, v[48:49]
	v_fmac_f64_e32 v[92:93], v[22:23], v[48:49]
	v_fmac_f64_e32 v[88:89], 0, v[48:49]
	v_fmac_f64_e32 v[86:87], v[16:17], v[48:49]
	v_fmac_f64_e32 v[84:85], 0, v[48:49]
	v_fmac_f64_e32 v[78:79], v[18:19], v[48:49]
	v_fmac_f64_e32 v[82:83], 0, v[48:49]
	v_fmac_f64_e32 v[94:95], 0x80000000, v[50:51]
	v_fmac_f64_e32 v[90:91], v[20:21], v[50:51]
	v_fmac_f64_e32 v[92:93], 0x80000000, v[50:51]
	v_fmac_f64_e32 v[88:89], v[22:23], v[50:51]
	v_fmac_f64_e32 v[86:87], 0x80000000, v[50:51]
	v_fmac_f64_e32 v[84:85], v[16:17], v[50:51]
	v_fmac_f64_e32 v[78:79], 0x80000000, v[50:51]
	v_fmac_f64_e32 v[82:83], v[18:19], v[50:51]
	;; [unrolled: 17-line block ×3, first 2 shown]
	s_waitcnt vmcnt(1)
	v_fmac_f64_e32 v[94:95], v[32:33], v[56:57]
	v_fmac_f64_e32 v[90:91], 0, v[56:57]
	;; [unrolled: 1-line block ×4, first 2 shown]
	s_waitcnt vmcnt(0)
	v_fmac_f64_e32 v[86:87], v[60:61], v[56:57]
	v_fmac_f64_e32 v[84:85], 0, v[56:57]
	;; [unrolled: 1-line block ×12, first 2 shown]
	s_andn2_b64 exec, exec, s[10:11]
	s_cbranch_execnz .LBB146_29
; %bb.30:
	s_or_b64 exec, exec, s[10:11]
.LBB146_31:
	s_or_b64 exec, exec, s[2:3]
	v_cmp_lt_u64_e32 vcc, 23, v[10:11]
	s_and_saveexec_b64 s[2:3], vcc
	s_cbranch_execz .LBB146_35
; %bb.32:
	v_lshl_add_u64 v[10:11], v[74:75], 3, s[8:9]
	s_mov_b64 s[8:9], 0x80
	v_lshl_add_u64 v[96:97], v[10:11], 0, s[8:9]
	s_mov_b64 s[8:9], 0
	s_mov_b64 s[10:11], 0x1000
	s_mov_b64 s[12:13], 0x100
.LBB146_33:                             ; =>This Inner Loop Header: Depth=1
	global_load_dwordx2 v[58:59], v[96:97], off offset:-128
	global_load_dwordx4 v[10:13], v[80:81], off offset:48
	global_load_dwordx4 v[22:25], v[80:81], off offset:32
	global_load_dwordx4 v[34:37], v[80:81], off offset:16
	global_load_dwordx4 v[62:65], v[80:81], off
	global_load_dwordx4 v[26:29], v[80:81], off offset:112
	global_load_dwordx4 v[38:41], v[80:81], off offset:96
	;; [unrolled: 1-line block ×9, first 2 shown]
	v_lshl_add_u64 v[74:75], v[74:75], 0, 32
	s_waitcnt vmcnt(13)
	v_sub_co_u32_e32 v58, vcc, v58, v72
	s_nop 1
	v_subb_co_u32_e32 v59, vcc, v59, v73, vcc
	v_lshlrev_b64 v[58:59], 6, v[58:59]
	v_lshl_add_u64 v[100:101], s[4:5], 0, v[58:59]
	global_load_dwordx4 v[58:61], v[100:101], off
	global_load_dwordx2 v[108:109], v[96:97], off offset:-64
	global_load_dwordx2 v[102:103], v[96:97], off
	global_load_dwordx4 v[66:69], v[80:81], off offset:1120
	global_load_dwordx2 v[98:99], v[96:97], off offset:64
	v_lshl_add_u64 v[96:97], v[96:97], 0, s[12:13]
	global_load_dwordx4 v[104:107], v[80:81], off offset:1088
	s_waitcnt vmcnt(5)
	v_fmac_f64_e32 v[84:85], 0, v[58:59]
	v_fmac_f64_e32 v[82:83], 0, v[58:59]
	;; [unrolled: 1-line block ×6, first 2 shown]
	global_load_dwordx4 v[34:37], v[100:101], off offset:16
	v_fmac_f64_e32 v[86:87], 0x80000000, v[60:61]
	v_fmac_f64_e32 v[78:79], 0x80000000, v[60:61]
	;; [unrolled: 1-line block ×10, first 2 shown]
	global_load_dwordx4 v[62:65], v[80:81], off offset:2080
	global_load_dwordx4 v[58:61], v[80:81], off offset:2096
	s_waitcnt vmcnt(2)
	v_fmac_f64_e32 v[84:85], 0, v[34:35]
	v_fmac_f64_e32 v[82:83], 0, v[34:35]
	;; [unrolled: 1-line block ×6, first 2 shown]
	global_load_dwordx4 v[10:13], v[100:101], off offset:32
	v_fmac_f64_e32 v[94:95], v[22:23], v[34:35]
	v_fmac_f64_e32 v[90:91], 0, v[34:35]
	v_fmac_f64_e32 v[92:93], v[24:25], v[34:35]
	v_fmac_f64_e32 v[88:89], 0, v[34:35]
	v_fmac_f64_e32 v[90:91], v[22:23], v[36:37]
	v_fmac_f64_e32 v[88:89], v[24:25], v[36:37]
	v_fmac_f64_e32 v[94:95], 0x80000000, v[36:37]
	v_fmac_f64_e32 v[92:93], 0x80000000, v[36:37]
	v_fmac_f64_e32 v[86:87], 0x80000000, v[36:37]
	v_fmac_f64_e32 v[78:79], 0x80000000, v[36:37]
	global_load_dwordx4 v[22:25], v[80:81], off offset:1104
	global_load_dwordx4 v[34:37], v[80:81], off offset:2064
	s_waitcnt vmcnt(2)
	v_fmac_f64_e32 v[94:95], v[50:51], v[10:11]
	v_fmac_f64_e32 v[90:91], 0, v[10:11]
	;; [unrolled: 1-line block ×16, first 2 shown]
	global_load_dwordx4 v[10:13], v[100:101], off offset:48
	v_sub_co_u32_e32 v46, vcc, v108, v72
	global_load_dwordx4 v[50:53], v[80:81], off offset:2128
	s_nop 0
	v_subb_co_u32_e32 v47, vcc, v109, v73, vcc
	s_waitcnt vmcnt(1)
	v_fmac_f64_e32 v[94:95], v[38:39], v[10:11]
	v_fmac_f64_e32 v[90:91], 0, v[10:11]
	;; [unrolled: 1-line block ×8, first 2 shown]
	v_lshlrev_b64 v[10:11], 6, v[46:47]
	v_lshl_add_u64 v[100:101], s[4:5], 0, v[10:11]
	v_fmac_f64_e32 v[84:85], v[26:27], v[12:13]
	v_fmac_f64_e32 v[82:83], v[28:29], v[12:13]
	global_load_dwordx4 v[26:29], v[100:101], off
	v_fmac_f64_e32 v[90:91], v[38:39], v[12:13]
	v_fmac_f64_e32 v[88:89], v[40:41], v[12:13]
	;; [unrolled: 1-line block ×6, first 2 shown]
	global_load_dwordx4 v[38:41], v[80:81], off offset:2048
	global_load_dwordx4 v[10:13], v[80:81], off offset:2160
	;; [unrolled: 1-line block ×3, first 2 shown]
	s_waitcnt vmcnt(3)
	v_fmac_f64_e32 v[94:95], v[54:55], v[26:27]
	v_fmac_f64_e32 v[90:91], 0, v[26:27]
	;; [unrolled: 1-line block ×16, first 2 shown]
	global_load_dwordx4 v[26:29], v[100:101], off offset:16
	global_load_dwordx4 v[54:57], v[80:81], off offset:2112
	s_waitcnt vmcnt(1)
	v_fmac_f64_e32 v[94:95], v[30:31], v[26:27]
	v_fmac_f64_e32 v[90:91], 0, v[26:27]
	;; [unrolled: 1-line block ×16, first 2 shown]
	global_load_dwordx4 v[26:29], v[100:101], off offset:32
	global_load_dwordx4 v[30:33], v[100:101], off offset:48
	;; [unrolled: 1-line block ×3, first 2 shown]
	s_waitcnt vmcnt(2)
	v_fmac_f64_e32 v[94:95], v[104:105], v[26:27]
	v_fmac_f64_e32 v[90:91], 0, v[26:27]
	;; [unrolled: 1-line block ×16, first 2 shown]
	s_waitcnt vmcnt(1)
	v_fmac_f64_e32 v[94:95], v[66:67], v[30:31]
	v_fmac_f64_e32 v[90:91], 0, v[30:31]
	;; [unrolled: 1-line block ×8, first 2 shown]
	v_sub_co_u32_e32 v30, vcc, v102, v72
	v_fmac_f64_e32 v[90:91], v[66:67], v[32:33]
	s_nop 0
	v_subb_co_u32_e32 v31, vcc, v103, v73, vcc
	v_lshlrev_b64 v[30:31], 6, v[30:31]
	v_lshl_add_u64 v[100:101], s[4:5], 0, v[30:31]
	global_load_dwordx4 v[42:45], v[100:101], off
	v_fmac_f64_e32 v[88:89], v[68:69], v[32:33]
	global_load_dwordx4 v[66:69], v[100:101], off offset:16
	v_fmac_f64_e32 v[84:85], v[14:15], v[32:33]
	v_fmac_f64_e32 v[82:83], v[16:17], v[32:33]
	;; [unrolled: 1-line block ×6, first 2 shown]
	global_load_dwordx4 v[22:25], v[80:81], off offset:3104
	global_load_dwordx4 v[26:29], v[80:81], off offset:3088
	;; [unrolled: 1-line block ×4, first 2 shown]
	s_waitcnt vmcnt(5)
	v_fmac_f64_e32 v[94:95], v[38:39], v[42:43]
	v_fmac_f64_e32 v[90:91], 0, v[42:43]
	;; [unrolled: 1-line block ×16, first 2 shown]
	s_waitcnt vmcnt(4)
	v_fmac_f64_e32 v[94:95], v[62:63], v[66:67]
	v_fmac_f64_e32 v[90:91], 0, v[66:67]
	;; [unrolled: 1-line block ×8, first 2 shown]
	global_load_dwordx4 v[34:37], v[80:81], off offset:3168
	global_load_dwordx4 v[38:41], v[80:81], off offset:3152
	v_fmac_f64_e32 v[90:91], v[62:63], v[68:69]
	v_fmac_f64_e32 v[88:89], v[64:65], v[68:69]
	;; [unrolled: 1-line block ×4, first 2 shown]
	global_load_dwordx4 v[42:45], v[80:81], off offset:3136
	v_fmac_f64_e32 v[94:95], 0x80000000, v[68:69]
	v_fmac_f64_e32 v[92:93], 0x80000000, v[68:69]
	;; [unrolled: 1-line block ×4, first 2 shown]
	global_load_dwordx4 v[66:69], v[100:101], off offset:32
	global_load_dwordx4 v[62:65], v[100:101], off offset:48
	v_sub_co_u32_e32 v58, vcc, v98, v72
	v_lshl_add_u64 v[80:81], v[80:81], 0, s[10:11]
	s_nop 0
	v_subb_co_u32_e32 v59, vcc, v99, v73, vcc
	v_lshlrev_b64 v[58:59], 6, v[58:59]
	v_lshl_add_u64 v[98:99], s[4:5], 0, v[58:59]
	global_load_dwordx4 v[58:61], v[98:99], off
	v_cmp_ge_i64_e32 vcc, v[74:75], v[76:77]
	s_or_b64 s[8:9], vcc, s[8:9]
	s_waitcnt vmcnt(2)
	v_fmac_f64_e32 v[90:91], 0, v[66:67]
	v_fmac_f64_e32 v[88:89], 0, v[66:67]
	;; [unrolled: 1-line block ×6, first 2 shown]
	global_load_dwordx4 v[54:57], v[98:99], off offset:16
	v_fmac_f64_e32 v[84:85], 0, v[66:67]
	v_fmac_f64_e32 v[82:83], 0, v[66:67]
	;; [unrolled: 1-line block ×6, first 2 shown]
	global_load_dwordx4 v[50:53], v[98:99], off offset:32
	v_fmac_f64_e32 v[94:95], 0x80000000, v[68:69]
	v_fmac_f64_e32 v[92:93], 0x80000000, v[68:69]
	s_waitcnt vmcnt(3)
	v_fmac_f64_e32 v[90:91], 0, v[62:63]
	v_fmac_f64_e32 v[88:89], 0, v[62:63]
	;; [unrolled: 1-line block ×6, first 2 shown]
	global_load_dwordx4 v[46:49], v[98:99], off offset:48
	v_fmac_f64_e32 v[86:87], 0x80000000, v[68:69]
	v_fmac_f64_e32 v[78:79], 0x80000000, v[68:69]
	v_fmac_f64_e32 v[86:87], v[10:11], v[62:63]
	v_fmac_f64_e32 v[84:85], 0, v[62:63]
	v_fmac_f64_e32 v[78:79], v[12:13], v[62:63]
	v_fmac_f64_e32 v[82:83], 0, v[62:63]
	v_fmac_f64_e32 v[94:95], 0x80000000, v[64:65]
	v_fmac_f64_e32 v[92:93], 0x80000000, v[64:65]
	v_fmac_f64_e32 v[86:87], 0x80000000, v[64:65]
	v_fmac_f64_e32 v[84:85], v[10:11], v[64:65]
	v_fmac_f64_e32 v[78:79], 0x80000000, v[64:65]
	v_fmac_f64_e32 v[82:83], v[12:13], v[64:65]
	s_waitcnt vmcnt(3)
	v_fmac_f64_e32 v[94:95], v[14:15], v[58:59]
	v_fmac_f64_e32 v[90:91], 0, v[58:59]
	v_fmac_f64_e32 v[92:93], v[16:17], v[58:59]
	v_fmac_f64_e32 v[88:89], 0, v[58:59]
	v_fmac_f64_e32 v[86:87], v[26:27], v[58:59]
	v_fmac_f64_e32 v[84:85], 0, v[58:59]
	v_fmac_f64_e32 v[78:79], v[28:29], v[58:59]
	v_fmac_f64_e32 v[82:83], 0, v[58:59]
	v_fmac_f64_e32 v[94:95], 0x80000000, v[60:61]
	v_fmac_f64_e32 v[90:91], v[14:15], v[60:61]
	v_fmac_f64_e32 v[92:93], 0x80000000, v[60:61]
	v_fmac_f64_e32 v[88:89], v[16:17], v[60:61]
	v_fmac_f64_e32 v[86:87], 0x80000000, v[60:61]
	v_fmac_f64_e32 v[84:85], v[26:27], v[60:61]
	v_fmac_f64_e32 v[78:79], 0x80000000, v[60:61]
	v_fmac_f64_e32 v[82:83], v[28:29], v[60:61]
	s_waitcnt vmcnt(2)
	v_fmac_f64_e32 v[94:95], v[22:23], v[54:55]
	v_fmac_f64_e32 v[90:91], 0, v[54:55]
	v_fmac_f64_e32 v[92:93], v[24:25], v[54:55]
	v_fmac_f64_e32 v[88:89], 0, v[54:55]
	;; [unrolled: 17-line block ×4, first 2 shown]
	v_fmac_f64_e32 v[86:87], v[30:31], v[46:47]
	v_fmac_f64_e32 v[84:85], 0, v[46:47]
	;; [unrolled: 1-line block ×12, first 2 shown]
	s_andn2_b64 exec, exec, s[8:9]
	s_cbranch_execnz .LBB146_33
; %bb.34:
	s_or_b64 exec, exec, s[8:9]
.LBB146_35:
	s_or_b64 exec, exec, s[2:3]
.LBB146_36:
	s_or_b64 exec, exec, s[6:7]
.LBB146_37:
	v_mov_b32_dpp v10, v94 row_shr:1 row_mask:0xf bank_mask:0xf
	v_mov_b32_dpp v11, v95 row_shr:1 row_mask:0xf bank_mask:0xf
	;; [unrolled: 1-line block ×16, first 2 shown]
	v_add_f64 v[10:11], v[94:95], v[10:11]
	v_add_f64 v[14:15], v[90:91], v[14:15]
	;; [unrolled: 1-line block ×8, first 2 shown]
	v_mov_b32_dpp v12, v10 row_shr:2 row_mask:0xf bank_mask:0xf
	v_mov_b32_dpp v13, v11 row_shr:2 row_mask:0xf bank_mask:0xf
	;; [unrolled: 1-line block ×16, first 2 shown]
	v_add_f64 v[10:11], v[10:11], v[12:13]
	v_add_f64 v[14:15], v[14:15], v[16:17]
	;; [unrolled: 1-line block ×8, first 2 shown]
	v_mov_b32_dpp v12, v10 row_shr:4 row_mask:0xf bank_mask:0xe
	v_mov_b32_dpp v13, v11 row_shr:4 row_mask:0xf bank_mask:0xe
	;; [unrolled: 1-line block ×16, first 2 shown]
	v_cmp_eq_u32_e32 vcc, 7, v0
	s_and_b64 exec, exec, vcc
	s_cbranch_execz .LBB146_8
; %bb.38:
	s_load_dwordx2 s[2:3], s[0:1], 0x68
	v_add_f64 v[0:1], v[10:11], v[12:13]
	v_add_f64 v[10:11], v[14:15], v[16:17]
	;; [unrolled: 1-line block ×8, first 2 shown]
	v_cmp_eq_f64_e32 vcc, 0, v[2:3]
	v_cmp_eq_f64_e64 s[0:1], 0, v[4:5]
	v_mul_f64 v[22:23], v[10:11], -v[8:9]
	v_mul_f64 v[24:25], v[6:7], v[10:11]
	v_mul_f64 v[18:19], v[12:13], -v[8:9]
	v_mul_f64 v[20:21], v[6:7], v[12:13]
	;; [unrolled: 2-line block ×4, first 2 shown]
	s_and_b64 s[0:1], vcc, s[0:1]
	v_fmac_f64_e32 v[22:23], v[6:7], v[0:1]
	v_fmac_f64_e32 v[24:25], v[8:9], v[0:1]
	v_lshlrev_b64 v[0:1], 6, v[70:71]
	v_fmac_f64_e32 v[18:19], v[6:7], v[42:43]
	v_fmac_f64_e32 v[20:21], v[8:9], v[42:43]
	;; [unrolled: 1-line block ×6, first 2 shown]
	s_and_saveexec_b64 s[4:5], s[0:1]
	s_xor_b64 s[0:1], exec, s[4:5]
	s_cbranch_execz .LBB146_40
; %bb.39:
	s_waitcnt lgkmcnt(0)
	v_lshl_add_u64 v[0:1], s[2:3], 0, v[0:1]
	global_store_dwordx4 v[0:1], v[22:25], off
	global_store_dwordx4 v[0:1], v[18:21], off offset:16
	global_store_dwordx4 v[0:1], v[14:17], off offset:32
	;; [unrolled: 1-line block ×3, first 2 shown]
                                        ; implicit-def: $vgpr4_vgpr5
                                        ; implicit-def: $vgpr22_vgpr23
                                        ; implicit-def: $vgpr0_vgpr1
                                        ; implicit-def: $vgpr18_vgpr19
                                        ; implicit-def: $vgpr14_vgpr15
                                        ; implicit-def: $vgpr10_vgpr11
.LBB146_40:
	s_andn2_saveexec_b64 s[0:1], s[0:1]
	s_cbranch_execz .LBB146_8
; %bb.41:
	s_waitcnt lgkmcnt(0)
	v_lshl_add_u64 v[0:1], s[2:3], 0, v[0:1]
	global_load_dwordx4 v[6:9], v[0:1], off
	global_load_dwordx4 v[26:29], v[0:1], off offset:16
	global_load_dwordx4 v[30:33], v[0:1], off offset:32
	;; [unrolled: 1-line block ×3, first 2 shown]
	s_waitcnt vmcnt(3)
	v_fmac_f64_e32 v[22:23], v[2:3], v[6:7]
	v_fmac_f64_e32 v[24:25], v[4:5], v[6:7]
	s_waitcnt vmcnt(2)
	v_fmac_f64_e32 v[18:19], v[2:3], v[26:27]
	v_fmac_f64_e32 v[20:21], v[4:5], v[26:27]
	;; [unrolled: 3-line block ×4, first 2 shown]
	v_fma_f64 v[22:23], -v[4:5], v[8:9], v[22:23]
	v_fmac_f64_e32 v[24:25], v[2:3], v[8:9]
	v_fma_f64 v[18:19], -v[4:5], v[28:29], v[18:19]
	v_fmac_f64_e32 v[20:21], v[2:3], v[28:29]
	;; [unrolled: 2-line block ×4, first 2 shown]
	global_store_dwordx4 v[0:1], v[22:25], off
	global_store_dwordx4 v[0:1], v[18:21], off offset:16
	global_store_dwordx4 v[0:1], v[14:17], off offset:32
	;; [unrolled: 1-line block ×3, first 2 shown]
	s_endpgm
	.section	.rodata,"a",@progbits
	.p2align	6, 0x0
	.amdhsa_kernel _ZN9rocsparseL18bsrxmvn_4x4_kernelILj128ELj8E21rocsparse_complex_numIdElldS2_S2_EEvT3_20rocsparse_direction_NS_24const_host_device_scalarIT1_EES3_PKS3_PKT2_SC_S9_PKT4_PKT5_S7_PT6_21rocsparse_index_base_b
		.amdhsa_group_segment_fixed_size 0
		.amdhsa_private_segment_fixed_size 0
		.amdhsa_kernarg_size 120
		.amdhsa_user_sgpr_count 2
		.amdhsa_user_sgpr_dispatch_ptr 0
		.amdhsa_user_sgpr_queue_ptr 0
		.amdhsa_user_sgpr_kernarg_segment_ptr 1
		.amdhsa_user_sgpr_dispatch_id 0
		.amdhsa_user_sgpr_kernarg_preload_length 0
		.amdhsa_user_sgpr_kernarg_preload_offset 0
		.amdhsa_user_sgpr_private_segment_size 0
		.amdhsa_uses_dynamic_stack 0
		.amdhsa_enable_private_segment 0
		.amdhsa_system_sgpr_workgroup_id_x 1
		.amdhsa_system_sgpr_workgroup_id_y 0
		.amdhsa_system_sgpr_workgroup_id_z 0
		.amdhsa_system_sgpr_workgroup_info 0
		.amdhsa_system_vgpr_workitem_id 0
		.amdhsa_next_free_vgpr 110
		.amdhsa_next_free_sgpr 18
		.amdhsa_accum_offset 112
		.amdhsa_reserve_vcc 1
		.amdhsa_float_round_mode_32 0
		.amdhsa_float_round_mode_16_64 0
		.amdhsa_float_denorm_mode_32 3
		.amdhsa_float_denorm_mode_16_64 3
		.amdhsa_dx10_clamp 1
		.amdhsa_ieee_mode 1
		.amdhsa_fp16_overflow 0
		.amdhsa_tg_split 0
		.amdhsa_exception_fp_ieee_invalid_op 0
		.amdhsa_exception_fp_denorm_src 0
		.amdhsa_exception_fp_ieee_div_zero 0
		.amdhsa_exception_fp_ieee_overflow 0
		.amdhsa_exception_fp_ieee_underflow 0
		.amdhsa_exception_fp_ieee_inexact 0
		.amdhsa_exception_int_div_zero 0
	.end_amdhsa_kernel
	.section	.text._ZN9rocsparseL18bsrxmvn_4x4_kernelILj128ELj8E21rocsparse_complex_numIdElldS2_S2_EEvT3_20rocsparse_direction_NS_24const_host_device_scalarIT1_EES3_PKS3_PKT2_SC_S9_PKT4_PKT5_S7_PT6_21rocsparse_index_base_b,"axG",@progbits,_ZN9rocsparseL18bsrxmvn_4x4_kernelILj128ELj8E21rocsparse_complex_numIdElldS2_S2_EEvT3_20rocsparse_direction_NS_24const_host_device_scalarIT1_EES3_PKS3_PKT2_SC_S9_PKT4_PKT5_S7_PT6_21rocsparse_index_base_b,comdat
.Lfunc_end146:
	.size	_ZN9rocsparseL18bsrxmvn_4x4_kernelILj128ELj8E21rocsparse_complex_numIdElldS2_S2_EEvT3_20rocsparse_direction_NS_24const_host_device_scalarIT1_EES3_PKS3_PKT2_SC_S9_PKT4_PKT5_S7_PT6_21rocsparse_index_base_b, .Lfunc_end146-_ZN9rocsparseL18bsrxmvn_4x4_kernelILj128ELj8E21rocsparse_complex_numIdElldS2_S2_EEvT3_20rocsparse_direction_NS_24const_host_device_scalarIT1_EES3_PKS3_PKT2_SC_S9_PKT4_PKT5_S7_PT6_21rocsparse_index_base_b
                                        ; -- End function
	.set _ZN9rocsparseL18bsrxmvn_4x4_kernelILj128ELj8E21rocsparse_complex_numIdElldS2_S2_EEvT3_20rocsparse_direction_NS_24const_host_device_scalarIT1_EES3_PKS3_PKT2_SC_S9_PKT4_PKT5_S7_PT6_21rocsparse_index_base_b.num_vgpr, 110
	.set _ZN9rocsparseL18bsrxmvn_4x4_kernelILj128ELj8E21rocsparse_complex_numIdElldS2_S2_EEvT3_20rocsparse_direction_NS_24const_host_device_scalarIT1_EES3_PKS3_PKT2_SC_S9_PKT4_PKT5_S7_PT6_21rocsparse_index_base_b.num_agpr, 0
	.set _ZN9rocsparseL18bsrxmvn_4x4_kernelILj128ELj8E21rocsparse_complex_numIdElldS2_S2_EEvT3_20rocsparse_direction_NS_24const_host_device_scalarIT1_EES3_PKS3_PKT2_SC_S9_PKT4_PKT5_S7_PT6_21rocsparse_index_base_b.numbered_sgpr, 18
	.set _ZN9rocsparseL18bsrxmvn_4x4_kernelILj128ELj8E21rocsparse_complex_numIdElldS2_S2_EEvT3_20rocsparse_direction_NS_24const_host_device_scalarIT1_EES3_PKS3_PKT2_SC_S9_PKT4_PKT5_S7_PT6_21rocsparse_index_base_b.num_named_barrier, 0
	.set _ZN9rocsparseL18bsrxmvn_4x4_kernelILj128ELj8E21rocsparse_complex_numIdElldS2_S2_EEvT3_20rocsparse_direction_NS_24const_host_device_scalarIT1_EES3_PKS3_PKT2_SC_S9_PKT4_PKT5_S7_PT6_21rocsparse_index_base_b.private_seg_size, 0
	.set _ZN9rocsparseL18bsrxmvn_4x4_kernelILj128ELj8E21rocsparse_complex_numIdElldS2_S2_EEvT3_20rocsparse_direction_NS_24const_host_device_scalarIT1_EES3_PKS3_PKT2_SC_S9_PKT4_PKT5_S7_PT6_21rocsparse_index_base_b.uses_vcc, 1
	.set _ZN9rocsparseL18bsrxmvn_4x4_kernelILj128ELj8E21rocsparse_complex_numIdElldS2_S2_EEvT3_20rocsparse_direction_NS_24const_host_device_scalarIT1_EES3_PKS3_PKT2_SC_S9_PKT4_PKT5_S7_PT6_21rocsparse_index_base_b.uses_flat_scratch, 0
	.set _ZN9rocsparseL18bsrxmvn_4x4_kernelILj128ELj8E21rocsparse_complex_numIdElldS2_S2_EEvT3_20rocsparse_direction_NS_24const_host_device_scalarIT1_EES3_PKS3_PKT2_SC_S9_PKT4_PKT5_S7_PT6_21rocsparse_index_base_b.has_dyn_sized_stack, 0
	.set _ZN9rocsparseL18bsrxmvn_4x4_kernelILj128ELj8E21rocsparse_complex_numIdElldS2_S2_EEvT3_20rocsparse_direction_NS_24const_host_device_scalarIT1_EES3_PKS3_PKT2_SC_S9_PKT4_PKT5_S7_PT6_21rocsparse_index_base_b.has_recursion, 0
	.set _ZN9rocsparseL18bsrxmvn_4x4_kernelILj128ELj8E21rocsparse_complex_numIdElldS2_S2_EEvT3_20rocsparse_direction_NS_24const_host_device_scalarIT1_EES3_PKS3_PKT2_SC_S9_PKT4_PKT5_S7_PT6_21rocsparse_index_base_b.has_indirect_call, 0
	.section	.AMDGPU.csdata,"",@progbits
; Kernel info:
; codeLenInByte = 7008
; TotalNumSgprs: 24
; NumVgprs: 110
; NumAgprs: 0
; TotalNumVgprs: 110
; ScratchSize: 0
; MemoryBound: 0
; FloatMode: 240
; IeeeMode: 1
; LDSByteSize: 0 bytes/workgroup (compile time only)
; SGPRBlocks: 2
; VGPRBlocks: 13
; NumSGPRsForWavesPerEU: 24
; NumVGPRsForWavesPerEU: 110
; AccumOffset: 112
; Occupancy: 4
; WaveLimiterHint : 1
; COMPUTE_PGM_RSRC2:SCRATCH_EN: 0
; COMPUTE_PGM_RSRC2:USER_SGPR: 2
; COMPUTE_PGM_RSRC2:TRAP_HANDLER: 0
; COMPUTE_PGM_RSRC2:TGID_X_EN: 1
; COMPUTE_PGM_RSRC2:TGID_Y_EN: 0
; COMPUTE_PGM_RSRC2:TGID_Z_EN: 0
; COMPUTE_PGM_RSRC2:TIDIG_COMP_CNT: 0
; COMPUTE_PGM_RSRC3_GFX90A:ACCUM_OFFSET: 27
; COMPUTE_PGM_RSRC3_GFX90A:TG_SPLIT: 0
	.section	.text._ZN9rocsparseL18bsrxmvn_4x4_kernelILj128ELj16E21rocsparse_complex_numIdElldS2_S2_EEvT3_20rocsparse_direction_NS_24const_host_device_scalarIT1_EES3_PKS3_PKT2_SC_S9_PKT4_PKT5_S7_PT6_21rocsparse_index_base_b,"axG",@progbits,_ZN9rocsparseL18bsrxmvn_4x4_kernelILj128ELj16E21rocsparse_complex_numIdElldS2_S2_EEvT3_20rocsparse_direction_NS_24const_host_device_scalarIT1_EES3_PKS3_PKT2_SC_S9_PKT4_PKT5_S7_PT6_21rocsparse_index_base_b,comdat
	.globl	_ZN9rocsparseL18bsrxmvn_4x4_kernelILj128ELj16E21rocsparse_complex_numIdElldS2_S2_EEvT3_20rocsparse_direction_NS_24const_host_device_scalarIT1_EES3_PKS3_PKT2_SC_S9_PKT4_PKT5_S7_PT6_21rocsparse_index_base_b ; -- Begin function _ZN9rocsparseL18bsrxmvn_4x4_kernelILj128ELj16E21rocsparse_complex_numIdElldS2_S2_EEvT3_20rocsparse_direction_NS_24const_host_device_scalarIT1_EES3_PKS3_PKT2_SC_S9_PKT4_PKT5_S7_PT6_21rocsparse_index_base_b
	.p2align	8
	.type	_ZN9rocsparseL18bsrxmvn_4x4_kernelILj128ELj16E21rocsparse_complex_numIdElldS2_S2_EEvT3_20rocsparse_direction_NS_24const_host_device_scalarIT1_EES3_PKS3_PKT2_SC_S9_PKT4_PKT5_S7_PT6_21rocsparse_index_base_b,@function
_ZN9rocsparseL18bsrxmvn_4x4_kernelILj128ELj16E21rocsparse_complex_numIdElldS2_S2_EEvT3_20rocsparse_direction_NS_24const_host_device_scalarIT1_EES3_PKS3_PKT2_SC_S9_PKT4_PKT5_S7_PT6_21rocsparse_index_base_b: ; @_ZN9rocsparseL18bsrxmvn_4x4_kernelILj128ELj16E21rocsparse_complex_numIdElldS2_S2_EEvT3_20rocsparse_direction_NS_24const_host_device_scalarIT1_EES3_PKS3_PKT2_SC_S9_PKT4_PKT5_S7_PT6_21rocsparse_index_base_b
; %bb.0:
	s_load_dwordx2 s[4:5], s[0:1], 0x10
	s_load_dwordx2 s[6:7], s[0:1], 0x70
	s_add_u32 s3, s0, 16
	s_addc_u32 s10, s1, 0
	s_add_u32 s11, s0, 0x58
	s_load_dwordx2 s[8:9], s[0:1], 0x58
	s_addc_u32 s12, s1, 0
	s_waitcnt lgkmcnt(0)
	s_bitcmp1_b32 s7, 0
	s_cselect_b32 s5, s10, s5
	s_cselect_b32 s3, s3, s4
	v_mov_b32_e32 v2, s3
	v_mov_b32_e32 v3, s5
	flat_load_dwordx4 v[6:9], v[2:3]
	s_cselect_b32 s3, s12, s9
	s_cselect_b32 s4, s11, s8
	v_mov_b32_e32 v2, s4
	v_mov_b32_e32 v3, s3
	flat_load_dwordx4 v[2:5], v[2:3]
	s_waitcnt vmcnt(0) lgkmcnt(0)
	v_cmp_eq_f64_e32 vcc, 0, v[6:7]
	v_cmp_eq_f64_e64 s[4:5], 0, v[8:9]
	s_and_b64 s[10:11], vcc, s[4:5]
	s_mov_b64 s[4:5], -1
	s_and_saveexec_b64 s[8:9], s[10:11]
; %bb.1:
	v_cmp_neq_f64_e32 vcc, 1.0, v[2:3]
	v_cmp_neq_f64_e64 s[4:5], 0, v[4:5]
	s_or_b64 s[4:5], vcc, s[4:5]
	s_orn2_b64 s[4:5], s[4:5], exec
; %bb.2:
	s_or_b64 exec, exec, s[8:9]
	s_and_saveexec_b64 s[8:9], s[4:5]
	s_cbranch_execz .LBB147_8
; %bb.3:
	s_load_dwordx2 s[4:5], s[0:1], 0x28
	v_lshrrev_b32_e32 v1, 4, v0
	v_lshl_or_b32 v10, s2, 3, v1
	v_mov_b32_e32 v11, 0
	s_mov_b64 s[2:3], 0
	s_waitcnt lgkmcnt(0)
	s_cmp_lg_u64 s[4:5], 0
	s_cbranch_scc0 .LBB147_9
; %bb.4:
	s_load_dwordx2 s[8:9], s[0:1], 0x20
                                        ; implicit-def: $vgpr66_vgpr67
                                        ; implicit-def: $vgpr68_vgpr69
	s_waitcnt lgkmcnt(0)
	v_cmp_gt_i64_e32 vcc, s[8:9], v[10:11]
	s_and_saveexec_b64 s[8:9], vcc
	s_xor_b64 s[8:9], exec, s[8:9]
	s_cbranch_execz .LBB147_6
; %bb.5:
	v_lshl_add_u64 v[12:13], v[10:11], 3, s[4:5]
	global_load_dwordx2 v[12:13], v[12:13], off
	s_mov_b32 s7, 0
	s_mov_b64 s[2:3], exec
	v_mov_b64_e32 v[68:69], s[6:7]
	s_waitcnt vmcnt(0)
	v_subrev_co_u32_e32 v66, vcc, s6, v12
	s_nop 1
	v_subbrev_co_u32_e32 v67, vcc, 0, v13, vcc
.LBB147_6:
	s_or_b64 exec, exec, s[8:9]
.LBB147_7:
	s_and_b64 exec, exec, s[2:3]
	s_cbranch_execnz .LBB147_13
.LBB147_8:
	s_endpgm
.LBB147_9:
                                        ; implicit-def: $vgpr66_vgpr67
                                        ; implicit-def: $vgpr68_vgpr69
	s_cbranch_execz .LBB147_7
; %bb.10:
	s_load_dwordx2 s[4:5], s[0:1], 0x0
	s_waitcnt lgkmcnt(0)
	v_cmp_gt_i64_e32 vcc, s[4:5], v[10:11]
	s_and_saveexec_b64 s[4:5], vcc
; %bb.11:
	s_mov_b32 s7, 0
	s_or_b64 s[2:3], s[2:3], exec
; %bb.12:
	s_or_b64 exec, exec, s[4:5]
	v_mov_b64_e32 v[68:69], s[6:7]
	v_mov_b64_e32 v[66:67], v[10:11]
	s_and_b64 exec, exec, s[2:3]
	s_cbranch_execz .LBB147_8
.LBB147_13:
	s_load_dwordx8 s[4:11], s[0:1], 0x30
	v_lshlrev_b64 v[10:11], 3, v[66:67]
	v_and_b32_e32 v0, 15, v0
	v_mov_b32_e32 v1, 0
	s_waitcnt lgkmcnt(0)
	v_lshl_add_u64 v[12:13], s[4:5], 0, v[10:11]
	s_cmp_eq_u64 s[6:7], 0
	v_lshl_add_u64 v[10:11], s[6:7], 0, v[10:11]
	global_load_dwordx2 v[22:23], v[12:13], off
	v_lshl_add_u64 v[12:13], v[12:13], 0, 8
	s_cselect_b64 vcc, -1, 0
	v_cndmask_b32_e32 v11, v11, v13, vcc
	v_cndmask_b32_e32 v10, v10, v12, vcc
	global_load_dwordx2 v[10:11], v[10:11], off
	s_load_dword s2, s[0:1], 0x8
	s_load_dwordx2 s[4:5], s[0:1], 0x50
	s_waitcnt lgkmcnt(0)
	s_cmp_eq_u32 s2, 1
	s_waitcnt vmcnt(1)
	v_sub_co_u32_e32 v12, vcc, v22, v68
	s_nop 1
	v_subb_co_u32_e32 v13, vcc, v23, v69, vcc
	v_lshl_add_u64 v[74:75], v[12:13], 0, v[0:1]
	s_waitcnt vmcnt(0)
	v_sub_co_u32_e32 v78, vcc, v10, v68
	s_nop 1
	v_subb_co_u32_e32 v79, vcc, v11, v69, vcc
	v_lshlrev_b64 v[10:11], 7, v[74:75]
	v_lshl_add_u64 v[80:81], s[10:11], 0, v[10:11]
	v_cmp_lt_i64_e64 s[2:3], v[74:75], v[78:79]
	s_cbranch_scc1 .LBB147_25
; %bb.14:
	v_mov_b64_e32 v[86:87], 0
	v_mov_b64_e32 v[90:91], 0
	;; [unrolled: 1-line block ×8, first 2 shown]
	s_and_saveexec_b64 s[6:7], s[2:3]
	s_cbranch_execz .LBB147_24
; %bb.15:
	v_or_b32_e32 v1, 16, v0
	v_sub_co_u32_e32 v10, vcc, v1, v68
	v_not_b32_e32 v13, v23
	s_nop 0
	v_subb_co_u32_e32 v11, vcc, 0, v69, vcc
	v_lshl_add_u64 v[10:11], v[10:11], 0, v[22:23]
	v_cmp_gt_i64_e32 vcc, v[10:11], v[78:79]
	v_not_b32_e32 v12, v22
	v_mov_b64_e32 v[72:73], 0
	v_cndmask_b32_e32 v11, v79, v11, vcc
	v_cndmask_b32_e32 v10, v78, v10, vcc
	v_sub_co_u32_e32 v14, vcc, v68, v0
	v_mov_b64_e32 v[70:71], 0
	s_nop 0
	v_subbrev_co_u32_e32 v15, vcc, 0, v69, vcc
	v_lshl_add_u64 v[12:13], v[14:15], 0, v[12:13]
	v_lshl_add_u64 v[28:29], v[12:13], 0, v[10:11]
	v_and_b32_e32 v10, 48, v28
	v_mov_b32_e32 v11, 0
	v_cmp_ne_u64_e32 vcc, 48, v[10:11]
	v_mov_b64_e32 v[82:83], 0
	v_mov_b64_e32 v[76:77], 0
	;; [unrolled: 1-line block ×8, first 2 shown]
	s_and_saveexec_b64 s[10:11], vcc
	s_cbranch_execz .LBB147_19
; %bb.16:
	v_lshrrev_b32_e32 v1, 4, v28
	v_add_u32_e32 v1, 1, v1
	v_and_b32_e32 v1, 3, v1
	v_sub_co_u32_e32 v32, vcc, 0, v1
	v_lshl_add_u64 v[30:31], v[74:75], 3, s[8:9]
	s_nop 0
	v_subb_co_u32_e64 v33, s[14:15], 0, 0, vcc
	s_mov_b64 s[12:13], 0
	v_mov_b64_e32 v[86:87], 0
	s_mov_b64 s[14:15], 0x800
	s_mov_b64 s[16:17], 0x80
	v_mov_b64_e32 v[26:27], v[74:75]
	v_mov_b64_e32 v[24:25], v[80:81]
	;; [unrolled: 1-line block ×9, first 2 shown]
.LBB147_17:                             ; =>This Inner Loop Header: Depth=1
	global_load_dwordx2 v[54:55], v[30:31], off
	global_load_dwordx4 v[10:13], v[24:25], off offset:48
	global_load_dwordx4 v[18:21], v[24:25], off offset:32
	;; [unrolled: 1-line block ×3, first 2 shown]
	global_load_dwordx4 v[34:37], v[24:25], off
	global_load_dwordx4 v[38:41], v[24:25], off offset:112
	global_load_dwordx4 v[42:45], v[24:25], off offset:96
	;; [unrolled: 1-line block ×4, first 2 shown]
	v_lshl_add_u64 v[32:33], v[32:33], 0, 1
	v_lshl_add_u64 v[24:25], v[24:25], 0, s[14:15]
	;; [unrolled: 1-line block ×4, first 2 shown]
	s_waitcnt vmcnt(8)
	v_sub_co_u32_e32 v54, vcc, v54, v68
	s_nop 1
	v_subb_co_u32_e32 v55, vcc, v55, v69, vcc
	v_lshlrev_b64 v[54:55], 6, v[54:55]
	v_lshl_add_u64 v[96:97], s[4:5], 0, v[54:55]
	global_load_dwordx4 v[54:57], v[96:97], off
	global_load_dwordx4 v[58:61], v[96:97], off offset:16
	global_load_dwordx4 v[62:65], v[96:97], off offset:32
	;; [unrolled: 1-line block ×3, first 2 shown]
	v_cmp_eq_u64_e32 vcc, 0, v[32:33]
	s_or_b64 s[12:13], vcc, s[12:13]
	s_waitcnt vmcnt(3)
	v_fmac_f64_e32 v[90:91], v[34:35], v[54:55]
	v_fmac_f64_e32 v[86:87], 0, v[54:55]
	v_fmac_f64_e32 v[88:89], v[18:19], v[54:55]
	v_fmac_f64_e32 v[84:85], 0, v[54:55]
	v_fmac_f64_e32 v[82:83], v[46:47], v[54:55]
	v_fmac_f64_e32 v[76:77], 0, v[54:55]
	v_fmac_f64_e32 v[72:73], v[42:43], v[54:55]
	v_fmac_f64_e32 v[70:71], 0, v[54:55]
	v_fmac_f64_e32 v[90:91], 0x80000000, v[56:57]
	v_fmac_f64_e32 v[86:87], v[34:35], v[56:57]
	v_fmac_f64_e32 v[88:89], 0x80000000, v[56:57]
	v_fmac_f64_e32 v[84:85], v[18:19], v[56:57]
	v_fmac_f64_e32 v[82:83], 0x80000000, v[56:57]
	v_fmac_f64_e32 v[76:77], v[46:47], v[56:57]
	v_fmac_f64_e32 v[72:73], 0x80000000, v[56:57]
	v_fmac_f64_e32 v[70:71], v[42:43], v[56:57]
	s_waitcnt vmcnt(2)
	v_fmac_f64_e32 v[90:91], v[36:37], v[58:59]
	v_fmac_f64_e32 v[86:87], 0, v[58:59]
	v_fmac_f64_e32 v[88:89], v[20:21], v[58:59]
	v_fmac_f64_e32 v[84:85], 0, v[58:59]
	v_fmac_f64_e32 v[82:83], v[48:49], v[58:59]
	v_fmac_f64_e32 v[76:77], 0, v[58:59]
	v_fmac_f64_e32 v[72:73], v[44:45], v[58:59]
	v_fmac_f64_e32 v[70:71], 0, v[58:59]
	v_fmac_f64_e32 v[86:87], v[36:37], v[60:61]
	v_fmac_f64_e32 v[84:85], v[20:21], v[60:61]
	v_fmac_f64_e32 v[76:77], v[48:49], v[60:61]
	v_fmac_f64_e32 v[90:91], 0x80000000, v[60:61]
	v_fmac_f64_e32 v[88:89], 0x80000000, v[60:61]
	v_fmac_f64_e32 v[82:83], 0x80000000, v[60:61]
	v_fmac_f64_e32 v[72:73], 0x80000000, v[60:61]
	v_fmac_f64_e32 v[70:71], v[44:45], v[60:61]
	;; [unrolled: 17-line block ×4, first 2 shown]
	s_andn2_b64 exec, exec, s[12:13]
	s_cbranch_execnz .LBB147_17
; %bb.18:
	s_or_b64 exec, exec, s[12:13]
.LBB147_19:
	s_or_b64 exec, exec, s[10:11]
	v_cmp_lt_u64_e32 vcc, 47, v[28:29]
	s_and_saveexec_b64 s[10:11], vcc
	s_cbranch_execz .LBB147_23
; %bb.20:
	v_lshl_add_u64 v[10:11], v[26:27], 3, s[8:9]
	s_mov_b64 s[12:13], 0x100
	v_lshl_add_u64 v[10:11], v[10:11], 0, s[12:13]
	s_mov_b64 s[12:13], 0
	s_mov_b64 s[14:15], 0x1000
	s_movk_i32 s20, 0x1000
	s_mov_b64 s[16:17], 0x200
	s_mov_b64 s[18:19], 0x2000
.LBB147_21:                             ; =>This Inner Loop Header: Depth=1
	global_load_dwordx2 v[12:13], v[10:11], off offset:-256
	v_lshl_add_u64 v[26:27], v[26:27], 0, 64
	s_waitcnt vmcnt(0)
	v_sub_co_u32_e32 v20, vcc, v12, v68
	s_nop 1
	v_subb_co_u32_e32 v21, vcc, v13, v69, vcc
	v_lshlrev_b64 v[20:21], 6, v[20:21]
	v_lshl_add_u64 v[20:21], s[4:5], 0, v[20:21]
	global_load_dwordx4 v[12:15], v[24:25], off offset:48
	global_load_dwordx4 v[16:19], v[24:25], off offset:32
	;; [unrolled: 1-line block ×3, first 2 shown]
	global_load_dwordx4 v[32:35], v[24:25], off
	global_load_dwordx4 v[36:39], v[20:21], off offset:48
	global_load_dwordx4 v[40:43], v[20:21], off offset:32
	;; [unrolled: 1-line block ×3, first 2 shown]
	global_load_dwordx4 v[48:51], v[20:21], off
	s_waitcnt vmcnt(0)
	v_fmac_f64_e32 v[86:87], 0, v[48:49]
	v_fmac_f64_e32 v[84:85], 0, v[48:49]
	v_fmac_f64_e32 v[90:91], v[32:33], v[48:49]
	v_fmac_f64_e32 v[86:87], v[32:33], v[50:51]
	v_fmac_f64_e32 v[88:89], v[16:17], v[48:49]
	v_fmac_f64_e32 v[84:85], v[16:17], v[50:51]
	v_fmac_f64_e32 v[90:91], 0x80000000, v[50:51]
	v_fmac_f64_e32 v[86:87], 0, v[44:45]
	v_fmac_f64_e32 v[88:89], 0x80000000, v[50:51]
	v_fmac_f64_e32 v[84:85], 0, v[44:45]
	v_fmac_f64_e32 v[90:91], v[34:35], v[44:45]
	v_fmac_f64_e32 v[86:87], v[34:35], v[46:47]
	v_fmac_f64_e32 v[88:89], v[18:19], v[44:45]
	v_fmac_f64_e32 v[84:85], v[18:19], v[46:47]
	v_fmac_f64_e32 v[90:91], 0x80000000, v[46:47]
	v_fmac_f64_e32 v[86:87], 0, v[40:41]
	v_fmac_f64_e32 v[88:89], 0x80000000, v[46:47]
	v_fmac_f64_e32 v[84:85], 0, v[40:41]
	v_fmac_f64_e32 v[90:91], v[28:29], v[40:41]
	v_fmac_f64_e32 v[86:87], v[28:29], v[42:43]
	v_fmac_f64_e32 v[88:89], v[12:13], v[40:41]
	v_fmac_f64_e32 v[84:85], v[12:13], v[42:43]
	v_fmac_f64_e32 v[90:91], 0x80000000, v[42:43]
	v_fmac_f64_e32 v[86:87], 0, v[36:37]
	v_fmac_f64_e32 v[88:89], 0x80000000, v[42:43]
	v_fmac_f64_e32 v[84:85], 0, v[36:37]
	v_fmac_f64_e32 v[90:91], v[30:31], v[36:37]
	v_fmac_f64_e32 v[86:87], v[30:31], v[38:39]
	v_fmac_f64_e32 v[88:89], v[14:15], v[36:37]
	v_fmac_f64_e32 v[84:85], v[14:15], v[38:39]
	global_load_dwordx4 v[12:15], v[24:25], off offset:112
	global_load_dwordx4 v[16:19], v[24:25], off offset:96
	;; [unrolled: 1-line block ×4, first 2 shown]
	v_fmac_f64_e32 v[70:71], 0, v[48:49]
	v_fmac_f64_e32 v[76:77], 0, v[48:49]
	;; [unrolled: 1-line block ×4, first 2 shown]
	s_waitcnt vmcnt(2)
	v_fmac_f64_e32 v[72:73], v[16:17], v[48:49]
	v_fmac_f64_e32 v[70:71], v[16:17], v[50:51]
	;; [unrolled: 1-line block ×10, first 2 shown]
	global_load_dwordx2 v[12:13], v[10:11], off offset:-128
	s_waitcnt vmcnt(1)
	v_fmac_f64_e32 v[82:83], v[32:33], v[48:49]
	v_fmac_f64_e32 v[82:83], 0x80000000, v[50:51]
	;; [unrolled: 1-line block ×20, first 2 shown]
	s_waitcnt vmcnt(0)
	v_sub_co_u32_e32 v20, vcc, v12, v68
	s_nop 1
	v_subb_co_u32_e32 v21, vcc, v13, v69, vcc
	v_lshlrev_b64 v[20:21], 6, v[20:21]
	v_lshl_add_u64 v[20:21], s[4:5], 0, v[20:21]
	global_load_dwordx4 v[12:15], v[24:25], off offset:2096
	global_load_dwordx4 v[16:19], v[24:25], off offset:2080
	global_load_dwordx4 v[28:31], v[24:25], off offset:2064
	global_load_dwordx4 v[32:35], v[24:25], off offset:2048
	global_load_dwordx4 v[36:39], v[20:21], off offset:48
	global_load_dwordx4 v[40:43], v[20:21], off offset:32
	global_load_dwordx4 v[44:47], v[20:21], off offset:16
	global_load_dwordx4 v[48:51], v[20:21], off
	s_waitcnt vmcnt(0)
	v_fmac_f64_e32 v[86:87], 0, v[48:49]
	v_fmac_f64_e32 v[84:85], 0, v[48:49]
	;; [unrolled: 1-line block ×30, first 2 shown]
	global_load_dwordx4 v[12:15], v[24:25], off offset:2160
	global_load_dwordx4 v[16:19], v[24:25], off offset:2144
	;; [unrolled: 1-line block ×4, first 2 shown]
	v_fmac_f64_e32 v[70:71], 0, v[48:49]
	v_fmac_f64_e32 v[76:77], 0, v[48:49]
	v_fmac_f64_e32 v[90:91], 0x80000000, v[38:39]
	v_fmac_f64_e32 v[88:89], 0x80000000, v[38:39]
	s_waitcnt vmcnt(2)
	v_fmac_f64_e32 v[72:73], v[16:17], v[48:49]
	v_fmac_f64_e32 v[70:71], v[16:17], v[50:51]
	;; [unrolled: 1-line block ×14, first 2 shown]
	global_load_dwordx2 v[14:15], v[10:11], off
	s_waitcnt vmcnt(1)
	v_fmac_f64_e32 v[82:83], v[32:33], v[48:49]
	v_fmac_f64_e32 v[82:83], 0x80000000, v[50:51]
	v_fmac_f64_e32 v[76:77], v[32:33], v[50:51]
	v_fmac_f64_e32 v[82:83], v[34:35], v[44:45]
	v_fmac_f64_e32 v[76:77], 0, v[44:45]
	v_fmac_f64_e32 v[82:83], 0x80000000, v[46:47]
	v_fmac_f64_e32 v[76:77], v[34:35], v[46:47]
	v_fmac_f64_e32 v[82:83], v[28:29], v[40:41]
	v_fmac_f64_e32 v[76:77], 0, v[40:41]
	v_fmac_f64_e32 v[82:83], 0x80000000, v[42:43]
	v_fmac_f64_e32 v[76:77], v[28:29], v[42:43]
	v_fmac_f64_e32 v[82:83], v[30:31], v[36:37]
	v_fmac_f64_e32 v[76:77], 0, v[36:37]
	v_fmac_f64_e32 v[82:83], 0x80000000, v[38:39]
	v_fmac_f64_e32 v[76:77], v[30:31], v[38:39]
	v_fmac_f64_e32 v[72:73], 0x80000000, v[38:39]
	v_lshl_add_u64 v[12:13], v[24:25], 0, s[14:15]
	s_waitcnt vmcnt(0)
	v_sub_co_u32_e32 v36, vcc, v14, v68
	s_nop 1
	v_subb_co_u32_e32 v37, vcc, v15, v69, vcc
	v_add_co_u32_e32 v38, vcc, s20, v24
	v_lshlrev_b64 v[36:37], 6, v[36:37]
	s_nop 0
	v_addc_co_u32_e32 v39, vcc, 0, v25, vcc
	v_lshl_add_u64 v[52:53], s[4:5], 0, v[36:37]
	global_load_dwordx4 v[14:17], v[38:39], off
	global_load_dwordx4 v[18:21], v[12:13], off offset:48
	global_load_dwordx4 v[28:31], v[12:13], off offset:32
	;; [unrolled: 1-line block ×3, first 2 shown]
	s_nop 0
	global_load_dwordx4 v[36:39], v[52:53], off offset:48
	global_load_dwordx4 v[40:43], v[52:53], off offset:32
	;; [unrolled: 1-line block ×3, first 2 shown]
	global_load_dwordx4 v[48:51], v[52:53], off
	v_lshl_add_u64 v[24:25], v[24:25], 0, s[18:19]
	s_waitcnt vmcnt(0)
	v_fmac_f64_e32 v[86:87], 0, v[48:49]
	v_fmac_f64_e32 v[84:85], 0, v[48:49]
	;; [unrolled: 1-line block ×30, first 2 shown]
	global_load_dwordx4 v[14:17], v[12:13], off offset:112
	global_load_dwordx4 v[18:21], v[12:13], off offset:96
	;; [unrolled: 1-line block ×4, first 2 shown]
	v_fmac_f64_e32 v[70:71], 0, v[48:49]
	v_fmac_f64_e32 v[76:77], 0, v[48:49]
	;; [unrolled: 1-line block ×4, first 2 shown]
	s_waitcnt vmcnt(2)
	v_fmac_f64_e32 v[72:73], v[18:19], v[48:49]
	v_fmac_f64_e32 v[70:71], v[18:19], v[50:51]
	v_fmac_f64_e32 v[72:73], 0x80000000, v[50:51]
	v_fmac_f64_e32 v[70:71], 0, v[44:45]
	v_fmac_f64_e32 v[72:73], v[20:21], v[44:45]
	v_fmac_f64_e32 v[70:71], v[20:21], v[46:47]
	v_fmac_f64_e32 v[72:73], 0x80000000, v[46:47]
	v_fmac_f64_e32 v[70:71], 0, v[40:41]
	v_fmac_f64_e32 v[72:73], v[14:15], v[40:41]
	v_fmac_f64_e32 v[70:71], v[14:15], v[42:43]
	global_load_dwordx2 v[14:15], v[10:11], off offset:128
	s_waitcnt vmcnt(1)
	v_fmac_f64_e32 v[82:83], v[32:33], v[48:49]
	v_fmac_f64_e32 v[82:83], 0x80000000, v[50:51]
	;; [unrolled: 1-line block ×20, first 2 shown]
	v_lshl_add_u64 v[10:11], v[10:11], 0, s[16:17]
	s_waitcnt vmcnt(0)
	v_sub_co_u32_e32 v36, vcc, v14, v68
	s_nop 1
	v_subb_co_u32_e32 v37, vcc, v15, v69, vcc
	v_lshlrev_b64 v[36:37], 6, v[36:37]
	v_lshl_add_u64 v[52:53], s[4:5], 0, v[36:37]
	global_load_dwordx4 v[14:17], v[12:13], off offset:2096
	global_load_dwordx4 v[18:21], v[12:13], off offset:2080
	;; [unrolled: 1-line block ×7, first 2 shown]
	global_load_dwordx4 v[48:51], v[52:53], off
	v_cmp_ge_i64_e32 vcc, v[26:27], v[78:79]
	s_or_b64 s[12:13], vcc, s[12:13]
	s_waitcnt vmcnt(0)
	v_fmac_f64_e32 v[86:87], 0, v[48:49]
	v_fmac_f64_e32 v[84:85], 0, v[48:49]
	;; [unrolled: 1-line block ×30, first 2 shown]
	global_load_dwordx4 v[14:17], v[12:13], off offset:2160
	global_load_dwordx4 v[18:21], v[12:13], off offset:2144
	;; [unrolled: 1-line block ×4, first 2 shown]
	v_fmac_f64_e32 v[76:77], 0, v[48:49]
	v_fmac_f64_e32 v[70:71], 0, v[48:49]
	;; [unrolled: 1-line block ×4, first 2 shown]
	s_waitcnt vmcnt(2)
	v_fmac_f64_e32 v[72:73], v[18:19], v[48:49]
	v_fmac_f64_e32 v[72:73], 0x80000000, v[50:51]
	s_waitcnt vmcnt(0)
	v_fmac_f64_e32 v[82:83], v[32:33], v[48:49]
	v_fmac_f64_e32 v[82:83], 0x80000000, v[50:51]
	;; [unrolled: 1-line block ×28, first 2 shown]
	s_andn2_b64 exec, exec, s[12:13]
	s_cbranch_execnz .LBB147_21
; %bb.22:
	s_or_b64 exec, exec, s[12:13]
.LBB147_23:
	s_or_b64 exec, exec, s[10:11]
.LBB147_24:
	s_or_b64 exec, exec, s[6:7]
	s_cbranch_execz .LBB147_26
	s_branch .LBB147_37
.LBB147_25:
                                        ; implicit-def: $vgpr86_vgpr87
                                        ; implicit-def: $vgpr90_vgpr91
                                        ; implicit-def: $vgpr84_vgpr85
                                        ; implicit-def: $vgpr88_vgpr89
                                        ; implicit-def: $vgpr76_vgpr77
                                        ; implicit-def: $vgpr82_vgpr83
                                        ; implicit-def: $vgpr70_vgpr71
                                        ; implicit-def: $vgpr72_vgpr73
.LBB147_26:
	v_mov_b64_e32 v[86:87], 0
	v_mov_b64_e32 v[90:91], 0
	;; [unrolled: 1-line block ×8, first 2 shown]
	s_and_saveexec_b64 s[6:7], s[2:3]
	s_cbranch_execz .LBB147_36
; %bb.27:
	v_or_b32_e32 v1, 16, v0
	v_sub_co_u32_e32 v10, vcc, v1, v68
	v_not_b32_e32 v13, v23
	s_nop 0
	v_subb_co_u32_e32 v11, vcc, 0, v69, vcc
	v_lshl_add_u64 v[10:11], v[10:11], 0, v[22:23]
	v_cmp_gt_i64_e32 vcc, v[10:11], v[78:79]
	v_not_b32_e32 v12, v22
	v_mov_b64_e32 v[72:73], 0
	v_cndmask_b32_e32 v11, v79, v11, vcc
	v_cndmask_b32_e32 v10, v78, v10, vcc
	v_sub_co_u32_e32 v14, vcc, v68, v0
	v_mov_b64_e32 v[70:71], 0
	s_nop 0
	v_subbrev_co_u32_e32 v15, vcc, 0, v69, vcc
	v_lshl_add_u64 v[12:13], v[14:15], 0, v[12:13]
	v_lshl_add_u64 v[10:11], v[12:13], 0, v[10:11]
	v_and_b32_e32 v12, 48, v10
	v_mov_b32_e32 v13, 0
	v_cmp_ne_u64_e32 vcc, 48, v[12:13]
	v_mov_b64_e32 v[82:83], 0
	v_mov_b64_e32 v[76:77], 0
	;; [unrolled: 1-line block ×6, first 2 shown]
	s_and_saveexec_b64 s[2:3], vcc
	s_cbranch_execz .LBB147_31
; %bb.28:
	v_lshrrev_b32_e32 v1, 4, v10
	v_add_u32_e32 v1, 1, v1
	v_and_b32_e32 v1, 3, v1
	v_sub_co_u32_e32 v14, vcc, 0, v1
	v_lshl_add_u64 v[12:13], v[74:75], 3, s[8:9]
	s_nop 0
	v_subb_co_u32_e64 v15, s[12:13], 0, 0, vcc
	s_mov_b64 s[10:11], 0
	v_mov_b64_e32 v[86:87], 0
	s_mov_b64 s[12:13], 0x800
	s_mov_b64 s[14:15], 0x80
	v_mov_b64_e32 v[90:91], 0
	v_mov_b64_e32 v[84:85], 0
	;; [unrolled: 1-line block ×7, first 2 shown]
.LBB147_29:                             ; =>This Inner Loop Header: Depth=1
	global_load_dwordx2 v[44:45], v[12:13], off
	global_load_dwordx4 v[16:19], v[80:81], off offset:48
	global_load_dwordx4 v[20:23], v[80:81], off offset:32
	;; [unrolled: 1-line block ×3, first 2 shown]
	global_load_dwordx4 v[28:31], v[80:81], off
	global_load_dwordx4 v[32:35], v[80:81], off offset:96
	global_load_dwordx4 v[36:39], v[80:81], off offset:80
	;; [unrolled: 1-line block ×3, first 2 shown]
	v_lshl_add_u64 v[14:15], v[14:15], 0, 1
	v_lshl_add_u64 v[74:75], v[74:75], 0, 16
	v_lshl_add_u64 v[12:13], v[12:13], 0, s[14:15]
	s_waitcnt vmcnt(7)
	v_sub_co_u32_e32 v44, vcc, v44, v68
	s_nop 1
	v_subb_co_u32_e32 v45, vcc, v45, v69, vcc
	v_lshlrev_b64 v[44:45], 6, v[44:45]
	v_lshl_add_u64 v[64:65], s[4:5], 0, v[44:45]
	global_load_dwordx4 v[44:47], v[64:65], off
	global_load_dwordx4 v[48:51], v[64:65], off offset:16
	global_load_dwordx4 v[52:55], v[64:65], off offset:32
	;; [unrolled: 1-line block ×4, first 2 shown]
	v_cmp_eq_u64_e32 vcc, 0, v[14:15]
	v_lshl_add_u64 v[80:81], v[80:81], 0, s[12:13]
	s_or_b64 s[10:11], vcc, s[10:11]
	s_waitcnt vmcnt(4)
	v_fmac_f64_e32 v[90:91], v[28:29], v[44:45]
	v_fmac_f64_e32 v[86:87], 0, v[44:45]
	v_fmac_f64_e32 v[88:89], v[30:31], v[44:45]
	v_fmac_f64_e32 v[84:85], 0, v[44:45]
	v_fmac_f64_e32 v[82:83], v[24:25], v[44:45]
	v_fmac_f64_e32 v[76:77], 0, v[44:45]
	v_fmac_f64_e32 v[72:73], v[26:27], v[44:45]
	v_fmac_f64_e32 v[70:71], 0, v[44:45]
	v_fmac_f64_e32 v[90:91], 0x80000000, v[46:47]
	v_fmac_f64_e32 v[86:87], v[28:29], v[46:47]
	v_fmac_f64_e32 v[88:89], 0x80000000, v[46:47]
	v_fmac_f64_e32 v[84:85], v[30:31], v[46:47]
	v_fmac_f64_e32 v[82:83], 0x80000000, v[46:47]
	v_fmac_f64_e32 v[76:77], v[24:25], v[46:47]
	v_fmac_f64_e32 v[72:73], 0x80000000, v[46:47]
	v_fmac_f64_e32 v[70:71], v[26:27], v[46:47]
	s_waitcnt vmcnt(3)
	v_fmac_f64_e32 v[90:91], v[20:21], v[48:49]
	v_fmac_f64_e32 v[86:87], 0, v[48:49]
	v_fmac_f64_e32 v[88:89], v[22:23], v[48:49]
	v_fmac_f64_e32 v[84:85], 0, v[48:49]
	v_fmac_f64_e32 v[82:83], v[16:17], v[48:49]
	v_fmac_f64_e32 v[76:77], 0, v[48:49]
	v_fmac_f64_e32 v[72:73], v[18:19], v[48:49]
	v_fmac_f64_e32 v[70:71], 0, v[48:49]
	v_fmac_f64_e32 v[90:91], 0x80000000, v[50:51]
	v_fmac_f64_e32 v[86:87], v[20:21], v[50:51]
	v_fmac_f64_e32 v[88:89], 0x80000000, v[50:51]
	v_fmac_f64_e32 v[84:85], v[22:23], v[50:51]
	v_fmac_f64_e32 v[82:83], 0x80000000, v[50:51]
	v_fmac_f64_e32 v[76:77], v[16:17], v[50:51]
	v_fmac_f64_e32 v[72:73], 0x80000000, v[50:51]
	v_fmac_f64_e32 v[70:71], v[18:19], v[50:51]
	;; [unrolled: 17-line block ×3, first 2 shown]
	s_waitcnt vmcnt(1)
	v_fmac_f64_e32 v[90:91], v[32:33], v[56:57]
	v_fmac_f64_e32 v[86:87], 0, v[56:57]
	;; [unrolled: 1-line block ×4, first 2 shown]
	s_waitcnt vmcnt(0)
	v_fmac_f64_e32 v[82:83], v[60:61], v[56:57]
	v_fmac_f64_e32 v[76:77], 0, v[56:57]
	;; [unrolled: 1-line block ×12, first 2 shown]
	s_andn2_b64 exec, exec, s[10:11]
	s_cbranch_execnz .LBB147_29
; %bb.30:
	s_or_b64 exec, exec, s[10:11]
.LBB147_31:
	s_or_b64 exec, exec, s[2:3]
	v_cmp_lt_u64_e32 vcc, 47, v[10:11]
	s_and_saveexec_b64 s[2:3], vcc
	s_cbranch_execz .LBB147_35
; %bb.32:
	v_lshl_add_u64 v[10:11], v[74:75], 3, s[8:9]
	s_mov_b64 s[8:9], 0x100
	v_lshl_add_u64 v[92:93], v[10:11], 0, s[8:9]
	s_mov_b64 s[8:9], 0
	s_mov_b64 s[10:11], 0x1000
	s_movk_i32 s16, 0x1000
	s_mov_b64 s[12:13], 0x200
	s_mov_b64 s[14:15], 0x2000
.LBB147_33:                             ; =>This Inner Loop Header: Depth=1
	global_load_dwordx2 v[58:59], v[92:93], off offset:-256
	global_load_dwordx4 v[42:45], v[80:81], off offset:48
	global_load_dwordx4 v[46:49], v[80:81], off offset:32
	global_load_dwordx4 v[50:53], v[80:81], off offset:16
	global_load_dwordx4 v[94:97], v[80:81], off
	global_load_dwordx4 v[10:13], v[80:81], off offset:112
	global_load_dwordx4 v[14:17], v[80:81], off offset:96
	;; [unrolled: 1-line block ×9, first 2 shown]
	v_lshl_add_u64 v[110:111], v[80:81], 0, s[10:11]
	v_lshl_add_u64 v[74:75], v[74:75], 0, 64
	s_waitcnt vmcnt(13)
	v_sub_co_u32_e32 v58, vcc, v58, v68
	s_nop 1
	v_subb_co_u32_e32 v59, vcc, v59, v69, vcc
	v_lshlrev_b64 v[58:59], 6, v[58:59]
	v_lshl_add_u64 v[62:63], s[4:5], 0, v[58:59]
	global_load_dwordx4 v[58:61], v[62:63], off
	v_add_co_u32_e32 v112, vcc, s16, v80
	s_waitcnt vmcnt(0)
	v_fmac_f64_e32 v[90:91], v[94:95], v[58:59]
	v_fmac_f64_e32 v[86:87], 0, v[58:59]
	;; [unrolled: 1-line block ×10, first 2 shown]
	global_load_dwordx2 v[94:95], v[92:93], off offset:-128
	global_load_dwordx2 v[64:65], v[92:93], off
	v_fmac_f64_e32 v[76:77], v[50:51], v[60:61]
	v_fmac_f64_e32 v[70:71], v[52:53], v[60:61]
	;; [unrolled: 1-line block ×6, first 2 shown]
	global_load_dwordx4 v[58:61], v[62:63], off offset:16
	v_addc_co_u32_e32 v113, vcc, 0, v81, vcc
	global_load_dwordx2 v[50:51], v[92:93], off offset:128
	v_lshl_add_u64 v[92:93], v[92:93], 0, s[12:13]
	global_load_dwordx4 v[106:109], v[110:111], off offset:64
	global_load_dwordx4 v[102:105], v[110:111], off offset:80
	s_waitcnt vmcnt(5)
	v_sub_co_u32_e32 v98, vcc, v94, v68
	s_nop 1
	v_subb_co_u32_e32 v99, vcc, v95, v69, vcc
	global_load_dwordx4 v[94:97], v[110:111], off offset:16
	s_waitcnt vmcnt(4)
	v_fmac_f64_e32 v[90:91], v[46:47], v[58:59]
	v_fmac_f64_e32 v[86:87], 0, v[58:59]
	v_fmac_f64_e32 v[88:89], v[48:49], v[58:59]
	v_fmac_f64_e32 v[84:85], 0, v[58:59]
	v_fmac_f64_e32 v[82:83], v[42:43], v[58:59]
	v_fmac_f64_e32 v[76:77], 0, v[58:59]
	v_fmac_f64_e32 v[72:73], v[44:45], v[58:59]
	v_fmac_f64_e32 v[70:71], 0, v[58:59]
	v_fmac_f64_e32 v[86:87], v[46:47], v[60:61]
	v_fmac_f64_e32 v[84:85], v[48:49], v[60:61]
	v_fmac_f64_e32 v[76:77], v[42:43], v[60:61]
	v_fmac_f64_e32 v[70:71], v[44:45], v[60:61]
	v_fmac_f64_e32 v[90:91], 0x80000000, v[60:61]
	v_fmac_f64_e32 v[88:89], 0x80000000, v[60:61]
	v_fmac_f64_e32 v[82:83], 0x80000000, v[60:61]
	v_fmac_f64_e32 v[72:73], 0x80000000, v[60:61]
	global_load_dwordx4 v[58:61], v[62:63], off offset:32
	global_load_dwordx4 v[42:45], v[80:81], off offset:2128
	;; [unrolled: 1-line block ×3, first 2 shown]
	s_waitcnt vmcnt(2)
	v_fmac_f64_e32 v[76:77], 0, v[58:59]
	v_fmac_f64_e32 v[70:71], 0, v[58:59]
	;; [unrolled: 1-line block ×6, first 2 shown]
	global_load_dwordx4 v[22:25], v[62:63], off offset:48
	v_fmac_f64_e32 v[86:87], 0, v[58:59]
	v_fmac_f64_e32 v[84:85], 0, v[58:59]
	;; [unrolled: 1-line block ×10, first 2 shown]
	global_load_dwordx4 v[52:55], v[80:81], off offset:2112
	global_load_dwordx4 v[60:63], v[110:111], off offset:32
	;; [unrolled: 1-line block ×3, first 2 shown]
	v_lshl_add_u64 v[80:81], v[80:81], 0, s[14:15]
	s_waitcnt vmcnt(3)
	v_fmac_f64_e32 v[76:77], 0, v[22:23]
	v_fmac_f64_e32 v[82:83], v[10:11], v[22:23]
	;; [unrolled: 1-line block ×3, first 2 shown]
	v_lshlrev_b64 v[10:11], 6, v[98:99]
	v_fmac_f64_e32 v[86:87], 0, v[22:23]
	v_fmac_f64_e32 v[84:85], 0, v[22:23]
	v_lshl_add_u64 v[114:115], s[4:5], 0, v[10:11]
	v_fmac_f64_e32 v[90:91], v[14:15], v[22:23]
	v_fmac_f64_e32 v[88:89], v[16:17], v[22:23]
	;; [unrolled: 1-line block ×4, first 2 shown]
	global_load_dwordx4 v[14:17], v[114:115], off
	v_fmac_f64_e32 v[72:73], v[12:13], v[22:23]
	v_fmac_f64_e32 v[70:71], 0, v[22:23]
	;; [unrolled: 1-line block ×7, first 2 shown]
	global_load_dwordx4 v[98:101], v[110:111], off offset:96
	global_load_dwordx4 v[10:13], v[110:111], off offset:112
	s_waitcnt vmcnt(2)
	v_fmac_f64_e32 v[90:91], v[38:39], v[14:15]
	v_fmac_f64_e32 v[86:87], 0, v[14:15]
	v_fmac_f64_e32 v[88:89], v[40:41], v[14:15]
	v_fmac_f64_e32 v[84:85], 0, v[14:15]
	v_fmac_f64_e32 v[82:83], v[34:35], v[14:15]
	v_fmac_f64_e32 v[76:77], 0, v[14:15]
	v_fmac_f64_e32 v[72:73], v[36:37], v[14:15]
	v_fmac_f64_e32 v[70:71], 0, v[14:15]
	v_fmac_f64_e32 v[86:87], v[38:39], v[16:17]
	v_fmac_f64_e32 v[84:85], v[40:41], v[16:17]
	v_fmac_f64_e32 v[76:77], v[34:35], v[16:17]
	v_fmac_f64_e32 v[70:71], v[36:37], v[16:17]
	v_fmac_f64_e32 v[90:91], 0x80000000, v[16:17]
	v_fmac_f64_e32 v[88:89], 0x80000000, v[16:17]
	v_fmac_f64_e32 v[82:83], 0x80000000, v[16:17]
	v_fmac_f64_e32 v[72:73], 0x80000000, v[16:17]
	global_load_dwordx4 v[14:17], v[114:115], off offset:16
	global_load_dwordx4 v[34:37], v[110:111], off offset:2048
	s_waitcnt vmcnt(1)
	v_fmac_f64_e32 v[76:77], 0, v[14:15]
	v_fmac_f64_e32 v[82:83], v[26:27], v[14:15]
	;; [unrolled: 1-line block ×3, first 2 shown]
	global_load_dwordx4 v[24:27], v[114:115], off offset:32
	v_fmac_f64_e32 v[90:91], v[30:31], v[14:15]
	v_fmac_f64_e32 v[86:87], 0, v[14:15]
	;; [unrolled: 1-line block ×13, first 2 shown]
	global_load_dwordx4 v[14:17], v[110:111], off offset:2096
	global_load_dwordx4 v[30:33], v[110:111], off offset:2064
	s_waitcnt vmcnt(2)
	v_fmac_f64_e32 v[90:91], v[52:53], v[24:25]
	v_fmac_f64_e32 v[86:87], 0, v[24:25]
	;; [unrolled: 1-line block ×16, first 2 shown]
	global_load_dwordx4 v[26:29], v[114:115], off offset:48
	global_load_dwordx4 v[22:25], v[110:111], off offset:2080
	s_waitcnt vmcnt(1)
	v_fmac_f64_e32 v[90:91], v[46:47], v[26:27]
	v_fmac_f64_e32 v[86:87], 0, v[26:27]
	;; [unrolled: 1-line block ×8, first 2 shown]
	v_sub_co_u32_e32 v26, vcc, v64, v68
	v_fmac_f64_e32 v[76:77], v[18:19], v[28:29]
	s_nop 0
	v_subb_co_u32_e32 v27, vcc, v65, v69, vcc
	v_lshlrev_b64 v[26:27], 6, v[26:27]
	v_lshl_add_u64 v[52:53], s[4:5], 0, v[26:27]
	v_fmac_f64_e32 v[70:71], v[20:21], v[28:29]
	global_load_dwordx4 v[18:21], v[112:113], off
	global_load_dwordx4 v[38:41], v[52:53], off
	v_fmac_f64_e32 v[86:87], v[46:47], v[28:29]
	global_load_dwordx4 v[44:47], v[52:53], off offset:16
	v_fmac_f64_e32 v[84:85], v[48:49], v[28:29]
	v_fmac_f64_e32 v[90:91], 0x80000000, v[28:29]
	;; [unrolled: 1-line block ×5, first 2 shown]
	v_sub_co_u32_e32 v48, vcc, v50, v68
	global_load_dwordx4 v[26:29], v[110:111], off offset:2144
	s_nop 0
	v_subb_co_u32_e32 v49, vcc, v51, v69, vcc
	v_lshlrev_b64 v[48:49], 6, v[48:49]
	v_cmp_ge_i64_e32 vcc, v[74:75], v[78:79]
	s_or_b64 s[8:9], vcc, s[8:9]
	s_waitcnt vmcnt(2)
	v_fmac_f64_e32 v[90:91], v[18:19], v[38:39]
	v_fmac_f64_e32 v[86:87], 0, v[38:39]
	v_fmac_f64_e32 v[88:89], v[20:21], v[38:39]
	v_fmac_f64_e32 v[84:85], 0, v[38:39]
	v_fmac_f64_e32 v[82:83], v[94:95], v[38:39]
	v_fmac_f64_e32 v[76:77], 0, v[38:39]
	v_fmac_f64_e32 v[72:73], v[96:97], v[38:39]
	v_fmac_f64_e32 v[70:71], 0, v[38:39]
	v_fmac_f64_e32 v[86:87], v[18:19], v[40:41]
	v_fmac_f64_e32 v[84:85], v[20:21], v[40:41]
	v_fmac_f64_e32 v[76:77], v[94:95], v[40:41]
	v_fmac_f64_e32 v[70:71], v[96:97], v[40:41]
	v_fmac_f64_e32 v[90:91], 0x80000000, v[40:41]
	v_fmac_f64_e32 v[88:89], 0x80000000, v[40:41]
	v_fmac_f64_e32 v[82:83], 0x80000000, v[40:41]
	v_fmac_f64_e32 v[72:73], 0x80000000, v[40:41]
	s_waitcnt vmcnt(1)
	v_fmac_f64_e32 v[90:91], v[60:61], v[44:45]
	v_fmac_f64_e32 v[86:87], 0, v[44:45]
	;; [unrolled: 1-line block ×8, first 2 shown]
	global_load_dwordx4 v[18:21], v[110:111], off offset:2160
	v_fmac_f64_e32 v[86:87], v[60:61], v[46:47]
	v_fmac_f64_e32 v[84:85], v[62:63], v[46:47]
	global_load_dwordx4 v[38:41], v[110:111], off offset:2128
	v_fmac_f64_e32 v[76:77], v[56:57], v[46:47]
	v_fmac_f64_e32 v[70:71], v[58:59], v[46:47]
	global_load_dwordx4 v[42:45], v[110:111], off offset:2112
	v_lshl_add_u64 v[94:95], s[4:5], 0, v[48:49]
	v_fmac_f64_e32 v[90:91], 0x80000000, v[46:47]
	v_fmac_f64_e32 v[88:89], 0x80000000, v[46:47]
	;; [unrolled: 1-line block ×4, first 2 shown]
	global_load_dwordx4 v[46:49], v[52:53], off offset:32
	global_load_dwordx4 v[62:65], v[52:53], off offset:48
	global_load_dwordx4 v[58:61], v[94:95], off
	global_load_dwordx4 v[54:57], v[94:95], off offset:16
	s_waitcnt vmcnt(3)
	v_fmac_f64_e32 v[90:91], v[106:107], v[46:47]
	global_load_dwordx4 v[50:53], v[94:95], off offset:32
	v_fmac_f64_e32 v[86:87], 0, v[46:47]
	v_fmac_f64_e32 v[88:89], v[108:109], v[46:47]
	;; [unrolled: 1-line block ×15, first 2 shown]
	global_load_dwordx4 v[46:49], v[94:95], off offset:48
	s_waitcnt vmcnt(4)
	v_fmac_f64_e32 v[90:91], v[98:99], v[62:63]
	v_fmac_f64_e32 v[86:87], 0, v[62:63]
	v_fmac_f64_e32 v[88:89], v[100:101], v[62:63]
	v_fmac_f64_e32 v[84:85], 0, v[62:63]
	v_fmac_f64_e32 v[82:83], v[10:11], v[62:63]
	v_fmac_f64_e32 v[76:77], 0, v[62:63]
	v_fmac_f64_e32 v[72:73], v[12:13], v[62:63]
	v_fmac_f64_e32 v[70:71], 0, v[62:63]
	v_fmac_f64_e32 v[86:87], v[98:99], v[64:65]
	v_fmac_f64_e32 v[84:85], v[100:101], v[64:65]
	v_fmac_f64_e32 v[90:91], 0x80000000, v[64:65]
	v_fmac_f64_e32 v[88:89], 0x80000000, v[64:65]
	v_fmac_f64_e32 v[82:83], 0x80000000, v[64:65]
	v_fmac_f64_e32 v[76:77], v[10:11], v[64:65]
	v_fmac_f64_e32 v[72:73], 0x80000000, v[64:65]
	v_fmac_f64_e32 v[70:71], v[12:13], v[64:65]
	s_waitcnt vmcnt(3)
	v_fmac_f64_e32 v[90:91], v[34:35], v[58:59]
	v_fmac_f64_e32 v[86:87], 0, v[58:59]
	v_fmac_f64_e32 v[88:89], v[36:37], v[58:59]
	v_fmac_f64_e32 v[84:85], 0, v[58:59]
	v_fmac_f64_e32 v[82:83], v[30:31], v[58:59]
	v_fmac_f64_e32 v[76:77], 0, v[58:59]
	v_fmac_f64_e32 v[72:73], v[32:33], v[58:59]
	v_fmac_f64_e32 v[70:71], 0, v[58:59]
	v_fmac_f64_e32 v[90:91], 0x80000000, v[60:61]
	v_fmac_f64_e32 v[86:87], v[34:35], v[60:61]
	v_fmac_f64_e32 v[88:89], 0x80000000, v[60:61]
	v_fmac_f64_e32 v[84:85], v[36:37], v[60:61]
	v_fmac_f64_e32 v[82:83], 0x80000000, v[60:61]
	v_fmac_f64_e32 v[76:77], v[30:31], v[60:61]
	v_fmac_f64_e32 v[72:73], 0x80000000, v[60:61]
	v_fmac_f64_e32 v[70:71], v[32:33], v[60:61]
	s_waitcnt vmcnt(2)
	v_fmac_f64_e32 v[90:91], v[22:23], v[54:55]
	v_fmac_f64_e32 v[86:87], 0, v[54:55]
	v_fmac_f64_e32 v[88:89], v[24:25], v[54:55]
	v_fmac_f64_e32 v[84:85], 0, v[54:55]
	v_fmac_f64_e32 v[82:83], v[14:15], v[54:55]
	v_fmac_f64_e32 v[76:77], 0, v[54:55]
	v_fmac_f64_e32 v[72:73], v[16:17], v[54:55]
	v_fmac_f64_e32 v[70:71], 0, v[54:55]
	v_fmac_f64_e32 v[90:91], 0x80000000, v[56:57]
	v_fmac_f64_e32 v[86:87], v[22:23], v[56:57]
	v_fmac_f64_e32 v[88:89], 0x80000000, v[56:57]
	v_fmac_f64_e32 v[84:85], v[24:25], v[56:57]
	v_fmac_f64_e32 v[82:83], 0x80000000, v[56:57]
	v_fmac_f64_e32 v[76:77], v[14:15], v[56:57]
	v_fmac_f64_e32 v[72:73], 0x80000000, v[56:57]
	v_fmac_f64_e32 v[70:71], v[16:17], v[56:57]
	s_waitcnt vmcnt(1)
	v_fmac_f64_e32 v[90:91], v[42:43], v[50:51]
	v_fmac_f64_e32 v[86:87], 0, v[50:51]
	v_fmac_f64_e32 v[88:89], v[44:45], v[50:51]
	v_fmac_f64_e32 v[84:85], 0, v[50:51]
	v_fmac_f64_e32 v[82:83], v[38:39], v[50:51]
	v_fmac_f64_e32 v[76:77], 0, v[50:51]
	v_fmac_f64_e32 v[72:73], v[40:41], v[50:51]
	v_fmac_f64_e32 v[70:71], 0, v[50:51]
	v_fmac_f64_e32 v[90:91], 0x80000000, v[52:53]
	v_fmac_f64_e32 v[86:87], v[42:43], v[52:53]
	v_fmac_f64_e32 v[88:89], 0x80000000, v[52:53]
	v_fmac_f64_e32 v[84:85], v[44:45], v[52:53]
	v_fmac_f64_e32 v[82:83], 0x80000000, v[52:53]
	v_fmac_f64_e32 v[76:77], v[38:39], v[52:53]
	v_fmac_f64_e32 v[72:73], 0x80000000, v[52:53]
	v_fmac_f64_e32 v[70:71], v[40:41], v[52:53]
	s_waitcnt vmcnt(0)
	v_fmac_f64_e32 v[90:91], v[26:27], v[46:47]
	v_fmac_f64_e32 v[86:87], 0, v[46:47]
	v_fmac_f64_e32 v[88:89], v[28:29], v[46:47]
	v_fmac_f64_e32 v[84:85], 0, v[46:47]
	v_fmac_f64_e32 v[82:83], v[18:19], v[46:47]
	v_fmac_f64_e32 v[76:77], 0, v[46:47]
	v_fmac_f64_e32 v[72:73], v[20:21], v[46:47]
	v_fmac_f64_e32 v[70:71], 0, v[46:47]
	v_fmac_f64_e32 v[90:91], 0x80000000, v[48:49]
	v_fmac_f64_e32 v[86:87], v[26:27], v[48:49]
	v_fmac_f64_e32 v[88:89], 0x80000000, v[48:49]
	v_fmac_f64_e32 v[84:85], v[28:29], v[48:49]
	v_fmac_f64_e32 v[82:83], 0x80000000, v[48:49]
	v_fmac_f64_e32 v[76:77], v[18:19], v[48:49]
	v_fmac_f64_e32 v[72:73], 0x80000000, v[48:49]
	v_fmac_f64_e32 v[70:71], v[20:21], v[48:49]
	s_andn2_b64 exec, exec, s[8:9]
	s_cbranch_execnz .LBB147_33
; %bb.34:
	s_or_b64 exec, exec, s[8:9]
.LBB147_35:
	s_or_b64 exec, exec, s[2:3]
.LBB147_36:
	s_or_b64 exec, exec, s[6:7]
.LBB147_37:
	v_mov_b32_dpp v10, v90 row_shr:1 row_mask:0xf bank_mask:0xf
	v_mov_b32_dpp v11, v91 row_shr:1 row_mask:0xf bank_mask:0xf
	v_mov_b32_dpp v14, v86 row_shr:1 row_mask:0xf bank_mask:0xf
	v_mov_b32_dpp v15, v87 row_shr:1 row_mask:0xf bank_mask:0xf
	v_mov_b32_dpp v18, v88 row_shr:1 row_mask:0xf bank_mask:0xf
	v_mov_b32_dpp v19, v89 row_shr:1 row_mask:0xf bank_mask:0xf
	v_mov_b32_dpp v22, v84 row_shr:1 row_mask:0xf bank_mask:0xf
	v_mov_b32_dpp v23, v85 row_shr:1 row_mask:0xf bank_mask:0xf
	v_mov_b32_dpp v26, v82 row_shr:1 row_mask:0xf bank_mask:0xf
	v_mov_b32_dpp v27, v83 row_shr:1 row_mask:0xf bank_mask:0xf
	v_mov_b32_dpp v30, v76 row_shr:1 row_mask:0xf bank_mask:0xf
	v_mov_b32_dpp v31, v77 row_shr:1 row_mask:0xf bank_mask:0xf
	v_mov_b32_dpp v34, v72 row_shr:1 row_mask:0xf bank_mask:0xf
	v_mov_b32_dpp v35, v73 row_shr:1 row_mask:0xf bank_mask:0xf
	v_mov_b32_dpp v38, v70 row_shr:1 row_mask:0xf bank_mask:0xf
	v_mov_b32_dpp v39, v71 row_shr:1 row_mask:0xf bank_mask:0xf
	v_add_f64 v[10:11], v[90:91], v[10:11]
	v_add_f64 v[14:15], v[86:87], v[14:15]
	v_add_f64 v[18:19], v[88:89], v[18:19]
	v_add_f64 v[22:23], v[84:85], v[22:23]
	v_add_f64 v[26:27], v[82:83], v[26:27]
	v_add_f64 v[30:31], v[76:77], v[30:31]
	v_add_f64 v[34:35], v[72:73], v[34:35]
	v_add_f64 v[38:39], v[70:71], v[38:39]
	v_mov_b32_dpp v12, v10 row_shr:2 row_mask:0xf bank_mask:0xf
	v_mov_b32_dpp v13, v11 row_shr:2 row_mask:0xf bank_mask:0xf
	v_mov_b32_dpp v16, v14 row_shr:2 row_mask:0xf bank_mask:0xf
	v_mov_b32_dpp v17, v15 row_shr:2 row_mask:0xf bank_mask:0xf
	v_mov_b32_dpp v20, v18 row_shr:2 row_mask:0xf bank_mask:0xf
	v_mov_b32_dpp v21, v19 row_shr:2 row_mask:0xf bank_mask:0xf
	v_mov_b32_dpp v24, v22 row_shr:2 row_mask:0xf bank_mask:0xf
	v_mov_b32_dpp v25, v23 row_shr:2 row_mask:0xf bank_mask:0xf
	v_mov_b32_dpp v28, v26 row_shr:2 row_mask:0xf bank_mask:0xf
	v_mov_b32_dpp v29, v27 row_shr:2 row_mask:0xf bank_mask:0xf
	v_mov_b32_dpp v32, v30 row_shr:2 row_mask:0xf bank_mask:0xf
	v_mov_b32_dpp v33, v31 row_shr:2 row_mask:0xf bank_mask:0xf
	v_mov_b32_dpp v36, v34 row_shr:2 row_mask:0xf bank_mask:0xf
	v_mov_b32_dpp v37, v35 row_shr:2 row_mask:0xf bank_mask:0xf
	v_mov_b32_dpp v40, v38 row_shr:2 row_mask:0xf bank_mask:0xf
	v_mov_b32_dpp v41, v39 row_shr:2 row_mask:0xf bank_mask:0xf
	v_add_f64 v[10:11], v[10:11], v[12:13]
	v_add_f64 v[14:15], v[14:15], v[16:17]
	v_add_f64 v[18:19], v[18:19], v[20:21]
	v_add_f64 v[22:23], v[22:23], v[24:25]
	v_add_f64 v[26:27], v[26:27], v[28:29]
	v_add_f64 v[30:31], v[30:31], v[32:33]
	v_add_f64 v[34:35], v[34:35], v[36:37]
	v_add_f64 v[38:39], v[38:39], v[40:41]
	;; [unrolled: 24-line block ×3, first 2 shown]
	v_mov_b32_dpp v12, v10 row_shr:8 row_mask:0xf bank_mask:0xc
	v_mov_b32_dpp v13, v11 row_shr:8 row_mask:0xf bank_mask:0xc
	;; [unrolled: 1-line block ×16, first 2 shown]
	v_cmp_eq_u32_e32 vcc, 15, v0
	s_and_b64 exec, exec, vcc
	s_cbranch_execz .LBB147_8
; %bb.38:
	s_load_dwordx2 s[2:3], s[0:1], 0x68
	v_add_f64 v[0:1], v[10:11], v[12:13]
	v_add_f64 v[10:11], v[14:15], v[16:17]
	;; [unrolled: 1-line block ×8, first 2 shown]
	v_cmp_eq_f64_e32 vcc, 0, v[2:3]
	v_cmp_eq_f64_e64 s[0:1], 0, v[4:5]
	v_mul_f64 v[22:23], v[10:11], -v[8:9]
	v_mul_f64 v[24:25], v[6:7], v[10:11]
	v_mul_f64 v[18:19], v[12:13], -v[8:9]
	v_mul_f64 v[20:21], v[6:7], v[12:13]
	;; [unrolled: 2-line block ×4, first 2 shown]
	s_and_b64 s[0:1], vcc, s[0:1]
	v_fmac_f64_e32 v[22:23], v[6:7], v[0:1]
	v_fmac_f64_e32 v[24:25], v[8:9], v[0:1]
	v_lshlrev_b64 v[0:1], 6, v[66:67]
	v_fmac_f64_e32 v[18:19], v[6:7], v[42:43]
	v_fmac_f64_e32 v[20:21], v[8:9], v[42:43]
	v_fmac_f64_e32 v[14:15], v[6:7], v[26:27]
	v_fmac_f64_e32 v[16:17], v[8:9], v[26:27]
	v_fmac_f64_e32 v[10:11], v[6:7], v[28:29]
	v_fmac_f64_e32 v[12:13], v[8:9], v[28:29]
	s_and_saveexec_b64 s[4:5], s[0:1]
	s_xor_b64 s[0:1], exec, s[4:5]
	s_cbranch_execz .LBB147_40
; %bb.39:
	s_waitcnt lgkmcnt(0)
	v_lshl_add_u64 v[0:1], s[2:3], 0, v[0:1]
	global_store_dwordx4 v[0:1], v[22:25], off
	global_store_dwordx4 v[0:1], v[18:21], off offset:16
	global_store_dwordx4 v[0:1], v[14:17], off offset:32
	;; [unrolled: 1-line block ×3, first 2 shown]
                                        ; implicit-def: $vgpr4_vgpr5
                                        ; implicit-def: $vgpr22_vgpr23
                                        ; implicit-def: $vgpr0_vgpr1
                                        ; implicit-def: $vgpr18_vgpr19
                                        ; implicit-def: $vgpr14_vgpr15
                                        ; implicit-def: $vgpr10_vgpr11
.LBB147_40:
	s_andn2_saveexec_b64 s[0:1], s[0:1]
	s_cbranch_execz .LBB147_8
; %bb.41:
	s_waitcnt lgkmcnt(0)
	v_lshl_add_u64 v[0:1], s[2:3], 0, v[0:1]
	global_load_dwordx4 v[6:9], v[0:1], off
	global_load_dwordx4 v[26:29], v[0:1], off offset:16
	global_load_dwordx4 v[30:33], v[0:1], off offset:32
	;; [unrolled: 1-line block ×3, first 2 shown]
	s_waitcnt vmcnt(3)
	v_fmac_f64_e32 v[22:23], v[2:3], v[6:7]
	v_fmac_f64_e32 v[24:25], v[4:5], v[6:7]
	s_waitcnt vmcnt(2)
	v_fmac_f64_e32 v[18:19], v[2:3], v[26:27]
	v_fmac_f64_e32 v[20:21], v[4:5], v[26:27]
	;; [unrolled: 3-line block ×4, first 2 shown]
	v_fma_f64 v[22:23], -v[4:5], v[8:9], v[22:23]
	v_fmac_f64_e32 v[24:25], v[2:3], v[8:9]
	v_fma_f64 v[18:19], -v[4:5], v[28:29], v[18:19]
	v_fmac_f64_e32 v[20:21], v[2:3], v[28:29]
	;; [unrolled: 2-line block ×4, first 2 shown]
	global_store_dwordx4 v[0:1], v[22:25], off
	global_store_dwordx4 v[0:1], v[18:21], off offset:16
	global_store_dwordx4 v[0:1], v[14:17], off offset:32
	;; [unrolled: 1-line block ×3, first 2 shown]
	s_endpgm
	.section	.rodata,"a",@progbits
	.p2align	6, 0x0
	.amdhsa_kernel _ZN9rocsparseL18bsrxmvn_4x4_kernelILj128ELj16E21rocsparse_complex_numIdElldS2_S2_EEvT3_20rocsparse_direction_NS_24const_host_device_scalarIT1_EES3_PKS3_PKT2_SC_S9_PKT4_PKT5_S7_PT6_21rocsparse_index_base_b
		.amdhsa_group_segment_fixed_size 0
		.amdhsa_private_segment_fixed_size 0
		.amdhsa_kernarg_size 120
		.amdhsa_user_sgpr_count 2
		.amdhsa_user_sgpr_dispatch_ptr 0
		.amdhsa_user_sgpr_queue_ptr 0
		.amdhsa_user_sgpr_kernarg_segment_ptr 1
		.amdhsa_user_sgpr_dispatch_id 0
		.amdhsa_user_sgpr_kernarg_preload_length 0
		.amdhsa_user_sgpr_kernarg_preload_offset 0
		.amdhsa_user_sgpr_private_segment_size 0
		.amdhsa_uses_dynamic_stack 0
		.amdhsa_enable_private_segment 0
		.amdhsa_system_sgpr_workgroup_id_x 1
		.amdhsa_system_sgpr_workgroup_id_y 0
		.amdhsa_system_sgpr_workgroup_id_z 0
		.amdhsa_system_sgpr_workgroup_info 0
		.amdhsa_system_vgpr_workitem_id 0
		.amdhsa_next_free_vgpr 116
		.amdhsa_next_free_sgpr 21
		.amdhsa_accum_offset 116
		.amdhsa_reserve_vcc 1
		.amdhsa_float_round_mode_32 0
		.amdhsa_float_round_mode_16_64 0
		.amdhsa_float_denorm_mode_32 3
		.amdhsa_float_denorm_mode_16_64 3
		.amdhsa_dx10_clamp 1
		.amdhsa_ieee_mode 1
		.amdhsa_fp16_overflow 0
		.amdhsa_tg_split 0
		.amdhsa_exception_fp_ieee_invalid_op 0
		.amdhsa_exception_fp_denorm_src 0
		.amdhsa_exception_fp_ieee_div_zero 0
		.amdhsa_exception_fp_ieee_overflow 0
		.amdhsa_exception_fp_ieee_underflow 0
		.amdhsa_exception_fp_ieee_inexact 0
		.amdhsa_exception_int_div_zero 0
	.end_amdhsa_kernel
	.section	.text._ZN9rocsparseL18bsrxmvn_4x4_kernelILj128ELj16E21rocsparse_complex_numIdElldS2_S2_EEvT3_20rocsparse_direction_NS_24const_host_device_scalarIT1_EES3_PKS3_PKT2_SC_S9_PKT4_PKT5_S7_PT6_21rocsparse_index_base_b,"axG",@progbits,_ZN9rocsparseL18bsrxmvn_4x4_kernelILj128ELj16E21rocsparse_complex_numIdElldS2_S2_EEvT3_20rocsparse_direction_NS_24const_host_device_scalarIT1_EES3_PKS3_PKT2_SC_S9_PKT4_PKT5_S7_PT6_21rocsparse_index_base_b,comdat
.Lfunc_end147:
	.size	_ZN9rocsparseL18bsrxmvn_4x4_kernelILj128ELj16E21rocsparse_complex_numIdElldS2_S2_EEvT3_20rocsparse_direction_NS_24const_host_device_scalarIT1_EES3_PKS3_PKT2_SC_S9_PKT4_PKT5_S7_PT6_21rocsparse_index_base_b, .Lfunc_end147-_ZN9rocsparseL18bsrxmvn_4x4_kernelILj128ELj16E21rocsparse_complex_numIdElldS2_S2_EEvT3_20rocsparse_direction_NS_24const_host_device_scalarIT1_EES3_PKS3_PKT2_SC_S9_PKT4_PKT5_S7_PT6_21rocsparse_index_base_b
                                        ; -- End function
	.set _ZN9rocsparseL18bsrxmvn_4x4_kernelILj128ELj16E21rocsparse_complex_numIdElldS2_S2_EEvT3_20rocsparse_direction_NS_24const_host_device_scalarIT1_EES3_PKS3_PKT2_SC_S9_PKT4_PKT5_S7_PT6_21rocsparse_index_base_b.num_vgpr, 116
	.set _ZN9rocsparseL18bsrxmvn_4x4_kernelILj128ELj16E21rocsparse_complex_numIdElldS2_S2_EEvT3_20rocsparse_direction_NS_24const_host_device_scalarIT1_EES3_PKS3_PKT2_SC_S9_PKT4_PKT5_S7_PT6_21rocsparse_index_base_b.num_agpr, 0
	.set _ZN9rocsparseL18bsrxmvn_4x4_kernelILj128ELj16E21rocsparse_complex_numIdElldS2_S2_EEvT3_20rocsparse_direction_NS_24const_host_device_scalarIT1_EES3_PKS3_PKT2_SC_S9_PKT4_PKT5_S7_PT6_21rocsparse_index_base_b.numbered_sgpr, 21
	.set _ZN9rocsparseL18bsrxmvn_4x4_kernelILj128ELj16E21rocsparse_complex_numIdElldS2_S2_EEvT3_20rocsparse_direction_NS_24const_host_device_scalarIT1_EES3_PKS3_PKT2_SC_S9_PKT4_PKT5_S7_PT6_21rocsparse_index_base_b.num_named_barrier, 0
	.set _ZN9rocsparseL18bsrxmvn_4x4_kernelILj128ELj16E21rocsparse_complex_numIdElldS2_S2_EEvT3_20rocsparse_direction_NS_24const_host_device_scalarIT1_EES3_PKS3_PKT2_SC_S9_PKT4_PKT5_S7_PT6_21rocsparse_index_base_b.private_seg_size, 0
	.set _ZN9rocsparseL18bsrxmvn_4x4_kernelILj128ELj16E21rocsparse_complex_numIdElldS2_S2_EEvT3_20rocsparse_direction_NS_24const_host_device_scalarIT1_EES3_PKS3_PKT2_SC_S9_PKT4_PKT5_S7_PT6_21rocsparse_index_base_b.uses_vcc, 1
	.set _ZN9rocsparseL18bsrxmvn_4x4_kernelILj128ELj16E21rocsparse_complex_numIdElldS2_S2_EEvT3_20rocsparse_direction_NS_24const_host_device_scalarIT1_EES3_PKS3_PKT2_SC_S9_PKT4_PKT5_S7_PT6_21rocsparse_index_base_b.uses_flat_scratch, 0
	.set _ZN9rocsparseL18bsrxmvn_4x4_kernelILj128ELj16E21rocsparse_complex_numIdElldS2_S2_EEvT3_20rocsparse_direction_NS_24const_host_device_scalarIT1_EES3_PKS3_PKT2_SC_S9_PKT4_PKT5_S7_PT6_21rocsparse_index_base_b.has_dyn_sized_stack, 0
	.set _ZN9rocsparseL18bsrxmvn_4x4_kernelILj128ELj16E21rocsparse_complex_numIdElldS2_S2_EEvT3_20rocsparse_direction_NS_24const_host_device_scalarIT1_EES3_PKS3_PKT2_SC_S9_PKT4_PKT5_S7_PT6_21rocsparse_index_base_b.has_recursion, 0
	.set _ZN9rocsparseL18bsrxmvn_4x4_kernelILj128ELj16E21rocsparse_complex_numIdElldS2_S2_EEvT3_20rocsparse_direction_NS_24const_host_device_scalarIT1_EES3_PKS3_PKT2_SC_S9_PKT4_PKT5_S7_PT6_21rocsparse_index_base_b.has_indirect_call, 0
	.section	.AMDGPU.csdata,"",@progbits
; Kernel info:
; codeLenInByte = 7284
; TotalNumSgprs: 27
; NumVgprs: 116
; NumAgprs: 0
; TotalNumVgprs: 116
; ScratchSize: 0
; MemoryBound: 0
; FloatMode: 240
; IeeeMode: 1
; LDSByteSize: 0 bytes/workgroup (compile time only)
; SGPRBlocks: 3
; VGPRBlocks: 14
; NumSGPRsForWavesPerEU: 27
; NumVGPRsForWavesPerEU: 116
; AccumOffset: 116
; Occupancy: 4
; WaveLimiterHint : 1
; COMPUTE_PGM_RSRC2:SCRATCH_EN: 0
; COMPUTE_PGM_RSRC2:USER_SGPR: 2
; COMPUTE_PGM_RSRC2:TRAP_HANDLER: 0
; COMPUTE_PGM_RSRC2:TGID_X_EN: 1
; COMPUTE_PGM_RSRC2:TGID_Y_EN: 0
; COMPUTE_PGM_RSRC2:TGID_Z_EN: 0
; COMPUTE_PGM_RSRC2:TIDIG_COMP_CNT: 0
; COMPUTE_PGM_RSRC3_GFX90A:ACCUM_OFFSET: 28
; COMPUTE_PGM_RSRC3_GFX90A:TG_SPLIT: 0
	.section	.text._ZN9rocsparseL18bsrxmvn_4x4_kernelILj128ELj32E21rocsparse_complex_numIdElldS2_S2_EEvT3_20rocsparse_direction_NS_24const_host_device_scalarIT1_EES3_PKS3_PKT2_SC_S9_PKT4_PKT5_S7_PT6_21rocsparse_index_base_b,"axG",@progbits,_ZN9rocsparseL18bsrxmvn_4x4_kernelILj128ELj32E21rocsparse_complex_numIdElldS2_S2_EEvT3_20rocsparse_direction_NS_24const_host_device_scalarIT1_EES3_PKS3_PKT2_SC_S9_PKT4_PKT5_S7_PT6_21rocsparse_index_base_b,comdat
	.globl	_ZN9rocsparseL18bsrxmvn_4x4_kernelILj128ELj32E21rocsparse_complex_numIdElldS2_S2_EEvT3_20rocsparse_direction_NS_24const_host_device_scalarIT1_EES3_PKS3_PKT2_SC_S9_PKT4_PKT5_S7_PT6_21rocsparse_index_base_b ; -- Begin function _ZN9rocsparseL18bsrxmvn_4x4_kernelILj128ELj32E21rocsparse_complex_numIdElldS2_S2_EEvT3_20rocsparse_direction_NS_24const_host_device_scalarIT1_EES3_PKS3_PKT2_SC_S9_PKT4_PKT5_S7_PT6_21rocsparse_index_base_b
	.p2align	8
	.type	_ZN9rocsparseL18bsrxmvn_4x4_kernelILj128ELj32E21rocsparse_complex_numIdElldS2_S2_EEvT3_20rocsparse_direction_NS_24const_host_device_scalarIT1_EES3_PKS3_PKT2_SC_S9_PKT4_PKT5_S7_PT6_21rocsparse_index_base_b,@function
_ZN9rocsparseL18bsrxmvn_4x4_kernelILj128ELj32E21rocsparse_complex_numIdElldS2_S2_EEvT3_20rocsparse_direction_NS_24const_host_device_scalarIT1_EES3_PKS3_PKT2_SC_S9_PKT4_PKT5_S7_PT6_21rocsparse_index_base_b: ; @_ZN9rocsparseL18bsrxmvn_4x4_kernelILj128ELj32E21rocsparse_complex_numIdElldS2_S2_EEvT3_20rocsparse_direction_NS_24const_host_device_scalarIT1_EES3_PKS3_PKT2_SC_S9_PKT4_PKT5_S7_PT6_21rocsparse_index_base_b
; %bb.0:
	s_load_dwordx2 s[4:5], s[0:1], 0x10
	s_load_dwordx2 s[6:7], s[0:1], 0x70
	s_add_u32 s3, s0, 16
	s_addc_u32 s10, s1, 0
	s_add_u32 s11, s0, 0x58
	s_load_dwordx2 s[8:9], s[0:1], 0x58
	s_addc_u32 s12, s1, 0
	s_waitcnt lgkmcnt(0)
	s_bitcmp1_b32 s7, 0
	s_cselect_b32 s5, s10, s5
	s_cselect_b32 s3, s3, s4
	v_mov_b32_e32 v2, s3
	v_mov_b32_e32 v3, s5
	flat_load_dwordx4 v[6:9], v[2:3]
	s_cselect_b32 s3, s12, s9
	s_cselect_b32 s4, s11, s8
	v_mov_b32_e32 v2, s4
	v_mov_b32_e32 v3, s3
	flat_load_dwordx4 v[2:5], v[2:3]
	s_waitcnt vmcnt(0) lgkmcnt(0)
	v_cmp_eq_f64_e32 vcc, 0, v[6:7]
	v_cmp_eq_f64_e64 s[4:5], 0, v[8:9]
	s_and_b64 s[10:11], vcc, s[4:5]
	s_mov_b64 s[4:5], -1
	s_and_saveexec_b64 s[8:9], s[10:11]
; %bb.1:
	v_cmp_neq_f64_e32 vcc, 1.0, v[2:3]
	v_cmp_neq_f64_e64 s[4:5], 0, v[4:5]
	s_or_b64 s[4:5], vcc, s[4:5]
	s_orn2_b64 s[4:5], s[4:5], exec
; %bb.2:
	s_or_b64 exec, exec, s[8:9]
	s_and_saveexec_b64 s[8:9], s[4:5]
	s_cbranch_execz .LBB148_8
; %bb.3:
	s_load_dwordx2 s[4:5], s[0:1], 0x28
	v_lshrrev_b32_e32 v1, 5, v0
	v_lshl_or_b32 v10, s2, 2, v1
	v_mov_b32_e32 v11, 0
	s_mov_b64 s[2:3], 0
	s_waitcnt lgkmcnt(0)
	s_cmp_lg_u64 s[4:5], 0
	s_cbranch_scc0 .LBB148_9
; %bb.4:
	s_load_dwordx2 s[8:9], s[0:1], 0x20
                                        ; implicit-def: $vgpr66_vgpr67
                                        ; implicit-def: $vgpr68_vgpr69
	s_waitcnt lgkmcnt(0)
	v_cmp_gt_i64_e32 vcc, s[8:9], v[10:11]
	s_and_saveexec_b64 s[8:9], vcc
	s_xor_b64 s[8:9], exec, s[8:9]
	s_cbranch_execz .LBB148_6
; %bb.5:
	v_lshl_add_u64 v[12:13], v[10:11], 3, s[4:5]
	global_load_dwordx2 v[12:13], v[12:13], off
	s_mov_b32 s7, 0
	s_mov_b64 s[2:3], exec
	v_mov_b64_e32 v[68:69], s[6:7]
	s_waitcnt vmcnt(0)
	v_subrev_co_u32_e32 v66, vcc, s6, v12
	s_nop 1
	v_subbrev_co_u32_e32 v67, vcc, 0, v13, vcc
.LBB148_6:
	s_or_b64 exec, exec, s[8:9]
.LBB148_7:
	s_and_b64 exec, exec, s[2:3]
	s_cbranch_execnz .LBB148_13
.LBB148_8:
	s_endpgm
.LBB148_9:
                                        ; implicit-def: $vgpr66_vgpr67
                                        ; implicit-def: $vgpr68_vgpr69
	s_cbranch_execz .LBB148_7
; %bb.10:
	s_load_dwordx2 s[4:5], s[0:1], 0x0
	s_waitcnt lgkmcnt(0)
	v_cmp_gt_i64_e32 vcc, s[4:5], v[10:11]
	s_and_saveexec_b64 s[4:5], vcc
; %bb.11:
	s_mov_b32 s7, 0
	s_or_b64 s[2:3], s[2:3], exec
; %bb.12:
	s_or_b64 exec, exec, s[4:5]
	v_mov_b64_e32 v[68:69], s[6:7]
	v_mov_b64_e32 v[66:67], v[10:11]
	s_and_b64 exec, exec, s[2:3]
	s_cbranch_execz .LBB148_8
.LBB148_13:
	s_load_dwordx8 s[4:11], s[0:1], 0x30
	v_lshlrev_b64 v[10:11], 3, v[66:67]
	v_and_b32_e32 v0, 31, v0
	v_mov_b32_e32 v1, 0
	s_waitcnt lgkmcnt(0)
	v_lshl_add_u64 v[12:13], s[4:5], 0, v[10:11]
	s_cmp_eq_u64 s[6:7], 0
	v_lshl_add_u64 v[10:11], s[6:7], 0, v[10:11]
	global_load_dwordx2 v[22:23], v[12:13], off
	v_lshl_add_u64 v[12:13], v[12:13], 0, 8
	s_cselect_b64 vcc, -1, 0
	v_cndmask_b32_e32 v11, v11, v13, vcc
	v_cndmask_b32_e32 v10, v10, v12, vcc
	global_load_dwordx2 v[10:11], v[10:11], off
	s_load_dword s2, s[0:1], 0x8
	s_load_dwordx2 s[4:5], s[0:1], 0x50
	s_waitcnt lgkmcnt(0)
	s_cmp_eq_u32 s2, 1
	s_waitcnt vmcnt(1)
	v_sub_co_u32_e32 v12, vcc, v22, v68
	s_nop 1
	v_subb_co_u32_e32 v13, vcc, v23, v69, vcc
	v_lshl_add_u64 v[76:77], v[12:13], 0, v[0:1]
	s_waitcnt vmcnt(0)
	v_sub_co_u32_e32 v78, vcc, v10, v68
	s_nop 1
	v_subb_co_u32_e32 v79, vcc, v11, v69, vcc
	v_lshlrev_b64 v[10:11], 7, v[76:77]
	v_lshl_add_u64 v[82:83], s[10:11], 0, v[10:11]
	v_cmp_lt_i64_e64 s[2:3], v[76:77], v[78:79]
	s_cbranch_scc1 .LBB148_25
; %bb.14:
	v_mov_b64_e32 v[86:87], 0
	v_mov_b64_e32 v[90:91], 0
	;; [unrolled: 1-line block ×8, first 2 shown]
	s_and_saveexec_b64 s[6:7], s[2:3]
	s_cbranch_execz .LBB148_24
; %bb.15:
	v_or_b32_e32 v1, 32, v0
	v_sub_co_u32_e32 v10, vcc, v1, v68
	v_not_b32_e32 v13, v23
	s_nop 0
	v_subb_co_u32_e32 v11, vcc, 0, v69, vcc
	v_lshl_add_u64 v[10:11], v[10:11], 0, v[22:23]
	v_cmp_gt_i64_e32 vcc, v[10:11], v[78:79]
	v_not_b32_e32 v12, v22
	s_mov_b64 s[10:11], 0x60
	v_cndmask_b32_e32 v11, v79, v11, vcc
	v_cndmask_b32_e32 v10, v78, v10, vcc
	v_sub_co_u32_e32 v14, vcc, v68, v0
	v_mov_b64_e32 v[72:73], 0
	s_nop 0
	v_subbrev_co_u32_e32 v15, vcc, 0, v69, vcc
	v_lshl_add_u64 v[12:13], v[14:15], 0, v[12:13]
	v_lshl_add_u64 v[28:29], v[12:13], 0, v[10:11]
	v_and_b32_e32 v10, 0x60, v28
	v_mov_b32_e32 v11, 0
	v_cmp_ne_u64_e32 vcc, s[10:11], v[10:11]
	v_mov_b64_e32 v[70:71], 0
	v_mov_b64_e32 v[80:81], 0
	;; [unrolled: 1-line block ×9, first 2 shown]
	s_and_saveexec_b64 s[10:11], vcc
	s_cbranch_execz .LBB148_19
; %bb.16:
	v_lshrrev_b32_e32 v1, 5, v28
	v_add_u32_e32 v1, 1, v1
	v_and_b32_e32 v1, 3, v1
	v_sub_co_u32_e32 v32, vcc, 0, v1
	v_lshl_add_u64 v[30:31], v[76:77], 3, s[8:9]
	s_nop 0
	v_subb_co_u32_e64 v33, s[14:15], 0, 0, vcc
	s_mov_b64 s[12:13], 0
	v_mov_b64_e32 v[86:87], 0
	s_mov_b64 s[14:15], 0x1000
	s_mov_b64 s[16:17], 0x100
	v_mov_b64_e32 v[26:27], v[76:77]
	v_mov_b64_e32 v[24:25], v[82:83]
	;; [unrolled: 1-line block ×9, first 2 shown]
.LBB148_17:                             ; =>This Inner Loop Header: Depth=1
	global_load_dwordx2 v[54:55], v[30:31], off
	global_load_dwordx4 v[10:13], v[24:25], off offset:48
	global_load_dwordx4 v[18:21], v[24:25], off offset:32
	;; [unrolled: 1-line block ×3, first 2 shown]
	global_load_dwordx4 v[34:37], v[24:25], off
	global_load_dwordx4 v[38:41], v[24:25], off offset:112
	global_load_dwordx4 v[42:45], v[24:25], off offset:96
	;; [unrolled: 1-line block ×4, first 2 shown]
	v_lshl_add_u64 v[32:33], v[32:33], 0, 1
	v_lshl_add_u64 v[24:25], v[24:25], 0, s[14:15]
	;; [unrolled: 1-line block ×4, first 2 shown]
	s_waitcnt vmcnt(8)
	v_sub_co_u32_e32 v54, vcc, v54, v68
	s_nop 1
	v_subb_co_u32_e32 v55, vcc, v55, v69, vcc
	v_lshlrev_b64 v[54:55], 6, v[54:55]
	v_lshl_add_u64 v[96:97], s[4:5], 0, v[54:55]
	global_load_dwordx4 v[54:57], v[96:97], off
	global_load_dwordx4 v[58:61], v[96:97], off offset:16
	global_load_dwordx4 v[62:65], v[96:97], off offset:32
	;; [unrolled: 1-line block ×3, first 2 shown]
	v_cmp_eq_u64_e32 vcc, 0, v[32:33]
	s_or_b64 s[12:13], vcc, s[12:13]
	s_waitcnt vmcnt(3)
	v_fmac_f64_e32 v[90:91], v[34:35], v[54:55]
	v_fmac_f64_e32 v[86:87], 0, v[54:55]
	v_fmac_f64_e32 v[88:89], v[18:19], v[54:55]
	v_fmac_f64_e32 v[84:85], 0, v[54:55]
	v_fmac_f64_e32 v[80:81], v[46:47], v[54:55]
	v_fmac_f64_e32 v[74:75], 0, v[54:55]
	v_fmac_f64_e32 v[72:73], v[42:43], v[54:55]
	v_fmac_f64_e32 v[70:71], 0, v[54:55]
	v_fmac_f64_e32 v[90:91], 0x80000000, v[56:57]
	v_fmac_f64_e32 v[86:87], v[34:35], v[56:57]
	v_fmac_f64_e32 v[88:89], 0x80000000, v[56:57]
	v_fmac_f64_e32 v[84:85], v[18:19], v[56:57]
	v_fmac_f64_e32 v[80:81], 0x80000000, v[56:57]
	v_fmac_f64_e32 v[74:75], v[46:47], v[56:57]
	v_fmac_f64_e32 v[72:73], 0x80000000, v[56:57]
	v_fmac_f64_e32 v[70:71], v[42:43], v[56:57]
	s_waitcnt vmcnt(2)
	v_fmac_f64_e32 v[90:91], v[36:37], v[58:59]
	v_fmac_f64_e32 v[86:87], 0, v[58:59]
	v_fmac_f64_e32 v[88:89], v[20:21], v[58:59]
	v_fmac_f64_e32 v[84:85], 0, v[58:59]
	v_fmac_f64_e32 v[80:81], v[48:49], v[58:59]
	v_fmac_f64_e32 v[74:75], 0, v[58:59]
	v_fmac_f64_e32 v[72:73], v[44:45], v[58:59]
	v_fmac_f64_e32 v[70:71], 0, v[58:59]
	v_fmac_f64_e32 v[86:87], v[36:37], v[60:61]
	v_fmac_f64_e32 v[84:85], v[20:21], v[60:61]
	v_fmac_f64_e32 v[74:75], v[48:49], v[60:61]
	v_fmac_f64_e32 v[90:91], 0x80000000, v[60:61]
	v_fmac_f64_e32 v[88:89], 0x80000000, v[60:61]
	v_fmac_f64_e32 v[80:81], 0x80000000, v[60:61]
	v_fmac_f64_e32 v[72:73], 0x80000000, v[60:61]
	v_fmac_f64_e32 v[70:71], v[44:45], v[60:61]
	;; [unrolled: 17-line block ×4, first 2 shown]
	s_andn2_b64 exec, exec, s[12:13]
	s_cbranch_execnz .LBB148_17
; %bb.18:
	s_or_b64 exec, exec, s[12:13]
.LBB148_19:
	s_or_b64 exec, exec, s[10:11]
	s_mov_b64 s[10:11], 0x5f
	v_cmp_lt_u64_e32 vcc, s[10:11], v[28:29]
	s_and_saveexec_b64 s[10:11], vcc
	s_cbranch_execz .LBB148_23
; %bb.20:
	v_lshl_add_u64 v[10:11], v[26:27], 3, s[8:9]
	s_mov_b64 s[12:13], 0x200
	v_lshl_add_u64 v[10:11], v[10:11], 0, s[12:13]
	s_mov_b64 s[12:13], 0
	s_mov_b64 s[14:15], 0x1000
	;; [unrolled: 1-line block ×3, first 2 shown]
	s_movk_i32 s26, 0x2000
	s_mov_b64 s[18:19], 0x3000
	s_movk_i32 s27, 0x3000
	s_mov_b64 s[20:21], 0x80
	s_mov_b64 s[22:23], 0x400
	;; [unrolled: 1-line block ×3, first 2 shown]
.LBB148_21:                             ; =>This Inner Loop Header: Depth=1
	global_load_dwordx2 v[12:13], v[10:11], off offset:-512
	v_lshl_add_u64 v[52:53], v[24:25], 0, s[14:15]
	v_lshl_add_u64 v[26:27], v[26:27], 0, s[20:21]
	s_waitcnt vmcnt(0)
	v_sub_co_u32_e32 v20, vcc, v12, v68
	s_nop 1
	v_subb_co_u32_e32 v21, vcc, v13, v69, vcc
	v_lshlrev_b64 v[20:21], 6, v[20:21]
	v_lshl_add_u64 v[20:21], s[4:5], 0, v[20:21]
	global_load_dwordx4 v[12:15], v[24:25], off offset:48
	global_load_dwordx4 v[16:19], v[24:25], off offset:32
	;; [unrolled: 1-line block ×3, first 2 shown]
	global_load_dwordx4 v[32:35], v[24:25], off
	global_load_dwordx4 v[36:39], v[20:21], off offset:48
	global_load_dwordx4 v[40:43], v[20:21], off offset:32
	;; [unrolled: 1-line block ×3, first 2 shown]
	global_load_dwordx4 v[48:51], v[20:21], off
	s_waitcnt vmcnt(0)
	v_fmac_f64_e32 v[86:87], 0, v[48:49]
	v_fmac_f64_e32 v[84:85], 0, v[48:49]
	;; [unrolled: 1-line block ×30, first 2 shown]
	global_load_dwordx4 v[12:15], v[24:25], off offset:112
	global_load_dwordx4 v[16:19], v[24:25], off offset:96
	;; [unrolled: 1-line block ×4, first 2 shown]
	v_fmac_f64_e32 v[70:71], 0, v[48:49]
	v_fmac_f64_e32 v[74:75], 0, v[48:49]
	;; [unrolled: 1-line block ×4, first 2 shown]
	s_waitcnt vmcnt(2)
	v_fmac_f64_e32 v[72:73], v[16:17], v[48:49]
	v_fmac_f64_e32 v[70:71], v[16:17], v[50:51]
	;; [unrolled: 1-line block ×10, first 2 shown]
	global_load_dwordx2 v[12:13], v[10:11], off offset:-256
	s_waitcnt vmcnt(1)
	v_fmac_f64_e32 v[80:81], v[32:33], v[48:49]
	v_fmac_f64_e32 v[80:81], 0x80000000, v[50:51]
	;; [unrolled: 1-line block ×20, first 2 shown]
	s_waitcnt vmcnt(0)
	v_sub_co_u32_e32 v36, vcc, v12, v68
	s_nop 1
	v_subb_co_u32_e32 v37, vcc, v13, v69, vcc
	v_add_co_u32_e32 v12, vcc, s26, v24
	v_lshlrev_b64 v[36:37], 6, v[36:37]
	s_nop 0
	v_addc_co_u32_e32 v13, vcc, 0, v25, vcc
	v_lshl_add_u64 v[54:55], s[4:5], 0, v[36:37]
	global_load_dwordx4 v[14:17], v[12:13], off offset:-4096
	global_load_dwordx4 v[18:21], v[52:53], off offset:48
	global_load_dwordx4 v[28:31], v[52:53], off offset:32
	;; [unrolled: 1-line block ×6, first 2 shown]
	global_load_dwordx4 v[48:51], v[54:55], off
	s_waitcnt vmcnt(0)
	v_fmac_f64_e32 v[86:87], 0, v[48:49]
	v_fmac_f64_e32 v[84:85], 0, v[48:49]
	;; [unrolled: 1-line block ×30, first 2 shown]
	global_load_dwordx4 v[14:17], v[52:53], off offset:112
	global_load_dwordx4 v[18:21], v[52:53], off offset:96
	;; [unrolled: 1-line block ×4, first 2 shown]
	v_fmac_f64_e32 v[70:71], 0, v[48:49]
	v_fmac_f64_e32 v[74:75], 0, v[48:49]
	;; [unrolled: 1-line block ×4, first 2 shown]
	s_waitcnt vmcnt(2)
	v_fmac_f64_e32 v[72:73], v[18:19], v[48:49]
	v_fmac_f64_e32 v[70:71], v[18:19], v[50:51]
	;; [unrolled: 1-line block ×10, first 2 shown]
	global_load_dwordx2 v[14:15], v[10:11], off
	s_waitcnt vmcnt(1)
	v_fmac_f64_e32 v[80:81], v[32:33], v[48:49]
	v_fmac_f64_e32 v[80:81], 0x80000000, v[50:51]
	v_fmac_f64_e32 v[74:75], v[32:33], v[50:51]
	v_fmac_f64_e32 v[80:81], v[34:35], v[44:45]
	v_fmac_f64_e32 v[74:75], 0, v[44:45]
	v_fmac_f64_e32 v[80:81], 0x80000000, v[46:47]
	v_fmac_f64_e32 v[74:75], v[34:35], v[46:47]
	v_fmac_f64_e32 v[80:81], v[28:29], v[40:41]
	v_fmac_f64_e32 v[74:75], 0, v[40:41]
	v_fmac_f64_e32 v[80:81], 0x80000000, v[42:43]
	v_fmac_f64_e32 v[74:75], v[28:29], v[42:43]
	v_fmac_f64_e32 v[72:73], 0x80000000, v[42:43]
	v_fmac_f64_e32 v[80:81], v[30:31], v[36:37]
	v_fmac_f64_e32 v[74:75], 0, v[36:37]
	v_fmac_f64_e32 v[72:73], v[16:17], v[36:37]
	v_fmac_f64_e32 v[70:71], 0, v[36:37]
	v_fmac_f64_e32 v[80:81], 0x80000000, v[38:39]
	v_fmac_f64_e32 v[74:75], v[30:31], v[38:39]
	v_fmac_f64_e32 v[72:73], 0x80000000, v[38:39]
	v_fmac_f64_e32 v[70:71], v[16:17], v[38:39]
	v_lshl_add_u64 v[20:21], v[24:25], 0, s[16:17]
	global_load_dwordx4 v[16:19], v[12:13], off
	global_load_dwordx4 v[28:31], v[20:21], off offset:48
	global_load_dwordx4 v[32:35], v[20:21], off offset:32
	;; [unrolled: 1-line block ×3, first 2 shown]
	s_waitcnt vmcnt(4)
	v_sub_co_u32_e32 v14, vcc, v14, v68
	s_nop 1
	v_subb_co_u32_e32 v15, vcc, v15, v69, vcc
	v_lshlrev_b64 v[12:13], 6, v[14:15]
	v_lshl_add_u64 v[52:53], s[4:5], 0, v[12:13]
	global_load_dwordx4 v[12:15], v[52:53], off offset:48
	global_load_dwordx4 v[40:43], v[52:53], off offset:32
	global_load_dwordx4 v[44:47], v[52:53], off offset:16
	global_load_dwordx4 v[48:51], v[52:53], off
	v_lshl_add_u64 v[52:53], v[24:25], 0, s[18:19]
	s_waitcnt vmcnt(0)
	v_fmac_f64_e32 v[86:87], 0, v[48:49]
	v_fmac_f64_e32 v[84:85], 0, v[48:49]
	;; [unrolled: 1-line block ×30, first 2 shown]
	global_load_dwordx4 v[16:19], v[20:21], off offset:112
	global_load_dwordx4 v[28:31], v[20:21], off offset:96
	;; [unrolled: 1-line block ×4, first 2 shown]
	v_fmac_f64_e32 v[74:75], 0, v[48:49]
	v_fmac_f64_e32 v[70:71], 0, v[48:49]
	v_fmac_f64_e32 v[90:91], 0x80000000, v[14:15]
	v_fmac_f64_e32 v[88:89], 0x80000000, v[14:15]
	s_waitcnt vmcnt(2)
	v_fmac_f64_e32 v[72:73], v[28:29], v[48:49]
	v_fmac_f64_e32 v[72:73], 0x80000000, v[50:51]
	s_waitcnt vmcnt(0)
	v_fmac_f64_e32 v[80:81], v[36:37], v[48:49]
	v_fmac_f64_e32 v[80:81], 0x80000000, v[50:51]
	;; [unrolled: 1-line block ×24, first 2 shown]
	global_load_dwordx2 v[12:13], v[10:11], off offset:256
	v_fmac_f64_e32 v[80:81], 0x80000000, v[14:15]
	v_fmac_f64_e32 v[74:75], v[34:35], v[14:15]
	;; [unrolled: 1-line block ×4, first 2 shown]
	v_lshl_add_u64 v[10:11], v[10:11], 0, s[22:23]
	s_waitcnt vmcnt(0)
	v_sub_co_u32_e32 v20, vcc, v12, v68
	s_nop 1
	v_subb_co_u32_e32 v21, vcc, v13, v69, vcc
	v_add_co_u32_e32 v36, vcc, s27, v24
	v_lshlrev_b64 v[20:21], 6, v[20:21]
	s_nop 0
	v_addc_co_u32_e32 v37, vcc, 0, v25, vcc
	v_lshl_add_u64 v[20:21], s[4:5], 0, v[20:21]
	global_load_dwordx4 v[12:15], v[36:37], off
	global_load_dwordx4 v[16:19], v[52:53], off offset:48
	global_load_dwordx4 v[28:31], v[52:53], off offset:32
	;; [unrolled: 1-line block ×3, first 2 shown]
	s_nop 0
	global_load_dwordx4 v[36:39], v[20:21], off offset:48
	global_load_dwordx4 v[40:43], v[20:21], off offset:32
	;; [unrolled: 1-line block ×3, first 2 shown]
	global_load_dwordx4 v[48:51], v[20:21], off
	v_cmp_ge_i64_e32 vcc, v[26:27], v[78:79]
	v_lshl_add_u64 v[24:25], v[24:25], 0, s[24:25]
	s_or_b64 s[12:13], vcc, s[12:13]
	s_waitcnt vmcnt(0)
	v_fmac_f64_e32 v[86:87], 0, v[48:49]
	v_fmac_f64_e32 v[84:85], 0, v[48:49]
	;; [unrolled: 1-line block ×30, first 2 shown]
	global_load_dwordx4 v[12:15], v[52:53], off offset:112
	global_load_dwordx4 v[16:19], v[52:53], off offset:96
	;; [unrolled: 1-line block ×4, first 2 shown]
	v_fmac_f64_e32 v[74:75], 0, v[48:49]
	v_fmac_f64_e32 v[70:71], 0, v[48:49]
	;; [unrolled: 1-line block ×4, first 2 shown]
	s_waitcnt vmcnt(2)
	v_fmac_f64_e32 v[72:73], v[16:17], v[48:49]
	v_fmac_f64_e32 v[72:73], 0x80000000, v[50:51]
	s_waitcnt vmcnt(0)
	v_fmac_f64_e32 v[80:81], v[32:33], v[48:49]
	v_fmac_f64_e32 v[80:81], 0x80000000, v[50:51]
	;; [unrolled: 1-line block ×28, first 2 shown]
	s_andn2_b64 exec, exec, s[12:13]
	s_cbranch_execnz .LBB148_21
; %bb.22:
	s_or_b64 exec, exec, s[12:13]
.LBB148_23:
	s_or_b64 exec, exec, s[10:11]
.LBB148_24:
	s_or_b64 exec, exec, s[6:7]
	s_cbranch_execz .LBB148_26
	s_branch .LBB148_37
.LBB148_25:
                                        ; implicit-def: $vgpr86_vgpr87
                                        ; implicit-def: $vgpr90_vgpr91
                                        ; implicit-def: $vgpr84_vgpr85
                                        ; implicit-def: $vgpr88_vgpr89
                                        ; implicit-def: $vgpr74_vgpr75
                                        ; implicit-def: $vgpr80_vgpr81
                                        ; implicit-def: $vgpr70_vgpr71
                                        ; implicit-def: $vgpr72_vgpr73
.LBB148_26:
	v_mov_b64_e32 v[86:87], 0
	v_mov_b64_e32 v[90:91], 0
	;; [unrolled: 1-line block ×8, first 2 shown]
	s_and_saveexec_b64 s[6:7], s[2:3]
	s_cbranch_execz .LBB148_36
; %bb.27:
	v_or_b32_e32 v1, 32, v0
	v_sub_co_u32_e32 v10, vcc, v1, v68
	v_not_b32_e32 v13, v23
	s_nop 0
	v_subb_co_u32_e32 v11, vcc, 0, v69, vcc
	v_lshl_add_u64 v[10:11], v[10:11], 0, v[22:23]
	v_cmp_gt_i64_e32 vcc, v[10:11], v[78:79]
	v_not_b32_e32 v12, v22
	s_mov_b64 s[2:3], 0x60
	v_cndmask_b32_e32 v11, v79, v11, vcc
	v_cndmask_b32_e32 v10, v78, v10, vcc
	v_sub_co_u32_e32 v14, vcc, v68, v0
	v_mov_b64_e32 v[72:73], 0
	s_nop 0
	v_subbrev_co_u32_e32 v15, vcc, 0, v69, vcc
	v_lshl_add_u64 v[12:13], v[14:15], 0, v[12:13]
	v_lshl_add_u64 v[10:11], v[12:13], 0, v[10:11]
	v_and_b32_e32 v12, 0x60, v10
	v_mov_b32_e32 v13, 0
	v_cmp_ne_u64_e32 vcc, s[2:3], v[12:13]
	v_mov_b64_e32 v[70:71], 0
	v_mov_b64_e32 v[80:81], 0
	;; [unrolled: 1-line block ×7, first 2 shown]
	s_and_saveexec_b64 s[2:3], vcc
	s_cbranch_execz .LBB148_31
; %bb.28:
	v_lshrrev_b32_e32 v1, 5, v10
	v_add_u32_e32 v1, 1, v1
	v_and_b32_e32 v1, 3, v1
	v_sub_co_u32_e32 v14, vcc, 0, v1
	v_lshl_add_u64 v[12:13], v[76:77], 3, s[8:9]
	s_nop 0
	v_subb_co_u32_e64 v15, s[12:13], 0, 0, vcc
	s_mov_b64 s[10:11], 0
	v_mov_b64_e32 v[86:87], 0
	s_mov_b64 s[12:13], 0x1000
	s_mov_b64 s[14:15], 0x100
	v_mov_b64_e32 v[90:91], 0
	v_mov_b64_e32 v[84:85], 0
	;; [unrolled: 1-line block ×7, first 2 shown]
.LBB148_29:                             ; =>This Inner Loop Header: Depth=1
	global_load_dwordx2 v[44:45], v[12:13], off
	global_load_dwordx4 v[16:19], v[82:83], off offset:48
	global_load_dwordx4 v[20:23], v[82:83], off offset:32
	;; [unrolled: 1-line block ×3, first 2 shown]
	global_load_dwordx4 v[28:31], v[82:83], off
	global_load_dwordx4 v[32:35], v[82:83], off offset:96
	global_load_dwordx4 v[36:39], v[82:83], off offset:80
	;; [unrolled: 1-line block ×3, first 2 shown]
	v_lshl_add_u64 v[14:15], v[14:15], 0, 1
	v_lshl_add_u64 v[76:77], v[76:77], 0, 32
	v_lshl_add_u64 v[12:13], v[12:13], 0, s[14:15]
	s_waitcnt vmcnt(7)
	v_sub_co_u32_e32 v44, vcc, v44, v68
	s_nop 1
	v_subb_co_u32_e32 v45, vcc, v45, v69, vcc
	v_lshlrev_b64 v[44:45], 6, v[44:45]
	v_lshl_add_u64 v[64:65], s[4:5], 0, v[44:45]
	global_load_dwordx4 v[44:47], v[64:65], off
	global_load_dwordx4 v[48:51], v[64:65], off offset:16
	global_load_dwordx4 v[52:55], v[64:65], off offset:32
	;; [unrolled: 1-line block ×4, first 2 shown]
	v_cmp_eq_u64_e32 vcc, 0, v[14:15]
	v_lshl_add_u64 v[82:83], v[82:83], 0, s[12:13]
	s_or_b64 s[10:11], vcc, s[10:11]
	s_waitcnt vmcnt(4)
	v_fmac_f64_e32 v[90:91], v[28:29], v[44:45]
	v_fmac_f64_e32 v[86:87], 0, v[44:45]
	v_fmac_f64_e32 v[88:89], v[30:31], v[44:45]
	v_fmac_f64_e32 v[84:85], 0, v[44:45]
	v_fmac_f64_e32 v[80:81], v[24:25], v[44:45]
	v_fmac_f64_e32 v[74:75], 0, v[44:45]
	v_fmac_f64_e32 v[72:73], v[26:27], v[44:45]
	v_fmac_f64_e32 v[70:71], 0, v[44:45]
	v_fmac_f64_e32 v[90:91], 0x80000000, v[46:47]
	v_fmac_f64_e32 v[86:87], v[28:29], v[46:47]
	v_fmac_f64_e32 v[88:89], 0x80000000, v[46:47]
	v_fmac_f64_e32 v[84:85], v[30:31], v[46:47]
	v_fmac_f64_e32 v[80:81], 0x80000000, v[46:47]
	v_fmac_f64_e32 v[74:75], v[24:25], v[46:47]
	v_fmac_f64_e32 v[72:73], 0x80000000, v[46:47]
	v_fmac_f64_e32 v[70:71], v[26:27], v[46:47]
	s_waitcnt vmcnt(3)
	v_fmac_f64_e32 v[90:91], v[20:21], v[48:49]
	v_fmac_f64_e32 v[86:87], 0, v[48:49]
	v_fmac_f64_e32 v[88:89], v[22:23], v[48:49]
	v_fmac_f64_e32 v[84:85], 0, v[48:49]
	v_fmac_f64_e32 v[80:81], v[16:17], v[48:49]
	v_fmac_f64_e32 v[74:75], 0, v[48:49]
	v_fmac_f64_e32 v[72:73], v[18:19], v[48:49]
	v_fmac_f64_e32 v[70:71], 0, v[48:49]
	v_fmac_f64_e32 v[90:91], 0x80000000, v[50:51]
	v_fmac_f64_e32 v[86:87], v[20:21], v[50:51]
	v_fmac_f64_e32 v[88:89], 0x80000000, v[50:51]
	v_fmac_f64_e32 v[84:85], v[22:23], v[50:51]
	v_fmac_f64_e32 v[80:81], 0x80000000, v[50:51]
	v_fmac_f64_e32 v[74:75], v[16:17], v[50:51]
	v_fmac_f64_e32 v[72:73], 0x80000000, v[50:51]
	v_fmac_f64_e32 v[70:71], v[18:19], v[50:51]
	;; [unrolled: 17-line block ×3, first 2 shown]
	s_waitcnt vmcnt(1)
	v_fmac_f64_e32 v[90:91], v[32:33], v[56:57]
	v_fmac_f64_e32 v[86:87], 0, v[56:57]
	;; [unrolled: 1-line block ×4, first 2 shown]
	s_waitcnt vmcnt(0)
	v_fmac_f64_e32 v[80:81], v[60:61], v[56:57]
	v_fmac_f64_e32 v[74:75], 0, v[56:57]
	v_fmac_f64_e32 v[72:73], v[62:63], v[56:57]
	v_fmac_f64_e32 v[70:71], 0, v[56:57]
	v_fmac_f64_e32 v[90:91], 0x80000000, v[58:59]
	v_fmac_f64_e32 v[86:87], v[32:33], v[58:59]
	v_fmac_f64_e32 v[88:89], 0x80000000, v[58:59]
	v_fmac_f64_e32 v[84:85], v[34:35], v[58:59]
	v_fmac_f64_e32 v[80:81], 0x80000000, v[58:59]
	v_fmac_f64_e32 v[74:75], v[60:61], v[58:59]
	v_fmac_f64_e32 v[72:73], 0x80000000, v[58:59]
	v_fmac_f64_e32 v[70:71], v[62:63], v[58:59]
	s_andn2_b64 exec, exec, s[10:11]
	s_cbranch_execnz .LBB148_29
; %bb.30:
	s_or_b64 exec, exec, s[10:11]
.LBB148_31:
	s_or_b64 exec, exec, s[2:3]
	s_mov_b64 s[2:3], 0x5f
	v_cmp_lt_u64_e32 vcc, s[2:3], v[10:11]
	s_and_saveexec_b64 s[10:11], vcc
	s_cbranch_execz .LBB148_35
; %bb.32:
	v_lshl_add_u64 v[10:11], v[76:77], 3, s[8:9]
	s_mov_b64 s[2:3], 0x200
	v_lshl_add_u64 v[92:93], v[10:11], 0, s[2:3]
	s_mov_b64 s[8:9], 0
	s_mov_b64 s[12:13], 0x1000
	;; [unrolled: 1-line block ×3, first 2 shown]
	s_movk_i32 s24, 0x2000
	s_mov_b64 s[16:17], 0x3000
	s_movk_i32 s25, 0x3000
	s_mov_b64 s[18:19], 0x80
	s_mov_b64 s[20:21], 0x400
	;; [unrolled: 1-line block ×3, first 2 shown]
.LBB148_33:                             ; =>This Inner Loop Header: Depth=1
	global_load_dwordx2 v[42:43], v[92:93], off offset:-512
	global_load_dwordx4 v[10:13], v[82:83], off offset:48
	global_load_dwordx4 v[14:17], v[82:83], off offset:32
	;; [unrolled: 1-line block ×3, first 2 shown]
	global_load_dwordx4 v[22:25], v[82:83], off
	global_load_dwordx4 v[26:29], v[82:83], off offset:112
	global_load_dwordx4 v[30:33], v[82:83], off offset:96
	;; [unrolled: 1-line block ×4, first 2 shown]
	v_add_co_u32_e32 v44, vcc, s24, v82
	v_add_co_u32_e64 v114, s[2:3], s25, v82
	s_nop 0
	v_addc_co_u32_e32 v45, vcc, 0, v83, vcc
	v_addc_co_u32_e64 v115, vcc, 0, v83, s[2:3]
	global_load_dwordx2 v[52:53], v[92:93], off offset:-256
	global_load_dwordx2 v[48:49], v[92:93], off
	global_load_dwordx2 v[110:111], v[92:93], off offset:256
	v_lshl_add_u64 v[46:47], v[82:83], 0, s[12:13]
	global_load_dwordx4 v[54:57], v[46:47], off offset:48
	global_load_dwordx4 v[62:65], v[46:47], off offset:112
	;; [unrolled: 1-line block ×3, first 2 shown]
	v_lshl_add_u64 v[50:51], v[82:83], 0, s[14:15]
	v_lshl_add_u64 v[112:113], v[82:83], 0, s[16:17]
	global_load_dwordx4 v[98:101], v[50:51], off offset:96
	global_load_dwordx4 v[102:105], v[50:51], off offset:80
	v_lshl_add_u64 v[76:77], v[76:77], 0, s[18:19]
	v_lshl_add_u64 v[92:93], v[92:93], 0, s[20:21]
	;; [unrolled: 1-line block ×3, first 2 shown]
	global_load_dwordx4 v[106:109], v[50:51], off offset:64
	s_waitcnt vmcnt(17)
	v_sub_co_u32_e32 v42, vcc, v42, v68
	s_nop 1
	v_subb_co_u32_e32 v43, vcc, v43, v69, vcc
	v_lshlrev_b64 v[42:43], 6, v[42:43]
	v_lshl_add_u64 v[42:43], s[4:5], 0, v[42:43]
	global_load_dwordx4 v[58:61], v[42:43], off
	s_waitcnt vmcnt(0)
	v_fmac_f64_e32 v[90:91], v[22:23], v[58:59]
	v_fmac_f64_e32 v[86:87], 0, v[58:59]
	;; [unrolled: 1-line block ×16, first 2 shown]
	global_load_dwordx4 v[58:61], v[42:43], off offset:16
	global_load_dwordx4 v[22:25], v[46:47], off offset:32
	;; [unrolled: 1-line block ×3, first 2 shown]
	s_waitcnt vmcnt(2)
	v_fmac_f64_e32 v[74:75], 0, v[58:59]
	v_fmac_f64_e32 v[70:71], 0, v[58:59]
	;; [unrolled: 1-line block ×6, first 2 shown]
	global_load_dwordx4 v[10:13], v[42:43], off offset:32
	v_fmac_f64_e32 v[90:91], v[14:15], v[58:59]
	v_fmac_f64_e32 v[86:87], 0, v[58:59]
	v_fmac_f64_e32 v[88:89], v[16:17], v[58:59]
	v_fmac_f64_e32 v[84:85], 0, v[58:59]
	v_fmac_f64_e32 v[86:87], v[14:15], v[60:61]
	v_fmac_f64_e32 v[84:85], v[16:17], v[60:61]
	v_fmac_f64_e32 v[90:91], 0x80000000, v[60:61]
	v_fmac_f64_e32 v[88:89], 0x80000000, v[60:61]
	v_fmac_f64_e32 v[80:81], 0x80000000, v[60:61]
	v_fmac_f64_e32 v[72:73], 0x80000000, v[60:61]
	global_load_dwordx4 v[14:17], v[46:47], off offset:80
	global_load_dwordx4 v[58:61], v[50:51], off offset:16
	s_waitcnt vmcnt(2)
	v_fmac_f64_e32 v[90:91], v[38:39], v[10:11]
	v_fmac_f64_e32 v[86:87], 0, v[10:11]
	;; [unrolled: 1-line block ×16, first 2 shown]
	global_load_dwordx4 v[10:13], v[42:43], off offset:48
	global_load_dwordx4 v[34:37], v[46:47], off offset:64
	;; [unrolled: 1-line block ×3, first 2 shown]
	s_waitcnt vmcnt(2)
	v_fmac_f64_e32 v[74:75], 0, v[10:11]
	v_fmac_f64_e32 v[70:71], 0, v[10:11]
	v_fmac_f64_e32 v[80:81], v[26:27], v[10:11]
	v_fmac_f64_e32 v[72:73], v[28:29], v[10:11]
	v_fmac_f64_e32 v[74:75], v[26:27], v[12:13]
	v_fmac_f64_e32 v[70:71], v[28:29], v[12:13]
	global_load_dwordx4 v[26:29], v[44:45], off offset:-4096
	v_sub_co_u32_e32 v46, vcc, v52, v68
	v_fmac_f64_e32 v[90:91], v[30:31], v[10:11]
	s_nop 0
	v_subb_co_u32_e32 v47, vcc, v53, v69, vcc
	v_fmac_f64_e32 v[86:87], 0, v[10:11]
	v_fmac_f64_e32 v[88:89], v[32:33], v[10:11]
	;; [unrolled: 1-line block ×3, first 2 shown]
	v_lshlrev_b64 v[10:11], 6, v[46:47]
	v_lshl_add_u64 v[42:43], s[4:5], 0, v[10:11]
	v_fmac_f64_e32 v[86:87], v[30:31], v[12:13]
	v_fmac_f64_e32 v[84:85], v[32:33], v[12:13]
	global_load_dwordx4 v[30:33], v[42:43], off
	v_fmac_f64_e32 v[80:81], 0x80000000, v[12:13]
	v_fmac_f64_e32 v[72:73], 0x80000000, v[12:13]
	;; [unrolled: 1-line block ×4, first 2 shown]
	global_load_dwordx4 v[10:13], v[50:51], off offset:112
	s_waitcnt vmcnt(1)
	v_fmac_f64_e32 v[74:75], 0, v[30:31]
	v_fmac_f64_e32 v[70:71], 0, v[30:31]
	v_fmac_f64_e32 v[80:81], v[18:19], v[30:31]
	v_fmac_f64_e32 v[72:73], v[20:21], v[30:31]
	v_fmac_f64_e32 v[74:75], v[18:19], v[32:33]
	v_fmac_f64_e32 v[70:71], v[20:21], v[32:33]
	global_load_dwordx4 v[18:21], v[42:43], off offset:16
	v_fmac_f64_e32 v[90:91], v[26:27], v[30:31]
	v_fmac_f64_e32 v[86:87], 0, v[30:31]
	;; [unrolled: 1-line block ×10, first 2 shown]
	s_waitcnt vmcnt(0)
	v_fmac_f64_e32 v[90:91], v[22:23], v[18:19]
	v_fmac_f64_e32 v[86:87], 0, v[18:19]
	;; [unrolled: 1-line block ×16, first 2 shown]
	global_load_dwordx4 v[18:21], v[42:43], off offset:32
	global_load_dwordx4 v[52:55], v[50:51], off offset:48
	s_waitcnt vmcnt(1)
	v_fmac_f64_e32 v[90:91], v[34:35], v[18:19]
	v_fmac_f64_e32 v[86:87], 0, v[18:19]
	;; [unrolled: 1-line block ×12, first 2 shown]
	global_load_dwordx4 v[14:17], v[112:113], off offset:48
	v_fmac_f64_e32 v[90:91], 0x80000000, v[20:21]
	v_fmac_f64_e32 v[88:89], 0x80000000, v[20:21]
	;; [unrolled: 1-line block ×4, first 2 shown]
	global_load_dwordx4 v[22:25], v[112:113], off offset:32
	global_load_dwordx4 v[18:21], v[42:43], off offset:48
	global_load_dwordx4 v[26:29], v[44:45], off
	global_load_dwordx4 v[30:33], v[112:113], off offset:16
	s_waitcnt vmcnt(2)
	v_fmac_f64_e32 v[90:91], v[94:95], v[18:19]
	v_fmac_f64_e32 v[86:87], 0, v[18:19]
	;; [unrolled: 1-line block ×8, first 2 shown]
	v_sub_co_u32_e32 v18, vcc, v48, v68
	v_fmac_f64_e32 v[86:87], v[94:95], v[20:21]
	s_nop 0
	v_subb_co_u32_e32 v19, vcc, v49, v69, vcc
	v_lshlrev_b64 v[18:19], 6, v[18:19]
	v_lshl_add_u64 v[46:47], s[4:5], 0, v[18:19]
	global_load_dwordx4 v[34:37], v[46:47], off
	global_load_dwordx4 v[42:45], v[46:47], off offset:16
	v_fmac_f64_e32 v[84:85], v[96:97], v[20:21]
	v_fmac_f64_e32 v[74:75], v[62:63], v[20:21]
	;; [unrolled: 1-line block ×7, first 2 shown]
	global_load_dwordx4 v[18:21], v[112:113], off offset:112
	s_waitcnt vmcnt(2)
	v_fmac_f64_e32 v[90:91], v[26:27], v[34:35]
	v_fmac_f64_e32 v[86:87], 0, v[34:35]
	;; [unrolled: 1-line block ×16, first 2 shown]
	s_waitcnt vmcnt(1)
	v_fmac_f64_e32 v[90:91], v[38:39], v[42:43]
	v_fmac_f64_e32 v[86:87], 0, v[42:43]
	;; [unrolled: 1-line block ×8, first 2 shown]
	v_sub_co_u32_e32 v42, vcc, v110, v68
	global_load_dwordx4 v[26:29], v[112:113], off offset:96
	s_nop 0
	v_subb_co_u32_e32 v43, vcc, v111, v69, vcc
	v_lshlrev_b64 v[42:43], 6, v[42:43]
	v_fmac_f64_e32 v[86:87], v[38:39], v[44:45]
	v_fmac_f64_e32 v[84:85], v[40:41], v[44:45]
	global_load_dwordx4 v[34:37], v[112:113], off offset:80
	global_load_dwordx4 v[38:41], v[112:113], off offset:64
	v_fmac_f64_e32 v[74:75], v[52:53], v[44:45]
	v_fmac_f64_e32 v[70:71], v[54:55], v[44:45]
	global_load_dwordx4 v[50:53], v[114:115], off
	v_lshl_add_u64 v[94:95], s[4:5], 0, v[42:43]
	v_fmac_f64_e32 v[90:91], 0x80000000, v[44:45]
	v_fmac_f64_e32 v[88:89], 0x80000000, v[44:45]
	;; [unrolled: 1-line block ×4, first 2 shown]
	global_load_dwordx4 v[42:45], v[46:47], off offset:32
	global_load_dwordx4 v[62:65], v[46:47], off offset:48
	global_load_dwordx4 v[58:61], v[94:95], off
	global_load_dwordx4 v[54:57], v[94:95], off offset:16
	v_cmp_ge_i64_e32 vcc, v[76:77], v[78:79]
	global_load_dwordx4 v[46:49], v[94:95], off offset:32
	s_or_b64 s[8:9], vcc, s[8:9]
	s_waitcnt vmcnt(4)
	v_fmac_f64_e32 v[90:91], v[106:107], v[42:43]
	v_fmac_f64_e32 v[86:87], 0, v[42:43]
	;; [unrolled: 1-line block ×16, first 2 shown]
	global_load_dwordx4 v[42:45], v[94:95], off offset:48
	s_waitcnt vmcnt(4)
	v_fmac_f64_e32 v[90:91], v[98:99], v[62:63]
	v_fmac_f64_e32 v[86:87], 0, v[62:63]
	v_fmac_f64_e32 v[88:89], v[100:101], v[62:63]
	v_fmac_f64_e32 v[84:85], 0, v[62:63]
	v_fmac_f64_e32 v[80:81], v[10:11], v[62:63]
	v_fmac_f64_e32 v[74:75], 0, v[62:63]
	v_fmac_f64_e32 v[72:73], v[12:13], v[62:63]
	v_fmac_f64_e32 v[70:71], 0, v[62:63]
	v_fmac_f64_e32 v[86:87], v[98:99], v[64:65]
	v_fmac_f64_e32 v[84:85], v[100:101], v[64:65]
	v_fmac_f64_e32 v[90:91], 0x80000000, v[64:65]
	v_fmac_f64_e32 v[88:89], 0x80000000, v[64:65]
	v_fmac_f64_e32 v[80:81], 0x80000000, v[64:65]
	v_fmac_f64_e32 v[74:75], v[10:11], v[64:65]
	v_fmac_f64_e32 v[72:73], 0x80000000, v[64:65]
	v_fmac_f64_e32 v[70:71], v[12:13], v[64:65]
	s_waitcnt vmcnt(3)
	v_fmac_f64_e32 v[90:91], v[50:51], v[58:59]
	v_fmac_f64_e32 v[86:87], 0, v[58:59]
	v_fmac_f64_e32 v[88:89], v[52:53], v[58:59]
	v_fmac_f64_e32 v[84:85], 0, v[58:59]
	v_fmac_f64_e32 v[80:81], v[30:31], v[58:59]
	v_fmac_f64_e32 v[74:75], 0, v[58:59]
	v_fmac_f64_e32 v[72:73], v[32:33], v[58:59]
	v_fmac_f64_e32 v[70:71], 0, v[58:59]
	v_fmac_f64_e32 v[90:91], 0x80000000, v[60:61]
	v_fmac_f64_e32 v[86:87], v[50:51], v[60:61]
	v_fmac_f64_e32 v[88:89], 0x80000000, v[60:61]
	v_fmac_f64_e32 v[84:85], v[52:53], v[60:61]
	v_fmac_f64_e32 v[80:81], 0x80000000, v[60:61]
	v_fmac_f64_e32 v[74:75], v[30:31], v[60:61]
	v_fmac_f64_e32 v[72:73], 0x80000000, v[60:61]
	v_fmac_f64_e32 v[70:71], v[32:33], v[60:61]
	s_waitcnt vmcnt(2)
	v_fmac_f64_e32 v[90:91], v[22:23], v[54:55]
	v_fmac_f64_e32 v[86:87], 0, v[54:55]
	v_fmac_f64_e32 v[88:89], v[24:25], v[54:55]
	v_fmac_f64_e32 v[84:85], 0, v[54:55]
	v_fmac_f64_e32 v[80:81], v[14:15], v[54:55]
	v_fmac_f64_e32 v[74:75], 0, v[54:55]
	v_fmac_f64_e32 v[72:73], v[16:17], v[54:55]
	v_fmac_f64_e32 v[70:71], 0, v[54:55]
	v_fmac_f64_e32 v[90:91], 0x80000000, v[56:57]
	v_fmac_f64_e32 v[86:87], v[22:23], v[56:57]
	v_fmac_f64_e32 v[88:89], 0x80000000, v[56:57]
	v_fmac_f64_e32 v[84:85], v[24:25], v[56:57]
	v_fmac_f64_e32 v[80:81], 0x80000000, v[56:57]
	v_fmac_f64_e32 v[74:75], v[14:15], v[56:57]
	v_fmac_f64_e32 v[72:73], 0x80000000, v[56:57]
	v_fmac_f64_e32 v[70:71], v[16:17], v[56:57]
	s_waitcnt vmcnt(1)
	v_fmac_f64_e32 v[90:91], v[38:39], v[46:47]
	v_fmac_f64_e32 v[86:87], 0, v[46:47]
	v_fmac_f64_e32 v[88:89], v[40:41], v[46:47]
	v_fmac_f64_e32 v[84:85], 0, v[46:47]
	v_fmac_f64_e32 v[80:81], v[34:35], v[46:47]
	v_fmac_f64_e32 v[74:75], 0, v[46:47]
	v_fmac_f64_e32 v[72:73], v[36:37], v[46:47]
	v_fmac_f64_e32 v[70:71], 0, v[46:47]
	v_fmac_f64_e32 v[90:91], 0x80000000, v[48:49]
	v_fmac_f64_e32 v[86:87], v[38:39], v[48:49]
	v_fmac_f64_e32 v[88:89], 0x80000000, v[48:49]
	v_fmac_f64_e32 v[84:85], v[40:41], v[48:49]
	v_fmac_f64_e32 v[80:81], 0x80000000, v[48:49]
	v_fmac_f64_e32 v[74:75], v[34:35], v[48:49]
	v_fmac_f64_e32 v[72:73], 0x80000000, v[48:49]
	v_fmac_f64_e32 v[70:71], v[36:37], v[48:49]
	s_waitcnt vmcnt(0)
	v_fmac_f64_e32 v[90:91], v[26:27], v[42:43]
	v_fmac_f64_e32 v[86:87], 0, v[42:43]
	v_fmac_f64_e32 v[88:89], v[28:29], v[42:43]
	v_fmac_f64_e32 v[84:85], 0, v[42:43]
	v_fmac_f64_e32 v[80:81], v[18:19], v[42:43]
	v_fmac_f64_e32 v[74:75], 0, v[42:43]
	v_fmac_f64_e32 v[72:73], v[20:21], v[42:43]
	v_fmac_f64_e32 v[70:71], 0, v[42:43]
	v_fmac_f64_e32 v[90:91], 0x80000000, v[44:45]
	v_fmac_f64_e32 v[86:87], v[26:27], v[44:45]
	v_fmac_f64_e32 v[88:89], 0x80000000, v[44:45]
	v_fmac_f64_e32 v[84:85], v[28:29], v[44:45]
	v_fmac_f64_e32 v[80:81], 0x80000000, v[44:45]
	v_fmac_f64_e32 v[74:75], v[18:19], v[44:45]
	v_fmac_f64_e32 v[72:73], 0x80000000, v[44:45]
	v_fmac_f64_e32 v[70:71], v[20:21], v[44:45]
	s_andn2_b64 exec, exec, s[8:9]
	s_cbranch_execnz .LBB148_33
; %bb.34:
	s_or_b64 exec, exec, s[8:9]
.LBB148_35:
	s_or_b64 exec, exec, s[10:11]
.LBB148_36:
	s_or_b64 exec, exec, s[6:7]
.LBB148_37:
	v_mov_b32_dpp v10, v90 row_shr:1 row_mask:0xf bank_mask:0xf
	v_mov_b32_dpp v11, v91 row_shr:1 row_mask:0xf bank_mask:0xf
	v_mov_b32_dpp v14, v86 row_shr:1 row_mask:0xf bank_mask:0xf
	v_mov_b32_dpp v15, v87 row_shr:1 row_mask:0xf bank_mask:0xf
	v_mov_b32_dpp v18, v88 row_shr:1 row_mask:0xf bank_mask:0xf
	v_mov_b32_dpp v19, v89 row_shr:1 row_mask:0xf bank_mask:0xf
	v_mov_b32_dpp v22, v84 row_shr:1 row_mask:0xf bank_mask:0xf
	v_mov_b32_dpp v23, v85 row_shr:1 row_mask:0xf bank_mask:0xf
	v_mov_b32_dpp v26, v80 row_shr:1 row_mask:0xf bank_mask:0xf
	v_mov_b32_dpp v27, v81 row_shr:1 row_mask:0xf bank_mask:0xf
	v_mov_b32_dpp v30, v74 row_shr:1 row_mask:0xf bank_mask:0xf
	v_mov_b32_dpp v31, v75 row_shr:1 row_mask:0xf bank_mask:0xf
	v_mov_b32_dpp v34, v72 row_shr:1 row_mask:0xf bank_mask:0xf
	v_mov_b32_dpp v35, v73 row_shr:1 row_mask:0xf bank_mask:0xf
	v_mov_b32_dpp v38, v70 row_shr:1 row_mask:0xf bank_mask:0xf
	v_mov_b32_dpp v39, v71 row_shr:1 row_mask:0xf bank_mask:0xf
	v_add_f64 v[10:11], v[90:91], v[10:11]
	v_add_f64 v[14:15], v[86:87], v[14:15]
	v_add_f64 v[18:19], v[88:89], v[18:19]
	v_add_f64 v[22:23], v[84:85], v[22:23]
	v_add_f64 v[26:27], v[80:81], v[26:27]
	v_add_f64 v[30:31], v[74:75], v[30:31]
	v_add_f64 v[34:35], v[72:73], v[34:35]
	v_add_f64 v[38:39], v[70:71], v[38:39]
	v_mov_b32_dpp v12, v10 row_shr:2 row_mask:0xf bank_mask:0xf
	v_mov_b32_dpp v13, v11 row_shr:2 row_mask:0xf bank_mask:0xf
	v_mov_b32_dpp v16, v14 row_shr:2 row_mask:0xf bank_mask:0xf
	v_mov_b32_dpp v17, v15 row_shr:2 row_mask:0xf bank_mask:0xf
	v_mov_b32_dpp v20, v18 row_shr:2 row_mask:0xf bank_mask:0xf
	v_mov_b32_dpp v21, v19 row_shr:2 row_mask:0xf bank_mask:0xf
	v_mov_b32_dpp v24, v22 row_shr:2 row_mask:0xf bank_mask:0xf
	v_mov_b32_dpp v25, v23 row_shr:2 row_mask:0xf bank_mask:0xf
	v_mov_b32_dpp v28, v26 row_shr:2 row_mask:0xf bank_mask:0xf
	v_mov_b32_dpp v29, v27 row_shr:2 row_mask:0xf bank_mask:0xf
	v_mov_b32_dpp v32, v30 row_shr:2 row_mask:0xf bank_mask:0xf
	v_mov_b32_dpp v33, v31 row_shr:2 row_mask:0xf bank_mask:0xf
	v_mov_b32_dpp v36, v34 row_shr:2 row_mask:0xf bank_mask:0xf
	v_mov_b32_dpp v37, v35 row_shr:2 row_mask:0xf bank_mask:0xf
	v_mov_b32_dpp v40, v38 row_shr:2 row_mask:0xf bank_mask:0xf
	v_mov_b32_dpp v41, v39 row_shr:2 row_mask:0xf bank_mask:0xf
	v_add_f64 v[10:11], v[10:11], v[12:13]
	v_add_f64 v[14:15], v[14:15], v[16:17]
	v_add_f64 v[18:19], v[18:19], v[20:21]
	v_add_f64 v[22:23], v[22:23], v[24:25]
	v_add_f64 v[26:27], v[26:27], v[28:29]
	v_add_f64 v[30:31], v[30:31], v[32:33]
	v_add_f64 v[34:35], v[34:35], v[36:37]
	v_add_f64 v[38:39], v[38:39], v[40:41]
	;; [unrolled: 24-line block ×4, first 2 shown]
	v_mov_b32_dpp v12, v10 row_bcast:15 row_mask:0xa bank_mask:0xf
	v_mov_b32_dpp v13, v11 row_bcast:15 row_mask:0xa bank_mask:0xf
	;; [unrolled: 1-line block ×16, first 2 shown]
	v_cmp_eq_u32_e32 vcc, 31, v0
	s_and_b64 exec, exec, vcc
	s_cbranch_execz .LBB148_8
; %bb.38:
	s_load_dwordx2 s[2:3], s[0:1], 0x68
	v_add_f64 v[0:1], v[10:11], v[12:13]
	v_add_f64 v[10:11], v[14:15], v[16:17]
	;; [unrolled: 1-line block ×8, first 2 shown]
	v_cmp_eq_f64_e32 vcc, 0, v[2:3]
	v_cmp_eq_f64_e64 s[0:1], 0, v[4:5]
	v_mul_f64 v[22:23], v[10:11], -v[8:9]
	v_mul_f64 v[24:25], v[6:7], v[10:11]
	v_mul_f64 v[18:19], v[12:13], -v[8:9]
	v_mul_f64 v[20:21], v[6:7], v[12:13]
	;; [unrolled: 2-line block ×4, first 2 shown]
	s_and_b64 s[0:1], vcc, s[0:1]
	v_fmac_f64_e32 v[22:23], v[6:7], v[0:1]
	v_fmac_f64_e32 v[24:25], v[8:9], v[0:1]
	v_lshlrev_b64 v[0:1], 6, v[66:67]
	v_fmac_f64_e32 v[18:19], v[6:7], v[42:43]
	v_fmac_f64_e32 v[20:21], v[8:9], v[42:43]
	;; [unrolled: 1-line block ×6, first 2 shown]
	s_and_saveexec_b64 s[4:5], s[0:1]
	s_xor_b64 s[0:1], exec, s[4:5]
	s_cbranch_execz .LBB148_40
; %bb.39:
	s_waitcnt lgkmcnt(0)
	v_lshl_add_u64 v[0:1], s[2:3], 0, v[0:1]
	global_store_dwordx4 v[0:1], v[22:25], off
	global_store_dwordx4 v[0:1], v[18:21], off offset:16
	global_store_dwordx4 v[0:1], v[14:17], off offset:32
	;; [unrolled: 1-line block ×3, first 2 shown]
                                        ; implicit-def: $vgpr4_vgpr5
                                        ; implicit-def: $vgpr22_vgpr23
                                        ; implicit-def: $vgpr0_vgpr1
                                        ; implicit-def: $vgpr18_vgpr19
                                        ; implicit-def: $vgpr14_vgpr15
                                        ; implicit-def: $vgpr10_vgpr11
.LBB148_40:
	s_andn2_saveexec_b64 s[0:1], s[0:1]
	s_cbranch_execz .LBB148_8
; %bb.41:
	s_waitcnt lgkmcnt(0)
	v_lshl_add_u64 v[0:1], s[2:3], 0, v[0:1]
	global_load_dwordx4 v[6:9], v[0:1], off
	global_load_dwordx4 v[26:29], v[0:1], off offset:16
	global_load_dwordx4 v[30:33], v[0:1], off offset:32
	global_load_dwordx4 v[34:37], v[0:1], off offset:48
	s_waitcnt vmcnt(3)
	v_fmac_f64_e32 v[22:23], v[2:3], v[6:7]
	v_fmac_f64_e32 v[24:25], v[4:5], v[6:7]
	s_waitcnt vmcnt(2)
	v_fmac_f64_e32 v[18:19], v[2:3], v[26:27]
	v_fmac_f64_e32 v[20:21], v[4:5], v[26:27]
	;; [unrolled: 3-line block ×4, first 2 shown]
	v_fma_f64 v[22:23], -v[4:5], v[8:9], v[22:23]
	v_fmac_f64_e32 v[24:25], v[2:3], v[8:9]
	v_fma_f64 v[18:19], -v[4:5], v[28:29], v[18:19]
	v_fmac_f64_e32 v[20:21], v[2:3], v[28:29]
	;; [unrolled: 2-line block ×4, first 2 shown]
	global_store_dwordx4 v[0:1], v[22:25], off
	global_store_dwordx4 v[0:1], v[18:21], off offset:16
	global_store_dwordx4 v[0:1], v[14:17], off offset:32
	;; [unrolled: 1-line block ×3, first 2 shown]
	s_endpgm
	.section	.rodata,"a",@progbits
	.p2align	6, 0x0
	.amdhsa_kernel _ZN9rocsparseL18bsrxmvn_4x4_kernelILj128ELj32E21rocsparse_complex_numIdElldS2_S2_EEvT3_20rocsparse_direction_NS_24const_host_device_scalarIT1_EES3_PKS3_PKT2_SC_S9_PKT4_PKT5_S7_PT6_21rocsparse_index_base_b
		.amdhsa_group_segment_fixed_size 0
		.amdhsa_private_segment_fixed_size 0
		.amdhsa_kernarg_size 120
		.amdhsa_user_sgpr_count 2
		.amdhsa_user_sgpr_dispatch_ptr 0
		.amdhsa_user_sgpr_queue_ptr 0
		.amdhsa_user_sgpr_kernarg_segment_ptr 1
		.amdhsa_user_sgpr_dispatch_id 0
		.amdhsa_user_sgpr_kernarg_preload_length 0
		.amdhsa_user_sgpr_kernarg_preload_offset 0
		.amdhsa_user_sgpr_private_segment_size 0
		.amdhsa_uses_dynamic_stack 0
		.amdhsa_enable_private_segment 0
		.amdhsa_system_sgpr_workgroup_id_x 1
		.amdhsa_system_sgpr_workgroup_id_y 0
		.amdhsa_system_sgpr_workgroup_id_z 0
		.amdhsa_system_sgpr_workgroup_info 0
		.amdhsa_system_vgpr_workitem_id 0
		.amdhsa_next_free_vgpr 116
		.amdhsa_next_free_sgpr 28
		.amdhsa_accum_offset 116
		.amdhsa_reserve_vcc 1
		.amdhsa_float_round_mode_32 0
		.amdhsa_float_round_mode_16_64 0
		.amdhsa_float_denorm_mode_32 3
		.amdhsa_float_denorm_mode_16_64 3
		.amdhsa_dx10_clamp 1
		.amdhsa_ieee_mode 1
		.amdhsa_fp16_overflow 0
		.amdhsa_tg_split 0
		.amdhsa_exception_fp_ieee_invalid_op 0
		.amdhsa_exception_fp_denorm_src 0
		.amdhsa_exception_fp_ieee_div_zero 0
		.amdhsa_exception_fp_ieee_overflow 0
		.amdhsa_exception_fp_ieee_underflow 0
		.amdhsa_exception_fp_ieee_inexact 0
		.amdhsa_exception_int_div_zero 0
	.end_amdhsa_kernel
	.section	.text._ZN9rocsparseL18bsrxmvn_4x4_kernelILj128ELj32E21rocsparse_complex_numIdElldS2_S2_EEvT3_20rocsparse_direction_NS_24const_host_device_scalarIT1_EES3_PKS3_PKT2_SC_S9_PKT4_PKT5_S7_PT6_21rocsparse_index_base_b,"axG",@progbits,_ZN9rocsparseL18bsrxmvn_4x4_kernelILj128ELj32E21rocsparse_complex_numIdElldS2_S2_EEvT3_20rocsparse_direction_NS_24const_host_device_scalarIT1_EES3_PKS3_PKT2_SC_S9_PKT4_PKT5_S7_PT6_21rocsparse_index_base_b,comdat
.Lfunc_end148:
	.size	_ZN9rocsparseL18bsrxmvn_4x4_kernelILj128ELj32E21rocsparse_complex_numIdElldS2_S2_EEvT3_20rocsparse_direction_NS_24const_host_device_scalarIT1_EES3_PKS3_PKT2_SC_S9_PKT4_PKT5_S7_PT6_21rocsparse_index_base_b, .Lfunc_end148-_ZN9rocsparseL18bsrxmvn_4x4_kernelILj128ELj32E21rocsparse_complex_numIdElldS2_S2_EEvT3_20rocsparse_direction_NS_24const_host_device_scalarIT1_EES3_PKS3_PKT2_SC_S9_PKT4_PKT5_S7_PT6_21rocsparse_index_base_b
                                        ; -- End function
	.set _ZN9rocsparseL18bsrxmvn_4x4_kernelILj128ELj32E21rocsparse_complex_numIdElldS2_S2_EEvT3_20rocsparse_direction_NS_24const_host_device_scalarIT1_EES3_PKS3_PKT2_SC_S9_PKT4_PKT5_S7_PT6_21rocsparse_index_base_b.num_vgpr, 116
	.set _ZN9rocsparseL18bsrxmvn_4x4_kernelILj128ELj32E21rocsparse_complex_numIdElldS2_S2_EEvT3_20rocsparse_direction_NS_24const_host_device_scalarIT1_EES3_PKS3_PKT2_SC_S9_PKT4_PKT5_S7_PT6_21rocsparse_index_base_b.num_agpr, 0
	.set _ZN9rocsparseL18bsrxmvn_4x4_kernelILj128ELj32E21rocsparse_complex_numIdElldS2_S2_EEvT3_20rocsparse_direction_NS_24const_host_device_scalarIT1_EES3_PKS3_PKT2_SC_S9_PKT4_PKT5_S7_PT6_21rocsparse_index_base_b.numbered_sgpr, 28
	.set _ZN9rocsparseL18bsrxmvn_4x4_kernelILj128ELj32E21rocsparse_complex_numIdElldS2_S2_EEvT3_20rocsparse_direction_NS_24const_host_device_scalarIT1_EES3_PKS3_PKT2_SC_S9_PKT4_PKT5_S7_PT6_21rocsparse_index_base_b.num_named_barrier, 0
	.set _ZN9rocsparseL18bsrxmvn_4x4_kernelILj128ELj32E21rocsparse_complex_numIdElldS2_S2_EEvT3_20rocsparse_direction_NS_24const_host_device_scalarIT1_EES3_PKS3_PKT2_SC_S9_PKT4_PKT5_S7_PT6_21rocsparse_index_base_b.private_seg_size, 0
	.set _ZN9rocsparseL18bsrxmvn_4x4_kernelILj128ELj32E21rocsparse_complex_numIdElldS2_S2_EEvT3_20rocsparse_direction_NS_24const_host_device_scalarIT1_EES3_PKS3_PKT2_SC_S9_PKT4_PKT5_S7_PT6_21rocsparse_index_base_b.uses_vcc, 1
	.set _ZN9rocsparseL18bsrxmvn_4x4_kernelILj128ELj32E21rocsparse_complex_numIdElldS2_S2_EEvT3_20rocsparse_direction_NS_24const_host_device_scalarIT1_EES3_PKS3_PKT2_SC_S9_PKT4_PKT5_S7_PT6_21rocsparse_index_base_b.uses_flat_scratch, 0
	.set _ZN9rocsparseL18bsrxmvn_4x4_kernelILj128ELj32E21rocsparse_complex_numIdElldS2_S2_EEvT3_20rocsparse_direction_NS_24const_host_device_scalarIT1_EES3_PKS3_PKT2_SC_S9_PKT4_PKT5_S7_PT6_21rocsparse_index_base_b.has_dyn_sized_stack, 0
	.set _ZN9rocsparseL18bsrxmvn_4x4_kernelILj128ELj32E21rocsparse_complex_numIdElldS2_S2_EEvT3_20rocsparse_direction_NS_24const_host_device_scalarIT1_EES3_PKS3_PKT2_SC_S9_PKT4_PKT5_S7_PT6_21rocsparse_index_base_b.has_recursion, 0
	.set _ZN9rocsparseL18bsrxmvn_4x4_kernelILj128ELj32E21rocsparse_complex_numIdElldS2_S2_EEvT3_20rocsparse_direction_NS_24const_host_device_scalarIT1_EES3_PKS3_PKT2_SC_S9_PKT4_PKT5_S7_PT6_21rocsparse_index_base_b.has_indirect_call, 0
	.section	.AMDGPU.csdata,"",@progbits
; Kernel info:
; codeLenInByte = 7632
; TotalNumSgprs: 34
; NumVgprs: 116
; NumAgprs: 0
; TotalNumVgprs: 116
; ScratchSize: 0
; MemoryBound: 0
; FloatMode: 240
; IeeeMode: 1
; LDSByteSize: 0 bytes/workgroup (compile time only)
; SGPRBlocks: 4
; VGPRBlocks: 14
; NumSGPRsForWavesPerEU: 34
; NumVGPRsForWavesPerEU: 116
; AccumOffset: 116
; Occupancy: 4
; WaveLimiterHint : 1
; COMPUTE_PGM_RSRC2:SCRATCH_EN: 0
; COMPUTE_PGM_RSRC2:USER_SGPR: 2
; COMPUTE_PGM_RSRC2:TRAP_HANDLER: 0
; COMPUTE_PGM_RSRC2:TGID_X_EN: 1
; COMPUTE_PGM_RSRC2:TGID_Y_EN: 0
; COMPUTE_PGM_RSRC2:TGID_Z_EN: 0
; COMPUTE_PGM_RSRC2:TIDIG_COMP_CNT: 0
; COMPUTE_PGM_RSRC3_GFX90A:ACCUM_OFFSET: 28
; COMPUTE_PGM_RSRC3_GFX90A:TG_SPLIT: 0
	.section	.text._ZN9rocsparseL18bsrxmvn_4x4_kernelILj128ELj64E21rocsparse_complex_numIdElldS2_S2_EEvT3_20rocsparse_direction_NS_24const_host_device_scalarIT1_EES3_PKS3_PKT2_SC_S9_PKT4_PKT5_S7_PT6_21rocsparse_index_base_b,"axG",@progbits,_ZN9rocsparseL18bsrxmvn_4x4_kernelILj128ELj64E21rocsparse_complex_numIdElldS2_S2_EEvT3_20rocsparse_direction_NS_24const_host_device_scalarIT1_EES3_PKS3_PKT2_SC_S9_PKT4_PKT5_S7_PT6_21rocsparse_index_base_b,comdat
	.globl	_ZN9rocsparseL18bsrxmvn_4x4_kernelILj128ELj64E21rocsparse_complex_numIdElldS2_S2_EEvT3_20rocsparse_direction_NS_24const_host_device_scalarIT1_EES3_PKS3_PKT2_SC_S9_PKT4_PKT5_S7_PT6_21rocsparse_index_base_b ; -- Begin function _ZN9rocsparseL18bsrxmvn_4x4_kernelILj128ELj64E21rocsparse_complex_numIdElldS2_S2_EEvT3_20rocsparse_direction_NS_24const_host_device_scalarIT1_EES3_PKS3_PKT2_SC_S9_PKT4_PKT5_S7_PT6_21rocsparse_index_base_b
	.p2align	8
	.type	_ZN9rocsparseL18bsrxmvn_4x4_kernelILj128ELj64E21rocsparse_complex_numIdElldS2_S2_EEvT3_20rocsparse_direction_NS_24const_host_device_scalarIT1_EES3_PKS3_PKT2_SC_S9_PKT4_PKT5_S7_PT6_21rocsparse_index_base_b,@function
_ZN9rocsparseL18bsrxmvn_4x4_kernelILj128ELj64E21rocsparse_complex_numIdElldS2_S2_EEvT3_20rocsparse_direction_NS_24const_host_device_scalarIT1_EES3_PKS3_PKT2_SC_S9_PKT4_PKT5_S7_PT6_21rocsparse_index_base_b: ; @_ZN9rocsparseL18bsrxmvn_4x4_kernelILj128ELj64E21rocsparse_complex_numIdElldS2_S2_EEvT3_20rocsparse_direction_NS_24const_host_device_scalarIT1_EES3_PKS3_PKT2_SC_S9_PKT4_PKT5_S7_PT6_21rocsparse_index_base_b
; %bb.0:
	s_load_dwordx2 s[4:5], s[0:1], 0x10
	s_load_dwordx2 s[6:7], s[0:1], 0x70
	s_add_u32 s3, s0, 16
	s_addc_u32 s10, s1, 0
	s_add_u32 s11, s0, 0x58
	s_load_dwordx2 s[8:9], s[0:1], 0x58
	s_addc_u32 s12, s1, 0
	s_waitcnt lgkmcnt(0)
	s_bitcmp1_b32 s7, 0
	s_cselect_b32 s5, s10, s5
	s_cselect_b32 s3, s3, s4
	v_mov_b32_e32 v2, s3
	v_mov_b32_e32 v3, s5
	flat_load_dwordx4 v[6:9], v[2:3]
	s_cselect_b32 s3, s12, s9
	s_cselect_b32 s4, s11, s8
	v_mov_b32_e32 v2, s4
	v_mov_b32_e32 v3, s3
	flat_load_dwordx4 v[2:5], v[2:3]
	s_waitcnt vmcnt(0) lgkmcnt(0)
	v_cmp_eq_f64_e32 vcc, 0, v[6:7]
	v_cmp_eq_f64_e64 s[4:5], 0, v[8:9]
	s_and_b64 s[10:11], vcc, s[4:5]
	s_mov_b64 s[4:5], -1
	s_and_saveexec_b64 s[8:9], s[10:11]
; %bb.1:
	v_cmp_neq_f64_e32 vcc, 1.0, v[2:3]
	v_cmp_neq_f64_e64 s[4:5], 0, v[4:5]
	s_or_b64 s[4:5], vcc, s[4:5]
	s_orn2_b64 s[4:5], s[4:5], exec
; %bb.2:
	s_or_b64 exec, exec, s[8:9]
	s_and_saveexec_b64 s[8:9], s[4:5]
	s_cbranch_execz .LBB149_8
; %bb.3:
	s_load_dwordx2 s[4:5], s[0:1], 0x28
	v_lshrrev_b32_e32 v1, 6, v0
	v_lshl_or_b32 v10, s2, 1, v1
	v_mov_b32_e32 v11, 0
	s_mov_b64 s[2:3], 0
	s_waitcnt lgkmcnt(0)
	s_cmp_lg_u64 s[4:5], 0
	s_cbranch_scc0 .LBB149_9
; %bb.4:
	s_load_dwordx2 s[8:9], s[0:1], 0x20
                                        ; implicit-def: $vgpr66_vgpr67
                                        ; implicit-def: $vgpr68_vgpr69
	s_waitcnt lgkmcnt(0)
	v_cmp_gt_i64_e32 vcc, s[8:9], v[10:11]
	s_and_saveexec_b64 s[8:9], vcc
	s_xor_b64 s[8:9], exec, s[8:9]
	s_cbranch_execz .LBB149_6
; %bb.5:
	v_lshl_add_u64 v[12:13], v[10:11], 3, s[4:5]
	global_load_dwordx2 v[12:13], v[12:13], off
	s_mov_b32 s7, 0
	s_mov_b64 s[2:3], exec
	v_mov_b64_e32 v[68:69], s[6:7]
	s_waitcnt vmcnt(0)
	v_subrev_co_u32_e32 v66, vcc, s6, v12
	s_nop 1
	v_subbrev_co_u32_e32 v67, vcc, 0, v13, vcc
.LBB149_6:
	s_or_b64 exec, exec, s[8:9]
.LBB149_7:
	s_and_b64 exec, exec, s[2:3]
	s_cbranch_execnz .LBB149_13
.LBB149_8:
	s_endpgm
.LBB149_9:
                                        ; implicit-def: $vgpr66_vgpr67
                                        ; implicit-def: $vgpr68_vgpr69
	s_cbranch_execz .LBB149_7
; %bb.10:
	s_load_dwordx2 s[4:5], s[0:1], 0x0
	s_waitcnt lgkmcnt(0)
	v_cmp_gt_i64_e32 vcc, s[4:5], v[10:11]
	s_and_saveexec_b64 s[4:5], vcc
; %bb.11:
	s_mov_b32 s7, 0
	s_or_b64 s[2:3], s[2:3], exec
; %bb.12:
	s_or_b64 exec, exec, s[4:5]
	v_mov_b64_e32 v[68:69], s[6:7]
	v_mov_b64_e32 v[66:67], v[10:11]
	s_and_b64 exec, exec, s[2:3]
	s_cbranch_execz .LBB149_8
.LBB149_13:
	s_load_dwordx8 s[4:11], s[0:1], 0x30
	v_lshlrev_b64 v[10:11], 3, v[66:67]
	v_and_b32_e32 v0, 63, v0
	v_mov_b32_e32 v1, 0
	s_waitcnt lgkmcnt(0)
	v_lshl_add_u64 v[12:13], s[4:5], 0, v[10:11]
	s_cmp_eq_u64 s[6:7], 0
	v_lshl_add_u64 v[10:11], s[6:7], 0, v[10:11]
	global_load_dwordx2 v[22:23], v[12:13], off
	v_lshl_add_u64 v[12:13], v[12:13], 0, 8
	s_cselect_b64 vcc, -1, 0
	v_cndmask_b32_e32 v11, v11, v13, vcc
	v_cndmask_b32_e32 v10, v10, v12, vcc
	global_load_dwordx2 v[10:11], v[10:11], off
	s_load_dword s2, s[0:1], 0x8
	s_load_dwordx2 s[6:7], s[0:1], 0x50
	s_waitcnt lgkmcnt(0)
	s_cmp_eq_u32 s2, 1
	s_waitcnt vmcnt(1)
	v_sub_co_u32_e32 v12, vcc, v22, v68
	s_nop 1
	v_subb_co_u32_e32 v13, vcc, v23, v69, vcc
	v_lshl_add_u64 v[78:79], v[12:13], 0, v[0:1]
	s_waitcnt vmcnt(0)
	v_sub_co_u32_e32 v82, vcc, v10, v68
	s_nop 1
	v_subb_co_u32_e32 v83, vcc, v11, v69, vcc
	v_lshlrev_b64 v[10:11], 7, v[78:79]
	v_lshl_add_u64 v[84:85], s[10:11], 0, v[10:11]
	v_cmp_lt_i64_e64 s[2:3], v[78:79], v[82:83]
	s_cbranch_scc1 .LBB149_25
; %bb.14:
	v_mov_b64_e32 v[86:87], 0
	v_mov_b64_e32 v[90:91], 0
	;; [unrolled: 1-line block ×8, first 2 shown]
	s_and_saveexec_b64 s[4:5], s[2:3]
	s_cbranch_execz .LBB149_24
; %bb.15:
	v_or_b32_e32 v1, 64, v0
	v_sub_co_u32_e32 v10, vcc, v1, v68
	v_not_b32_e32 v13, v23
	s_nop 0
	v_subb_co_u32_e32 v11, vcc, 0, v69, vcc
	v_lshl_add_u64 v[10:11], v[10:11], 0, v[22:23]
	v_cmp_gt_i64_e32 vcc, v[10:11], v[82:83]
	v_not_b32_e32 v12, v22
	s_mov_b64 s[10:11], 0xc0
	v_cndmask_b32_e32 v11, v83, v11, vcc
	v_cndmask_b32_e32 v10, v82, v10, vcc
	v_sub_co_u32_e32 v14, vcc, v68, v0
	v_mov_b64_e32 v[72:73], 0
	s_nop 0
	v_subbrev_co_u32_e32 v15, vcc, 0, v69, vcc
	v_lshl_add_u64 v[12:13], v[14:15], 0, v[12:13]
	v_lshl_add_u64 v[28:29], v[12:13], 0, v[10:11]
	v_and_b32_e32 v10, 0xc0, v28
	v_mov_b32_e32 v11, 0
	v_cmp_ne_u64_e32 vcc, s[10:11], v[10:11]
	v_mov_b64_e32 v[70:71], 0
	v_mov_b64_e32 v[76:77], 0
	;; [unrolled: 1-line block ×9, first 2 shown]
	s_and_saveexec_b64 s[10:11], vcc
	s_cbranch_execz .LBB149_19
; %bb.16:
	v_lshrrev_b32_e32 v1, 6, v28
	v_add_u32_e32 v1, 1, v1
	v_and_b32_e32 v1, 3, v1
	v_sub_co_u32_e32 v32, vcc, 0, v1
	v_lshl_add_u64 v[30:31], v[78:79], 3, s[8:9]
	s_nop 0
	v_subb_co_u32_e64 v33, s[14:15], 0, 0, vcc
	s_mov_b64 s[12:13], 0
	v_mov_b64_e32 v[86:87], 0
	s_mov_b64 s[14:15], 0x2000
	s_mov_b64 s[16:17], 0x200
	v_mov_b64_e32 v[26:27], v[78:79]
	v_mov_b64_e32 v[24:25], v[84:85]
	;; [unrolled: 1-line block ×9, first 2 shown]
.LBB149_17:                             ; =>This Inner Loop Header: Depth=1
	global_load_dwordx2 v[54:55], v[30:31], off
	global_load_dwordx4 v[10:13], v[24:25], off offset:48
	global_load_dwordx4 v[18:21], v[24:25], off offset:32
	;; [unrolled: 1-line block ×3, first 2 shown]
	global_load_dwordx4 v[34:37], v[24:25], off
	global_load_dwordx4 v[38:41], v[24:25], off offset:112
	global_load_dwordx4 v[42:45], v[24:25], off offset:96
	;; [unrolled: 1-line block ×4, first 2 shown]
	v_lshl_add_u64 v[32:33], v[32:33], 0, 1
	v_lshl_add_u64 v[24:25], v[24:25], 0, s[14:15]
	;; [unrolled: 1-line block ×4, first 2 shown]
	s_waitcnt vmcnt(8)
	v_sub_co_u32_e32 v54, vcc, v54, v68
	s_nop 1
	v_subb_co_u32_e32 v55, vcc, v55, v69, vcc
	v_lshlrev_b64 v[54:55], 6, v[54:55]
	v_lshl_add_u64 v[96:97], s[6:7], 0, v[54:55]
	global_load_dwordx4 v[54:57], v[96:97], off
	global_load_dwordx4 v[58:61], v[96:97], off offset:16
	global_load_dwordx4 v[62:65], v[96:97], off offset:32
	;; [unrolled: 1-line block ×3, first 2 shown]
	v_cmp_eq_u64_e32 vcc, 0, v[32:33]
	s_or_b64 s[12:13], vcc, s[12:13]
	s_waitcnt vmcnt(3)
	v_fmac_f64_e32 v[90:91], v[34:35], v[54:55]
	v_fmac_f64_e32 v[86:87], 0, v[54:55]
	v_fmac_f64_e32 v[88:89], v[18:19], v[54:55]
	v_fmac_f64_e32 v[80:81], 0, v[54:55]
	v_fmac_f64_e32 v[76:77], v[46:47], v[54:55]
	v_fmac_f64_e32 v[74:75], 0, v[54:55]
	v_fmac_f64_e32 v[72:73], v[42:43], v[54:55]
	v_fmac_f64_e32 v[70:71], 0, v[54:55]
	v_fmac_f64_e32 v[90:91], 0x80000000, v[56:57]
	v_fmac_f64_e32 v[86:87], v[34:35], v[56:57]
	v_fmac_f64_e32 v[88:89], 0x80000000, v[56:57]
	v_fmac_f64_e32 v[80:81], v[18:19], v[56:57]
	v_fmac_f64_e32 v[76:77], 0x80000000, v[56:57]
	v_fmac_f64_e32 v[74:75], v[46:47], v[56:57]
	v_fmac_f64_e32 v[72:73], 0x80000000, v[56:57]
	v_fmac_f64_e32 v[70:71], v[42:43], v[56:57]
	s_waitcnt vmcnt(2)
	v_fmac_f64_e32 v[90:91], v[36:37], v[58:59]
	v_fmac_f64_e32 v[86:87], 0, v[58:59]
	v_fmac_f64_e32 v[88:89], v[20:21], v[58:59]
	v_fmac_f64_e32 v[80:81], 0, v[58:59]
	v_fmac_f64_e32 v[76:77], v[48:49], v[58:59]
	v_fmac_f64_e32 v[74:75], 0, v[58:59]
	v_fmac_f64_e32 v[72:73], v[44:45], v[58:59]
	v_fmac_f64_e32 v[70:71], 0, v[58:59]
	v_fmac_f64_e32 v[86:87], v[36:37], v[60:61]
	v_fmac_f64_e32 v[80:81], v[20:21], v[60:61]
	v_fmac_f64_e32 v[74:75], v[48:49], v[60:61]
	v_fmac_f64_e32 v[90:91], 0x80000000, v[60:61]
	v_fmac_f64_e32 v[88:89], 0x80000000, v[60:61]
	v_fmac_f64_e32 v[76:77], 0x80000000, v[60:61]
	v_fmac_f64_e32 v[72:73], 0x80000000, v[60:61]
	v_fmac_f64_e32 v[70:71], v[44:45], v[60:61]
	;; [unrolled: 17-line block ×4, first 2 shown]
	s_andn2_b64 exec, exec, s[12:13]
	s_cbranch_execnz .LBB149_17
; %bb.18:
	s_or_b64 exec, exec, s[12:13]
.LBB149_19:
	s_or_b64 exec, exec, s[10:11]
	s_mov_b64 s[10:11], 0xbf
	v_cmp_lt_u64_e32 vcc, s[10:11], v[28:29]
	s_and_saveexec_b64 s[10:11], vcc
	s_cbranch_execz .LBB149_23
; %bb.20:
	v_lshl_add_u64 v[10:11], v[26:27], 3, s[8:9]
	s_mov_b64 s[12:13], 0x400
	v_lshl_add_u64 v[10:11], v[10:11], 0, s[12:13]
	s_mov_b64 s[12:13], 0
	s_mov_b64 s[14:15], 0x2000
	s_movk_i32 s26, 0x2000
	s_mov_b64 s[16:17], 0x4000
	s_movk_i32 s27, 0x4000
	;; [unrolled: 2-line block ×3, first 2 shown]
	s_mov_b64 s[20:21], 0x100
	s_mov_b64 s[22:23], 0x800
	;; [unrolled: 1-line block ×3, first 2 shown]
.LBB149_21:                             ; =>This Inner Loop Header: Depth=1
	global_load_dwordx2 v[12:13], v[10:11], off offset:-1024
	v_lshl_add_u64 v[26:27], v[26:27], 0, s[20:21]
	s_waitcnt vmcnt(0)
	v_sub_co_u32_e32 v20, vcc, v12, v68
	s_nop 1
	v_subb_co_u32_e32 v21, vcc, v13, v69, vcc
	v_lshlrev_b64 v[20:21], 6, v[20:21]
	v_lshl_add_u64 v[20:21], s[6:7], 0, v[20:21]
	global_load_dwordx4 v[12:15], v[24:25], off offset:48
	global_load_dwordx4 v[16:19], v[24:25], off offset:32
	;; [unrolled: 1-line block ×3, first 2 shown]
	global_load_dwordx4 v[32:35], v[24:25], off
	global_load_dwordx4 v[36:39], v[20:21], off offset:48
	global_load_dwordx4 v[40:43], v[20:21], off offset:32
	;; [unrolled: 1-line block ×3, first 2 shown]
	global_load_dwordx4 v[48:51], v[20:21], off
	v_lshl_add_u64 v[20:21], v[24:25], 0, s[14:15]
	s_waitcnt vmcnt(0)
	v_fmac_f64_e32 v[86:87], 0, v[48:49]
	v_fmac_f64_e32 v[80:81], 0, v[48:49]
	;; [unrolled: 1-line block ×30, first 2 shown]
	global_load_dwordx4 v[12:15], v[24:25], off offset:112
	global_load_dwordx4 v[16:19], v[24:25], off offset:96
	;; [unrolled: 1-line block ×4, first 2 shown]
	v_fmac_f64_e32 v[70:71], 0, v[48:49]
	v_fmac_f64_e32 v[74:75], 0, v[48:49]
	;; [unrolled: 1-line block ×4, first 2 shown]
	s_waitcnt vmcnt(2)
	v_fmac_f64_e32 v[72:73], v[16:17], v[48:49]
	v_fmac_f64_e32 v[70:71], v[16:17], v[50:51]
	;; [unrolled: 1-line block ×10, first 2 shown]
	global_load_dwordx2 v[12:13], v[10:11], off offset:-512
	s_waitcnt vmcnt(1)
	v_fmac_f64_e32 v[76:77], v[32:33], v[48:49]
	v_fmac_f64_e32 v[76:77], 0x80000000, v[50:51]
	;; [unrolled: 1-line block ×20, first 2 shown]
	s_waitcnt vmcnt(0)
	v_sub_co_u32_e32 v36, vcc, v12, v68
	s_nop 1
	v_subb_co_u32_e32 v37, vcc, v13, v69, vcc
	v_add_co_u32_e32 v38, vcc, s26, v24
	v_lshlrev_b64 v[36:37], 6, v[36:37]
	s_nop 0
	v_addc_co_u32_e32 v39, vcc, 0, v25, vcc
	v_lshl_add_u64 v[52:53], s[6:7], 0, v[36:37]
	global_load_dwordx4 v[12:15], v[38:39], off
	global_load_dwordx4 v[16:19], v[20:21], off offset:48
	global_load_dwordx4 v[28:31], v[20:21], off offset:32
	;; [unrolled: 1-line block ×3, first 2 shown]
	s_nop 0
	global_load_dwordx4 v[36:39], v[52:53], off offset:48
	global_load_dwordx4 v[40:43], v[52:53], off offset:32
	;; [unrolled: 1-line block ×3, first 2 shown]
	global_load_dwordx4 v[48:51], v[52:53], off
	v_lshl_add_u64 v[52:53], v[24:25], 0, s[16:17]
	s_waitcnt vmcnt(0)
	v_fmac_f64_e32 v[86:87], 0, v[48:49]
	v_fmac_f64_e32 v[80:81], 0, v[48:49]
	;; [unrolled: 1-line block ×30, first 2 shown]
	global_load_dwordx4 v[12:15], v[20:21], off offset:112
	global_load_dwordx4 v[16:19], v[20:21], off offset:96
	;; [unrolled: 1-line block ×4, first 2 shown]
	v_fmac_f64_e32 v[70:71], 0, v[48:49]
	v_fmac_f64_e32 v[74:75], 0, v[48:49]
	;; [unrolled: 1-line block ×4, first 2 shown]
	s_waitcnt vmcnt(2)
	v_fmac_f64_e32 v[72:73], v[16:17], v[48:49]
	v_fmac_f64_e32 v[70:71], v[16:17], v[50:51]
	;; [unrolled: 1-line block ×10, first 2 shown]
	global_load_dwordx2 v[12:13], v[10:11], off
	s_waitcnt vmcnt(1)
	v_fmac_f64_e32 v[76:77], v[32:33], v[48:49]
	v_fmac_f64_e32 v[76:77], 0x80000000, v[50:51]
	;; [unrolled: 1-line block ×20, first 2 shown]
	s_waitcnt vmcnt(0)
	v_sub_co_u32_e32 v12, vcc, v12, v68
	s_nop 1
	v_subb_co_u32_e32 v13, vcc, v13, v69, vcc
	v_add_co_u32_e32 v36, vcc, s27, v24
	v_lshlrev_b64 v[12:13], 6, v[12:13]
	s_nop 0
	v_addc_co_u32_e32 v37, vcc, 0, v25, vcc
	v_lshl_add_u64 v[12:13], s[6:7], 0, v[12:13]
	global_load_dwordx4 v[14:17], v[36:37], off
	global_load_dwordx4 v[18:21], v[52:53], off offset:48
	global_load_dwordx4 v[28:31], v[52:53], off offset:32
	;; [unrolled: 1-line block ×3, first 2 shown]
	s_nop 0
	global_load_dwordx4 v[36:39], v[12:13], off offset:48
	global_load_dwordx4 v[40:43], v[12:13], off offset:32
	;; [unrolled: 1-line block ×3, first 2 shown]
	global_load_dwordx4 v[48:51], v[12:13], off
	s_waitcnt vmcnt(0)
	v_fmac_f64_e32 v[86:87], 0, v[48:49]
	v_fmac_f64_e32 v[90:91], v[14:15], v[48:49]
	v_fmac_f64_e32 v[86:87], v[14:15], v[50:51]
	v_fmac_f64_e32 v[90:91], 0x80000000, v[50:51]
	v_fmac_f64_e32 v[86:87], 0, v[44:45]
	v_fmac_f64_e32 v[80:81], 0, v[48:49]
	v_fmac_f64_e32 v[90:91], v[16:17], v[44:45]
	v_fmac_f64_e32 v[86:87], v[16:17], v[46:47]
	v_fmac_f64_e32 v[88:89], v[28:29], v[48:49]
	v_fmac_f64_e32 v[80:81], v[28:29], v[50:51]
	v_fmac_f64_e32 v[90:91], 0x80000000, v[46:47]
	v_fmac_f64_e32 v[86:87], 0, v[40:41]
	v_fmac_f64_e32 v[88:89], 0x80000000, v[50:51]
	v_fmac_f64_e32 v[80:81], 0, v[44:45]
	v_fmac_f64_e32 v[90:91], v[32:33], v[40:41]
	v_fmac_f64_e32 v[86:87], v[32:33], v[42:43]
	v_fmac_f64_e32 v[88:89], v[30:31], v[44:45]
	v_fmac_f64_e32 v[80:81], v[30:31], v[46:47]
	v_fmac_f64_e32 v[90:91], 0x80000000, v[42:43]
	v_fmac_f64_e32 v[86:87], 0, v[36:37]
	v_fmac_f64_e32 v[88:89], 0x80000000, v[46:47]
	v_fmac_f64_e32 v[80:81], 0, v[40:41]
	v_fmac_f64_e32 v[90:91], v[34:35], v[36:37]
	v_fmac_f64_e32 v[86:87], v[34:35], v[38:39]
	v_fmac_f64_e32 v[88:89], v[18:19], v[40:41]
	v_fmac_f64_e32 v[80:81], v[18:19], v[42:43]
	global_load_dwordx4 v[12:15], v[52:53], off offset:112
	global_load_dwordx4 v[16:19], v[52:53], off offset:96
	;; [unrolled: 1-line block ×4, first 2 shown]
	v_fmac_f64_e32 v[70:71], 0, v[48:49]
	v_fmac_f64_e32 v[74:75], 0, v[48:49]
	;; [unrolled: 1-line block ×8, first 2 shown]
	v_lshl_add_u64 v[52:53], v[24:25], 0, s[18:19]
	s_waitcnt vmcnt(2)
	v_fmac_f64_e32 v[72:73], v[16:17], v[48:49]
	v_fmac_f64_e32 v[70:71], v[16:17], v[50:51]
	;; [unrolled: 1-line block ×10, first 2 shown]
	global_load_dwordx2 v[12:13], v[10:11], off offset:512
	s_waitcnt vmcnt(1)
	v_fmac_f64_e32 v[76:77], v[32:33], v[48:49]
	v_fmac_f64_e32 v[76:77], 0x80000000, v[50:51]
	;; [unrolled: 1-line block ×20, first 2 shown]
	v_lshl_add_u64 v[10:11], v[10:11], 0, s[22:23]
	s_waitcnt vmcnt(0)
	v_sub_co_u32_e32 v20, vcc, v12, v68
	s_nop 1
	v_subb_co_u32_e32 v21, vcc, v13, v69, vcc
	v_add_co_u32_e32 v36, vcc, s28, v24
	v_lshlrev_b64 v[20:21], 6, v[20:21]
	s_nop 0
	v_addc_co_u32_e32 v37, vcc, 0, v25, vcc
	v_lshl_add_u64 v[20:21], s[6:7], 0, v[20:21]
	global_load_dwordx4 v[12:15], v[36:37], off
	global_load_dwordx4 v[16:19], v[52:53], off offset:48
	global_load_dwordx4 v[28:31], v[52:53], off offset:32
	;; [unrolled: 1-line block ×3, first 2 shown]
	s_nop 0
	global_load_dwordx4 v[36:39], v[20:21], off offset:48
	global_load_dwordx4 v[40:43], v[20:21], off offset:32
	;; [unrolled: 1-line block ×3, first 2 shown]
	global_load_dwordx4 v[48:51], v[20:21], off
	v_cmp_ge_i64_e32 vcc, v[26:27], v[82:83]
	v_lshl_add_u64 v[24:25], v[24:25], 0, s[24:25]
	s_or_b64 s[12:13], vcc, s[12:13]
	s_waitcnt vmcnt(0)
	v_fmac_f64_e32 v[86:87], 0, v[48:49]
	v_fmac_f64_e32 v[80:81], 0, v[48:49]
	v_fmac_f64_e32 v[90:91], v[12:13], v[48:49]
	v_fmac_f64_e32 v[86:87], v[12:13], v[50:51]
	v_fmac_f64_e32 v[88:89], v[28:29], v[48:49]
	v_fmac_f64_e32 v[80:81], v[28:29], v[50:51]
	v_fmac_f64_e32 v[90:91], 0x80000000, v[50:51]
	v_fmac_f64_e32 v[86:87], 0, v[44:45]
	v_fmac_f64_e32 v[88:89], 0x80000000, v[50:51]
	v_fmac_f64_e32 v[80:81], 0, v[44:45]
	v_fmac_f64_e32 v[90:91], v[14:15], v[44:45]
	v_fmac_f64_e32 v[86:87], v[14:15], v[46:47]
	v_fmac_f64_e32 v[88:89], v[30:31], v[44:45]
	v_fmac_f64_e32 v[80:81], v[30:31], v[46:47]
	v_fmac_f64_e32 v[90:91], 0x80000000, v[46:47]
	v_fmac_f64_e32 v[86:87], 0, v[40:41]
	v_fmac_f64_e32 v[88:89], 0x80000000, v[46:47]
	v_fmac_f64_e32 v[80:81], 0, v[40:41]
	v_fmac_f64_e32 v[90:91], v[32:33], v[40:41]
	v_fmac_f64_e32 v[86:87], v[32:33], v[42:43]
	v_fmac_f64_e32 v[88:89], v[16:17], v[40:41]
	v_fmac_f64_e32 v[80:81], v[16:17], v[42:43]
	v_fmac_f64_e32 v[90:91], 0x80000000, v[42:43]
	v_fmac_f64_e32 v[86:87], 0, v[36:37]
	v_fmac_f64_e32 v[88:89], 0x80000000, v[42:43]
	v_fmac_f64_e32 v[80:81], 0, v[36:37]
	v_fmac_f64_e32 v[90:91], v[34:35], v[36:37]
	v_fmac_f64_e32 v[86:87], v[34:35], v[38:39]
	v_fmac_f64_e32 v[88:89], v[18:19], v[36:37]
	v_fmac_f64_e32 v[80:81], v[18:19], v[38:39]
	global_load_dwordx4 v[12:15], v[52:53], off offset:112
	global_load_dwordx4 v[16:19], v[52:53], off offset:96
	;; [unrolled: 1-line block ×4, first 2 shown]
	v_fmac_f64_e32 v[74:75], 0, v[48:49]
	v_fmac_f64_e32 v[70:71], 0, v[48:49]
	;; [unrolled: 1-line block ×4, first 2 shown]
	s_waitcnt vmcnt(2)
	v_fmac_f64_e32 v[72:73], v[16:17], v[48:49]
	v_fmac_f64_e32 v[72:73], 0x80000000, v[50:51]
	s_waitcnt vmcnt(0)
	v_fmac_f64_e32 v[76:77], v[32:33], v[48:49]
	v_fmac_f64_e32 v[76:77], 0x80000000, v[50:51]
	;; [unrolled: 1-line block ×28, first 2 shown]
	s_andn2_b64 exec, exec, s[12:13]
	s_cbranch_execnz .LBB149_21
; %bb.22:
	s_or_b64 exec, exec, s[12:13]
.LBB149_23:
	s_or_b64 exec, exec, s[10:11]
.LBB149_24:
	s_or_b64 exec, exec, s[4:5]
	s_cbranch_execz .LBB149_26
	s_branch .LBB149_37
.LBB149_25:
                                        ; implicit-def: $vgpr86_vgpr87
                                        ; implicit-def: $vgpr90_vgpr91
                                        ; implicit-def: $vgpr80_vgpr81
                                        ; implicit-def: $vgpr88_vgpr89
                                        ; implicit-def: $vgpr74_vgpr75
                                        ; implicit-def: $vgpr76_vgpr77
                                        ; implicit-def: $vgpr70_vgpr71
                                        ; implicit-def: $vgpr72_vgpr73
.LBB149_26:
	v_mov_b64_e32 v[86:87], 0
	v_mov_b64_e32 v[90:91], 0
	;; [unrolled: 1-line block ×8, first 2 shown]
	s_and_saveexec_b64 s[10:11], s[2:3]
	s_cbranch_execz .LBB149_36
; %bb.27:
	v_or_b32_e32 v1, 64, v0
	v_sub_co_u32_e32 v10, vcc, v1, v68
	v_not_b32_e32 v13, v23
	s_nop 0
	v_subb_co_u32_e32 v11, vcc, 0, v69, vcc
	v_lshl_add_u64 v[10:11], v[10:11], 0, v[22:23]
	v_cmp_gt_i64_e32 vcc, v[10:11], v[82:83]
	v_not_b32_e32 v12, v22
	s_mov_b64 s[2:3], 0xc0
	v_cndmask_b32_e32 v11, v83, v11, vcc
	v_cndmask_b32_e32 v10, v82, v10, vcc
	v_sub_co_u32_e32 v14, vcc, v68, v0
	v_mov_b64_e32 v[72:73], 0
	s_nop 0
	v_subbrev_co_u32_e32 v15, vcc, 0, v69, vcc
	v_lshl_add_u64 v[12:13], v[14:15], 0, v[12:13]
	v_lshl_add_u64 v[10:11], v[12:13], 0, v[10:11]
	v_and_b32_e32 v12, 0xc0, v10
	v_mov_b32_e32 v13, 0
	v_cmp_ne_u64_e32 vcc, s[2:3], v[12:13]
	v_mov_b64_e32 v[70:71], 0
	v_mov_b64_e32 v[76:77], 0
	;; [unrolled: 1-line block ×7, first 2 shown]
	s_and_saveexec_b64 s[2:3], vcc
	s_cbranch_execz .LBB149_31
; %bb.28:
	v_lshrrev_b32_e32 v1, 6, v10
	v_add_u32_e32 v1, 1, v1
	v_and_b32_e32 v1, 3, v1
	v_sub_co_u32_e32 v14, vcc, 0, v1
	v_lshl_add_u64 v[12:13], v[78:79], 3, s[8:9]
	s_nop 0
	v_subb_co_u32_e64 v15, s[12:13], 0, 0, vcc
	s_mov_b64 s[4:5], 0
	v_mov_b64_e32 v[86:87], 0
	s_mov_b64 s[12:13], 0x2000
	s_mov_b64 s[14:15], 0x200
	v_mov_b64_e32 v[90:91], 0
	v_mov_b64_e32 v[80:81], 0
	;; [unrolled: 1-line block ×7, first 2 shown]
.LBB149_29:                             ; =>This Inner Loop Header: Depth=1
	global_load_dwordx2 v[44:45], v[12:13], off
	global_load_dwordx4 v[16:19], v[84:85], off offset:48
	global_load_dwordx4 v[20:23], v[84:85], off offset:32
	;; [unrolled: 1-line block ×3, first 2 shown]
	global_load_dwordx4 v[28:31], v[84:85], off
	global_load_dwordx4 v[32:35], v[84:85], off offset:96
	global_load_dwordx4 v[36:39], v[84:85], off offset:80
	;; [unrolled: 1-line block ×3, first 2 shown]
	v_lshl_add_u64 v[14:15], v[14:15], 0, 1
	v_lshl_add_u64 v[78:79], v[78:79], 0, 64
	;; [unrolled: 1-line block ×3, first 2 shown]
	s_waitcnt vmcnt(7)
	v_sub_co_u32_e32 v44, vcc, v44, v68
	s_nop 1
	v_subb_co_u32_e32 v45, vcc, v45, v69, vcc
	v_lshlrev_b64 v[44:45], 6, v[44:45]
	v_lshl_add_u64 v[64:65], s[6:7], 0, v[44:45]
	global_load_dwordx4 v[44:47], v[64:65], off
	global_load_dwordx4 v[48:51], v[64:65], off offset:16
	global_load_dwordx4 v[52:55], v[64:65], off offset:32
	;; [unrolled: 1-line block ×4, first 2 shown]
	v_cmp_eq_u64_e32 vcc, 0, v[14:15]
	v_lshl_add_u64 v[84:85], v[84:85], 0, s[12:13]
	s_or_b64 s[4:5], vcc, s[4:5]
	s_waitcnt vmcnt(4)
	v_fmac_f64_e32 v[90:91], v[28:29], v[44:45]
	v_fmac_f64_e32 v[86:87], 0, v[44:45]
	v_fmac_f64_e32 v[88:89], v[30:31], v[44:45]
	v_fmac_f64_e32 v[80:81], 0, v[44:45]
	v_fmac_f64_e32 v[76:77], v[24:25], v[44:45]
	v_fmac_f64_e32 v[74:75], 0, v[44:45]
	v_fmac_f64_e32 v[72:73], v[26:27], v[44:45]
	v_fmac_f64_e32 v[70:71], 0, v[44:45]
	v_fmac_f64_e32 v[90:91], 0x80000000, v[46:47]
	v_fmac_f64_e32 v[86:87], v[28:29], v[46:47]
	v_fmac_f64_e32 v[88:89], 0x80000000, v[46:47]
	v_fmac_f64_e32 v[80:81], v[30:31], v[46:47]
	v_fmac_f64_e32 v[76:77], 0x80000000, v[46:47]
	v_fmac_f64_e32 v[74:75], v[24:25], v[46:47]
	v_fmac_f64_e32 v[72:73], 0x80000000, v[46:47]
	v_fmac_f64_e32 v[70:71], v[26:27], v[46:47]
	s_waitcnt vmcnt(3)
	v_fmac_f64_e32 v[90:91], v[20:21], v[48:49]
	v_fmac_f64_e32 v[86:87], 0, v[48:49]
	v_fmac_f64_e32 v[88:89], v[22:23], v[48:49]
	v_fmac_f64_e32 v[80:81], 0, v[48:49]
	v_fmac_f64_e32 v[76:77], v[16:17], v[48:49]
	v_fmac_f64_e32 v[74:75], 0, v[48:49]
	v_fmac_f64_e32 v[72:73], v[18:19], v[48:49]
	v_fmac_f64_e32 v[70:71], 0, v[48:49]
	v_fmac_f64_e32 v[90:91], 0x80000000, v[50:51]
	v_fmac_f64_e32 v[86:87], v[20:21], v[50:51]
	v_fmac_f64_e32 v[88:89], 0x80000000, v[50:51]
	v_fmac_f64_e32 v[80:81], v[22:23], v[50:51]
	v_fmac_f64_e32 v[76:77], 0x80000000, v[50:51]
	v_fmac_f64_e32 v[74:75], v[16:17], v[50:51]
	v_fmac_f64_e32 v[72:73], 0x80000000, v[50:51]
	v_fmac_f64_e32 v[70:71], v[18:19], v[50:51]
	;; [unrolled: 17-line block ×3, first 2 shown]
	s_waitcnt vmcnt(1)
	v_fmac_f64_e32 v[90:91], v[32:33], v[56:57]
	v_fmac_f64_e32 v[86:87], 0, v[56:57]
	;; [unrolled: 1-line block ×4, first 2 shown]
	s_waitcnt vmcnt(0)
	v_fmac_f64_e32 v[76:77], v[60:61], v[56:57]
	v_fmac_f64_e32 v[74:75], 0, v[56:57]
	;; [unrolled: 1-line block ×12, first 2 shown]
	s_andn2_b64 exec, exec, s[4:5]
	s_cbranch_execnz .LBB149_29
; %bb.30:
	s_or_b64 exec, exec, s[4:5]
.LBB149_31:
	s_or_b64 exec, exec, s[2:3]
	s_mov_b64 s[2:3], 0xbf
	v_cmp_lt_u64_e32 vcc, s[2:3], v[10:11]
	s_and_saveexec_b64 s[12:13], vcc
	s_cbranch_execz .LBB149_35
; %bb.32:
	v_lshl_add_u64 v[10:11], v[78:79], 3, s[8:9]
	s_mov_b64 s[2:3], 0x400
	v_lshl_add_u64 v[92:93], v[10:11], 0, s[2:3]
	s_mov_b64 s[8:9], 0
	s_mov_b64 s[14:15], 0x2000
	s_movk_i32 s26, 0x2000
	s_mov_b64 s[16:17], 0x4000
	s_movk_i32 s27, 0x4000
	;; [unrolled: 2-line block ×3, first 2 shown]
	s_mov_b64 s[20:21], 0x100
	s_mov_b64 s[22:23], 0x800
	;; [unrolled: 1-line block ×3, first 2 shown]
.LBB149_33:                             ; =>This Inner Loop Header: Depth=1
	global_load_dwordx2 v[42:43], v[92:93], off offset:-1024
	global_load_dwordx4 v[10:13], v[84:85], off offset:48
	global_load_dwordx4 v[14:17], v[84:85], off offset:32
	;; [unrolled: 1-line block ×3, first 2 shown]
	global_load_dwordx4 v[22:25], v[84:85], off
	global_load_dwordx4 v[26:29], v[84:85], off offset:112
	global_load_dwordx4 v[30:33], v[84:85], off offset:96
	;; [unrolled: 1-line block ×4, first 2 shown]
	v_add_co_u32_e32 v44, vcc, s26, v84
	v_add_co_u32_e64 v48, s[2:3], s27, v84
	v_add_co_u32_e64 v108, s[4:5], s28, v84
	v_addc_co_u32_e32 v45, vcc, 0, v85, vcc
	v_addc_co_u32_e64 v49, vcc, 0, v85, s[2:3]
	v_addc_co_u32_e64 v109, vcc, 0, v85, s[4:5]
	global_load_dwordx2 v[54:55], v[92:93], off offset:-512
	global_load_dwordx2 v[50:51], v[92:93], off
	global_load_dwordx2 v[64:65], v[92:93], off offset:512
	v_lshl_add_u64 v[46:47], v[84:85], 0, s[14:15]
	global_load_dwordx4 v[60:63], v[46:47], off offset:112
	v_lshl_add_u64 v[52:53], v[84:85], 0, s[16:17]
	v_lshl_add_u64 v[106:107], v[84:85], 0, s[18:19]
	;; [unrolled: 1-line block ×5, first 2 shown]
	s_waitcnt vmcnt(12)
	v_sub_co_u32_e32 v42, vcc, v42, v68
	s_nop 1
	v_subb_co_u32_e32 v43, vcc, v43, v69, vcc
	v_lshlrev_b64 v[42:43], 6, v[42:43]
	v_lshl_add_u64 v[42:43], s[6:7], 0, v[42:43]
	global_load_dwordx4 v[56:59], v[42:43], off
	s_waitcnt vmcnt(0)
	v_fmac_f64_e32 v[90:91], v[22:23], v[56:57]
	v_fmac_f64_e32 v[86:87], 0, v[56:57]
	;; [unrolled: 1-line block ×16, first 2 shown]
	global_load_dwordx4 v[56:59], v[42:43], off offset:16
	global_load_dwordx4 v[22:25], v[46:47], off offset:48
	;; [unrolled: 1-line block ×3, first 2 shown]
	s_waitcnt vmcnt(2)
	v_fmac_f64_e32 v[74:75], 0, v[56:57]
	v_fmac_f64_e32 v[70:71], 0, v[56:57]
	;; [unrolled: 1-line block ×6, first 2 shown]
	global_load_dwordx4 v[10:13], v[42:43], off offset:32
	v_fmac_f64_e32 v[90:91], v[14:15], v[56:57]
	v_fmac_f64_e32 v[86:87], 0, v[56:57]
	;; [unrolled: 1-line block ×10, first 2 shown]
	global_load_dwordx4 v[14:17], v[46:47], off offset:16
	s_waitcnt vmcnt(1)
	v_fmac_f64_e32 v[90:91], v[38:39], v[10:11]
	v_fmac_f64_e32 v[86:87], 0, v[10:11]
	;; [unrolled: 1-line block ×10, first 2 shown]
	global_load_dwordx4 v[38:41], v[46:47], off offset:96
	v_fmac_f64_e32 v[74:75], v[34:35], v[12:13]
	v_fmac_f64_e32 v[70:71], v[36:37], v[12:13]
	global_load_dwordx4 v[34:37], v[46:47], off offset:80
	global_load_dwordx4 v[56:59], v[46:47], off offset:64
	v_fmac_f64_e32 v[90:91], 0x80000000, v[12:13]
	v_fmac_f64_e32 v[88:89], 0x80000000, v[12:13]
	;; [unrolled: 1-line block ×4, first 2 shown]
	global_load_dwordx4 v[10:13], v[42:43], off offset:48
	global_load_dwordx4 v[94:97], v[52:53], off offset:32
	;; [unrolled: 1-line block ×4, first 2 shown]
	s_waitcnt vmcnt(3)
	v_fmac_f64_e32 v[90:91], v[30:31], v[10:11]
	v_fmac_f64_e32 v[86:87], 0, v[10:11]
	v_fmac_f64_e32 v[88:89], v[32:33], v[10:11]
	v_fmac_f64_e32 v[80:81], 0, v[10:11]
	v_fmac_f64_e32 v[76:77], v[26:27], v[10:11]
	v_fmac_f64_e32 v[74:75], 0, v[10:11]
	v_fmac_f64_e32 v[72:73], v[28:29], v[10:11]
	v_fmac_f64_e32 v[70:71], 0, v[10:11]
	v_sub_co_u32_e32 v10, vcc, v54, v68
	v_fmac_f64_e32 v[86:87], v[30:31], v[12:13]
	s_nop 0
	v_subb_co_u32_e32 v11, vcc, v55, v69, vcc
	v_lshlrev_b64 v[10:11], 6, v[10:11]
	v_lshl_add_u64 v[46:47], s[6:7], 0, v[10:11]
	v_fmac_f64_e32 v[80:81], v[32:33], v[12:13]
	v_fmac_f64_e32 v[74:75], v[26:27], v[12:13]
	;; [unrolled: 1-line block ×3, first 2 shown]
	global_load_dwordx4 v[26:29], v[52:53], off offset:16
	global_load_dwordx4 v[30:33], v[44:45], off
	v_fmac_f64_e32 v[76:77], 0x80000000, v[12:13]
	global_load_dwordx4 v[42:45], v[46:47], off
	v_fmac_f64_e32 v[72:73], 0x80000000, v[12:13]
	v_fmac_f64_e32 v[90:91], 0x80000000, v[12:13]
	;; [unrolled: 1-line block ×3, first 2 shown]
	global_load_dwordx4 v[10:13], v[52:53], off offset:112
	s_waitcnt vmcnt(1)
	v_fmac_f64_e32 v[74:75], 0, v[42:43]
	v_fmac_f64_e32 v[70:71], 0, v[42:43]
	;; [unrolled: 1-line block ×6, first 2 shown]
	global_load_dwordx4 v[14:17], v[46:47], off offset:16
	v_fmac_f64_e32 v[90:91], v[30:31], v[42:43]
	v_fmac_f64_e32 v[86:87], 0, v[42:43]
	;; [unrolled: 1-line block ×10, first 2 shown]
	global_load_dwordx4 v[42:45], v[52:53], off offset:80
	s_waitcnt vmcnt(1)
	v_fmac_f64_e32 v[90:91], v[18:19], v[14:15]
	v_fmac_f64_e32 v[86:87], 0, v[14:15]
	;; [unrolled: 1-line block ×16, first 2 shown]
	global_load_dwordx4 v[16:19], v[46:47], off offset:32
	s_waitcnt vmcnt(0)
	v_fmac_f64_e32 v[90:91], v[56:57], v[16:17]
	v_fmac_f64_e32 v[86:87], 0, v[16:17]
	v_fmac_f64_e32 v[88:89], v[58:59], v[16:17]
	v_fmac_f64_e32 v[80:81], 0, v[16:17]
	v_fmac_f64_e32 v[76:77], v[34:35], v[16:17]
	v_fmac_f64_e32 v[74:75], 0, v[16:17]
	v_fmac_f64_e32 v[72:73], v[36:37], v[16:17]
	v_fmac_f64_e32 v[70:71], 0, v[16:17]
	v_fmac_f64_e32 v[86:87], v[56:57], v[18:19]
	v_fmac_f64_e32 v[80:81], v[58:59], v[18:19]
	global_load_dwordx4 v[54:57], v[52:53], off offset:64
	v_fmac_f64_e32 v[74:75], v[34:35], v[18:19]
	v_fmac_f64_e32 v[70:71], v[36:37], v[18:19]
	global_load_dwordx4 v[14:17], v[106:107], off offset:48
	v_fmac_f64_e32 v[90:91], 0x80000000, v[18:19]
	v_fmac_f64_e32 v[88:89], 0x80000000, v[18:19]
	;; [unrolled: 1-line block ×4, first 2 shown]
	global_load_dwordx4 v[22:25], v[106:107], off offset:32
	global_load_dwordx4 v[18:21], v[46:47], off offset:48
	global_load_dwordx4 v[34:37], v[48:49], off
	global_load_dwordx4 v[30:33], v[106:107], off offset:16
	s_waitcnt vmcnt(2)
	v_fmac_f64_e32 v[90:91], v[38:39], v[18:19]
	v_fmac_f64_e32 v[86:87], 0, v[18:19]
	;; [unrolled: 1-line block ×8, first 2 shown]
	v_sub_co_u32_e32 v18, vcc, v50, v68
	v_fmac_f64_e32 v[86:87], v[38:39], v[20:21]
	s_nop 0
	v_subb_co_u32_e32 v19, vcc, v51, v69, vcc
	v_lshlrev_b64 v[18:19], 6, v[18:19]
	v_lshl_add_u64 v[58:59], s[6:7], 0, v[18:19]
	v_fmac_f64_e32 v[80:81], v[40:41], v[20:21]
	global_load_dwordx4 v[38:41], v[58:59], off
	global_load_dwordx4 v[46:49], v[58:59], off offset:16
	v_fmac_f64_e32 v[74:75], v[60:61], v[20:21]
	v_fmac_f64_e32 v[70:71], v[62:63], v[20:21]
	;; [unrolled: 1-line block ×6, first 2 shown]
	global_load_dwordx4 v[18:21], v[106:107], off offset:112
	s_waitcnt vmcnt(2)
	v_fmac_f64_e32 v[90:91], v[34:35], v[38:39]
	v_fmac_f64_e32 v[86:87], 0, v[38:39]
	;; [unrolled: 1-line block ×16, first 2 shown]
	s_waitcnt vmcnt(1)
	v_fmac_f64_e32 v[90:91], v[94:95], v[46:47]
	v_fmac_f64_e32 v[86:87], 0, v[46:47]
	;; [unrolled: 1-line block ×8, first 2 shown]
	v_sub_co_u32_e32 v46, vcc, v64, v68
	global_load_dwordx4 v[26:29], v[106:107], off offset:96
	s_nop 0
	v_subb_co_u32_e32 v47, vcc, v65, v69, vcc
	v_lshlrev_b64 v[46:47], 6, v[46:47]
	v_fmac_f64_e32 v[86:87], v[94:95], v[48:49]
	v_fmac_f64_e32 v[80:81], v[96:97], v[48:49]
	global_load_dwordx4 v[34:37], v[106:107], off offset:80
	global_load_dwordx4 v[38:41], v[106:107], off offset:64
	v_fmac_f64_e32 v[74:75], v[102:103], v[48:49]
	v_fmac_f64_e32 v[70:71], v[104:105], v[48:49]
	global_load_dwordx4 v[50:53], v[108:109], off
	v_lshl_add_u64 v[94:95], s[6:7], 0, v[46:47]
	v_fmac_f64_e32 v[90:91], 0x80000000, v[48:49]
	v_fmac_f64_e32 v[88:89], 0x80000000, v[48:49]
	;; [unrolled: 1-line block ×4, first 2 shown]
	global_load_dwordx4 v[46:49], v[58:59], off offset:32
	global_load_dwordx4 v[62:65], v[58:59], off offset:48
	v_cmp_ge_i64_e32 vcc, v[78:79], v[82:83]
	global_load_dwordx4 v[58:61], v[94:95], off
	s_or_b64 s[8:9], vcc, s[8:9]
	s_waitcnt vmcnt(2)
	v_fmac_f64_e32 v[86:87], 0, v[46:47]
	v_fmac_f64_e32 v[80:81], 0, v[46:47]
	;; [unrolled: 1-line block ×6, first 2 shown]
	global_load_dwordx4 v[54:57], v[94:95], off offset:16
	v_fmac_f64_e32 v[76:77], v[42:43], v[46:47]
	v_fmac_f64_e32 v[74:75], 0, v[46:47]
	;; [unrolled: 1-line block ×10, first 2 shown]
	global_load_dwordx4 v[46:49], v[94:95], off offset:32
	global_load_dwordx4 v[42:45], v[94:95], off offset:48
	s_waitcnt vmcnt(4)
	v_fmac_f64_e32 v[90:91], v[98:99], v[62:63]
	v_fmac_f64_e32 v[86:87], 0, v[62:63]
	v_fmac_f64_e32 v[88:89], v[100:101], v[62:63]
	v_fmac_f64_e32 v[80:81], 0, v[62:63]
	v_fmac_f64_e32 v[76:77], v[10:11], v[62:63]
	v_fmac_f64_e32 v[74:75], 0, v[62:63]
	v_fmac_f64_e32 v[72:73], v[12:13], v[62:63]
	v_fmac_f64_e32 v[70:71], 0, v[62:63]
	v_fmac_f64_e32 v[86:87], v[98:99], v[64:65]
	v_fmac_f64_e32 v[80:81], v[100:101], v[64:65]
	v_fmac_f64_e32 v[90:91], 0x80000000, v[64:65]
	v_fmac_f64_e32 v[88:89], 0x80000000, v[64:65]
	v_fmac_f64_e32 v[76:77], 0x80000000, v[64:65]
	v_fmac_f64_e32 v[74:75], v[10:11], v[64:65]
	v_fmac_f64_e32 v[72:73], 0x80000000, v[64:65]
	v_fmac_f64_e32 v[70:71], v[12:13], v[64:65]
	s_waitcnt vmcnt(3)
	v_fmac_f64_e32 v[90:91], v[50:51], v[58:59]
	v_fmac_f64_e32 v[86:87], 0, v[58:59]
	v_fmac_f64_e32 v[88:89], v[52:53], v[58:59]
	v_fmac_f64_e32 v[80:81], 0, v[58:59]
	v_fmac_f64_e32 v[76:77], v[30:31], v[58:59]
	v_fmac_f64_e32 v[74:75], 0, v[58:59]
	v_fmac_f64_e32 v[72:73], v[32:33], v[58:59]
	v_fmac_f64_e32 v[70:71], 0, v[58:59]
	v_fmac_f64_e32 v[90:91], 0x80000000, v[60:61]
	v_fmac_f64_e32 v[86:87], v[50:51], v[60:61]
	v_fmac_f64_e32 v[88:89], 0x80000000, v[60:61]
	v_fmac_f64_e32 v[80:81], v[52:53], v[60:61]
	v_fmac_f64_e32 v[76:77], 0x80000000, v[60:61]
	v_fmac_f64_e32 v[74:75], v[30:31], v[60:61]
	v_fmac_f64_e32 v[72:73], 0x80000000, v[60:61]
	v_fmac_f64_e32 v[70:71], v[32:33], v[60:61]
	;; [unrolled: 17-line block ×5, first 2 shown]
	s_andn2_b64 exec, exec, s[8:9]
	s_cbranch_execnz .LBB149_33
; %bb.34:
	s_or_b64 exec, exec, s[8:9]
.LBB149_35:
	s_or_b64 exec, exec, s[12:13]
.LBB149_36:
	s_or_b64 exec, exec, s[10:11]
.LBB149_37:
	v_mov_b32_dpp v10, v90 row_shr:1 row_mask:0xf bank_mask:0xf
	v_mov_b32_dpp v11, v91 row_shr:1 row_mask:0xf bank_mask:0xf
	v_mov_b32_dpp v14, v86 row_shr:1 row_mask:0xf bank_mask:0xf
	v_mov_b32_dpp v15, v87 row_shr:1 row_mask:0xf bank_mask:0xf
	v_mov_b32_dpp v18, v88 row_shr:1 row_mask:0xf bank_mask:0xf
	v_mov_b32_dpp v19, v89 row_shr:1 row_mask:0xf bank_mask:0xf
	v_mov_b32_dpp v22, v80 row_shr:1 row_mask:0xf bank_mask:0xf
	v_mov_b32_dpp v23, v81 row_shr:1 row_mask:0xf bank_mask:0xf
	v_mov_b32_dpp v26, v76 row_shr:1 row_mask:0xf bank_mask:0xf
	v_mov_b32_dpp v27, v77 row_shr:1 row_mask:0xf bank_mask:0xf
	v_mov_b32_dpp v30, v74 row_shr:1 row_mask:0xf bank_mask:0xf
	v_mov_b32_dpp v31, v75 row_shr:1 row_mask:0xf bank_mask:0xf
	v_mov_b32_dpp v34, v72 row_shr:1 row_mask:0xf bank_mask:0xf
	v_mov_b32_dpp v35, v73 row_shr:1 row_mask:0xf bank_mask:0xf
	v_mov_b32_dpp v38, v70 row_shr:1 row_mask:0xf bank_mask:0xf
	v_mov_b32_dpp v39, v71 row_shr:1 row_mask:0xf bank_mask:0xf
	v_add_f64 v[10:11], v[90:91], v[10:11]
	v_add_f64 v[14:15], v[86:87], v[14:15]
	v_add_f64 v[18:19], v[88:89], v[18:19]
	v_add_f64 v[22:23], v[80:81], v[22:23]
	v_add_f64 v[26:27], v[76:77], v[26:27]
	v_add_f64 v[30:31], v[74:75], v[30:31]
	v_add_f64 v[34:35], v[72:73], v[34:35]
	v_add_f64 v[38:39], v[70:71], v[38:39]
	v_mov_b32_dpp v12, v10 row_shr:2 row_mask:0xf bank_mask:0xf
	v_mov_b32_dpp v13, v11 row_shr:2 row_mask:0xf bank_mask:0xf
	v_mov_b32_dpp v16, v14 row_shr:2 row_mask:0xf bank_mask:0xf
	v_mov_b32_dpp v17, v15 row_shr:2 row_mask:0xf bank_mask:0xf
	v_mov_b32_dpp v20, v18 row_shr:2 row_mask:0xf bank_mask:0xf
	v_mov_b32_dpp v21, v19 row_shr:2 row_mask:0xf bank_mask:0xf
	v_mov_b32_dpp v24, v22 row_shr:2 row_mask:0xf bank_mask:0xf
	v_mov_b32_dpp v25, v23 row_shr:2 row_mask:0xf bank_mask:0xf
	v_mov_b32_dpp v28, v26 row_shr:2 row_mask:0xf bank_mask:0xf
	v_mov_b32_dpp v29, v27 row_shr:2 row_mask:0xf bank_mask:0xf
	v_mov_b32_dpp v32, v30 row_shr:2 row_mask:0xf bank_mask:0xf
	v_mov_b32_dpp v33, v31 row_shr:2 row_mask:0xf bank_mask:0xf
	v_mov_b32_dpp v36, v34 row_shr:2 row_mask:0xf bank_mask:0xf
	v_mov_b32_dpp v37, v35 row_shr:2 row_mask:0xf bank_mask:0xf
	v_mov_b32_dpp v40, v38 row_shr:2 row_mask:0xf bank_mask:0xf
	v_mov_b32_dpp v41, v39 row_shr:2 row_mask:0xf bank_mask:0xf
	v_add_f64 v[10:11], v[10:11], v[12:13]
	v_add_f64 v[14:15], v[14:15], v[16:17]
	v_add_f64 v[18:19], v[18:19], v[20:21]
	v_add_f64 v[22:23], v[22:23], v[24:25]
	v_add_f64 v[26:27], v[26:27], v[28:29]
	v_add_f64 v[30:31], v[30:31], v[32:33]
	v_add_f64 v[34:35], v[34:35], v[36:37]
	v_add_f64 v[38:39], v[38:39], v[40:41]
	v_mov_b32_dpp v12, v10 row_shr:4 row_mask:0xf bank_mask:0xe
	v_mov_b32_dpp v13, v11 row_shr:4 row_mask:0xf bank_mask:0xe
	v_mov_b32_dpp v16, v14 row_shr:4 row_mask:0xf bank_mask:0xe
	v_mov_b32_dpp v17, v15 row_shr:4 row_mask:0xf bank_mask:0xe
	v_mov_b32_dpp v20, v18 row_shr:4 row_mask:0xf bank_mask:0xe
	v_mov_b32_dpp v21, v19 row_shr:4 row_mask:0xf bank_mask:0xe
	v_mov_b32_dpp v24, v22 row_shr:4 row_mask:0xf bank_mask:0xe
	v_mov_b32_dpp v25, v23 row_shr:4 row_mask:0xf bank_mask:0xe
	v_mov_b32_dpp v28, v26 row_shr:4 row_mask:0xf bank_mask:0xe
	v_mov_b32_dpp v29, v27 row_shr:4 row_mask:0xf bank_mask:0xe
	v_mov_b32_dpp v32, v30 row_shr:4 row_mask:0xf bank_mask:0xe
	v_mov_b32_dpp v33, v31 row_shr:4 row_mask:0xf bank_mask:0xe
	v_mov_b32_dpp v36, v34 row_shr:4 row_mask:0xf bank_mask:0xe
	v_mov_b32_dpp v37, v35 row_shr:4 row_mask:0xf bank_mask:0xe
	v_mov_b32_dpp v40, v38 row_shr:4 row_mask:0xf bank_mask:0xe
	v_mov_b32_dpp v41, v39 row_shr:4 row_mask:0xf bank_mask:0xe
	v_add_f64 v[10:11], v[10:11], v[12:13]
	v_add_f64 v[14:15], v[14:15], v[16:17]
	v_add_f64 v[18:19], v[18:19], v[20:21]
	v_add_f64 v[22:23], v[22:23], v[24:25]
	v_add_f64 v[26:27], v[26:27], v[28:29]
	v_add_f64 v[30:31], v[30:31], v[32:33]
	v_add_f64 v[34:35], v[34:35], v[36:37]
	v_add_f64 v[38:39], v[38:39], v[40:41]
	v_mov_b32_dpp v12, v10 row_shr:8 row_mask:0xf bank_mask:0xc
	v_mov_b32_dpp v13, v11 row_shr:8 row_mask:0xf bank_mask:0xc
	v_mov_b32_dpp v16, v14 row_shr:8 row_mask:0xf bank_mask:0xc
	v_mov_b32_dpp v17, v15 row_shr:8 row_mask:0xf bank_mask:0xc
	v_mov_b32_dpp v20, v18 row_shr:8 row_mask:0xf bank_mask:0xc
	v_mov_b32_dpp v21, v19 row_shr:8 row_mask:0xf bank_mask:0xc
	v_mov_b32_dpp v24, v22 row_shr:8 row_mask:0xf bank_mask:0xc
	v_mov_b32_dpp v25, v23 row_shr:8 row_mask:0xf bank_mask:0xc
	v_mov_b32_dpp v28, v26 row_shr:8 row_mask:0xf bank_mask:0xc
	v_mov_b32_dpp v29, v27 row_shr:8 row_mask:0xf bank_mask:0xc
	v_mov_b32_dpp v32, v30 row_shr:8 row_mask:0xf bank_mask:0xc
	v_mov_b32_dpp v33, v31 row_shr:8 row_mask:0xf bank_mask:0xc
	v_mov_b32_dpp v36, v34 row_shr:8 row_mask:0xf bank_mask:0xc
	v_mov_b32_dpp v37, v35 row_shr:8 row_mask:0xf bank_mask:0xc
	v_mov_b32_dpp v40, v38 row_shr:8 row_mask:0xf bank_mask:0xc
	v_mov_b32_dpp v41, v39 row_shr:8 row_mask:0xf bank_mask:0xc
	v_add_f64 v[10:11], v[10:11], v[12:13]
	v_add_f64 v[14:15], v[14:15], v[16:17]
	v_add_f64 v[18:19], v[18:19], v[20:21]
	v_add_f64 v[22:23], v[22:23], v[24:25]
	v_add_f64 v[26:27], v[26:27], v[28:29]
	v_add_f64 v[30:31], v[30:31], v[32:33]
	v_add_f64 v[34:35], v[34:35], v[36:37]
	v_add_f64 v[38:39], v[38:39], v[40:41]
	v_mov_b32_dpp v12, v10 row_bcast:15 row_mask:0xa bank_mask:0xf
	v_mov_b32_dpp v13, v11 row_bcast:15 row_mask:0xa bank_mask:0xf
	;; [unrolled: 1-line block ×16, first 2 shown]
	v_add_f64 v[10:11], v[10:11], v[12:13]
	v_add_f64 v[14:15], v[14:15], v[16:17]
	;; [unrolled: 1-line block ×8, first 2 shown]
	v_mov_b32_dpp v12, v10 row_bcast:31 row_mask:0xc bank_mask:0xf
	v_mov_b32_dpp v13, v11 row_bcast:31 row_mask:0xc bank_mask:0xf
	;; [unrolled: 1-line block ×16, first 2 shown]
	v_cmp_eq_u32_e32 vcc, 63, v0
	s_and_b64 exec, exec, vcc
	s_cbranch_execz .LBB149_8
; %bb.38:
	s_load_dwordx2 s[2:3], s[0:1], 0x68
	v_add_f64 v[0:1], v[10:11], v[12:13]
	v_add_f64 v[10:11], v[14:15], v[16:17]
	;; [unrolled: 1-line block ×8, first 2 shown]
	v_cmp_eq_f64_e32 vcc, 0, v[2:3]
	v_cmp_eq_f64_e64 s[0:1], 0, v[4:5]
	v_mul_f64 v[22:23], v[10:11], -v[8:9]
	v_mul_f64 v[24:25], v[6:7], v[10:11]
	v_mul_f64 v[18:19], v[12:13], -v[8:9]
	v_mul_f64 v[20:21], v[6:7], v[12:13]
	;; [unrolled: 2-line block ×4, first 2 shown]
	s_and_b64 s[0:1], vcc, s[0:1]
	v_fmac_f64_e32 v[22:23], v[6:7], v[0:1]
	v_fmac_f64_e32 v[24:25], v[8:9], v[0:1]
	v_lshlrev_b64 v[0:1], 6, v[66:67]
	v_fmac_f64_e32 v[18:19], v[6:7], v[42:43]
	v_fmac_f64_e32 v[20:21], v[8:9], v[42:43]
	;; [unrolled: 1-line block ×6, first 2 shown]
	s_and_saveexec_b64 s[4:5], s[0:1]
	s_xor_b64 s[0:1], exec, s[4:5]
	s_cbranch_execz .LBB149_40
; %bb.39:
	s_waitcnt lgkmcnt(0)
	v_lshl_add_u64 v[0:1], s[2:3], 0, v[0:1]
	global_store_dwordx4 v[0:1], v[22:25], off
	global_store_dwordx4 v[0:1], v[18:21], off offset:16
	global_store_dwordx4 v[0:1], v[14:17], off offset:32
	;; [unrolled: 1-line block ×3, first 2 shown]
                                        ; implicit-def: $vgpr4_vgpr5
                                        ; implicit-def: $vgpr22_vgpr23
                                        ; implicit-def: $vgpr0_vgpr1
                                        ; implicit-def: $vgpr18_vgpr19
                                        ; implicit-def: $vgpr14_vgpr15
                                        ; implicit-def: $vgpr10_vgpr11
.LBB149_40:
	s_andn2_saveexec_b64 s[0:1], s[0:1]
	s_cbranch_execz .LBB149_8
; %bb.41:
	s_waitcnt lgkmcnt(0)
	v_lshl_add_u64 v[0:1], s[2:3], 0, v[0:1]
	global_load_dwordx4 v[6:9], v[0:1], off
	global_load_dwordx4 v[26:29], v[0:1], off offset:16
	global_load_dwordx4 v[30:33], v[0:1], off offset:32
	;; [unrolled: 1-line block ×3, first 2 shown]
	s_waitcnt vmcnt(3)
	v_fmac_f64_e32 v[22:23], v[2:3], v[6:7]
	v_fmac_f64_e32 v[24:25], v[4:5], v[6:7]
	s_waitcnt vmcnt(2)
	v_fmac_f64_e32 v[18:19], v[2:3], v[26:27]
	v_fmac_f64_e32 v[20:21], v[4:5], v[26:27]
	;; [unrolled: 3-line block ×4, first 2 shown]
	v_fma_f64 v[22:23], -v[4:5], v[8:9], v[22:23]
	v_fmac_f64_e32 v[24:25], v[2:3], v[8:9]
	v_fma_f64 v[18:19], -v[4:5], v[28:29], v[18:19]
	v_fmac_f64_e32 v[20:21], v[2:3], v[28:29]
	;; [unrolled: 2-line block ×4, first 2 shown]
	global_store_dwordx4 v[0:1], v[22:25], off
	global_store_dwordx4 v[0:1], v[18:21], off offset:16
	global_store_dwordx4 v[0:1], v[14:17], off offset:32
	;; [unrolled: 1-line block ×3, first 2 shown]
	s_endpgm
	.section	.rodata,"a",@progbits
	.p2align	6, 0x0
	.amdhsa_kernel _ZN9rocsparseL18bsrxmvn_4x4_kernelILj128ELj64E21rocsparse_complex_numIdElldS2_S2_EEvT3_20rocsparse_direction_NS_24const_host_device_scalarIT1_EES3_PKS3_PKT2_SC_S9_PKT4_PKT5_S7_PT6_21rocsparse_index_base_b
		.amdhsa_group_segment_fixed_size 0
		.amdhsa_private_segment_fixed_size 0
		.amdhsa_kernarg_size 120
		.amdhsa_user_sgpr_count 2
		.amdhsa_user_sgpr_dispatch_ptr 0
		.amdhsa_user_sgpr_queue_ptr 0
		.amdhsa_user_sgpr_kernarg_segment_ptr 1
		.amdhsa_user_sgpr_dispatch_id 0
		.amdhsa_user_sgpr_kernarg_preload_length 0
		.amdhsa_user_sgpr_kernarg_preload_offset 0
		.amdhsa_user_sgpr_private_segment_size 0
		.amdhsa_uses_dynamic_stack 0
		.amdhsa_enable_private_segment 0
		.amdhsa_system_sgpr_workgroup_id_x 1
		.amdhsa_system_sgpr_workgroup_id_y 0
		.amdhsa_system_sgpr_workgroup_id_z 0
		.amdhsa_system_sgpr_workgroup_info 0
		.amdhsa_system_vgpr_workitem_id 0
		.amdhsa_next_free_vgpr 110
		.amdhsa_next_free_sgpr 29
		.amdhsa_accum_offset 112
		.amdhsa_reserve_vcc 1
		.amdhsa_float_round_mode_32 0
		.amdhsa_float_round_mode_16_64 0
		.amdhsa_float_denorm_mode_32 3
		.amdhsa_float_denorm_mode_16_64 3
		.amdhsa_dx10_clamp 1
		.amdhsa_ieee_mode 1
		.amdhsa_fp16_overflow 0
		.amdhsa_tg_split 0
		.amdhsa_exception_fp_ieee_invalid_op 0
		.amdhsa_exception_fp_denorm_src 0
		.amdhsa_exception_fp_ieee_div_zero 0
		.amdhsa_exception_fp_ieee_overflow 0
		.amdhsa_exception_fp_ieee_underflow 0
		.amdhsa_exception_fp_ieee_inexact 0
		.amdhsa_exception_int_div_zero 0
	.end_amdhsa_kernel
	.section	.text._ZN9rocsparseL18bsrxmvn_4x4_kernelILj128ELj64E21rocsparse_complex_numIdElldS2_S2_EEvT3_20rocsparse_direction_NS_24const_host_device_scalarIT1_EES3_PKS3_PKT2_SC_S9_PKT4_PKT5_S7_PT6_21rocsparse_index_base_b,"axG",@progbits,_ZN9rocsparseL18bsrxmvn_4x4_kernelILj128ELj64E21rocsparse_complex_numIdElldS2_S2_EEvT3_20rocsparse_direction_NS_24const_host_device_scalarIT1_EES3_PKS3_PKT2_SC_S9_PKT4_PKT5_S7_PT6_21rocsparse_index_base_b,comdat
.Lfunc_end149:
	.size	_ZN9rocsparseL18bsrxmvn_4x4_kernelILj128ELj64E21rocsparse_complex_numIdElldS2_S2_EEvT3_20rocsparse_direction_NS_24const_host_device_scalarIT1_EES3_PKS3_PKT2_SC_S9_PKT4_PKT5_S7_PT6_21rocsparse_index_base_b, .Lfunc_end149-_ZN9rocsparseL18bsrxmvn_4x4_kernelILj128ELj64E21rocsparse_complex_numIdElldS2_S2_EEvT3_20rocsparse_direction_NS_24const_host_device_scalarIT1_EES3_PKS3_PKT2_SC_S9_PKT4_PKT5_S7_PT6_21rocsparse_index_base_b
                                        ; -- End function
	.set _ZN9rocsparseL18bsrxmvn_4x4_kernelILj128ELj64E21rocsparse_complex_numIdElldS2_S2_EEvT3_20rocsparse_direction_NS_24const_host_device_scalarIT1_EES3_PKS3_PKT2_SC_S9_PKT4_PKT5_S7_PT6_21rocsparse_index_base_b.num_vgpr, 110
	.set _ZN9rocsparseL18bsrxmvn_4x4_kernelILj128ELj64E21rocsparse_complex_numIdElldS2_S2_EEvT3_20rocsparse_direction_NS_24const_host_device_scalarIT1_EES3_PKS3_PKT2_SC_S9_PKT4_PKT5_S7_PT6_21rocsparse_index_base_b.num_agpr, 0
	.set _ZN9rocsparseL18bsrxmvn_4x4_kernelILj128ELj64E21rocsparse_complex_numIdElldS2_S2_EEvT3_20rocsparse_direction_NS_24const_host_device_scalarIT1_EES3_PKS3_PKT2_SC_S9_PKT4_PKT5_S7_PT6_21rocsparse_index_base_b.numbered_sgpr, 29
	.set _ZN9rocsparseL18bsrxmvn_4x4_kernelILj128ELj64E21rocsparse_complex_numIdElldS2_S2_EEvT3_20rocsparse_direction_NS_24const_host_device_scalarIT1_EES3_PKS3_PKT2_SC_S9_PKT4_PKT5_S7_PT6_21rocsparse_index_base_b.num_named_barrier, 0
	.set _ZN9rocsparseL18bsrxmvn_4x4_kernelILj128ELj64E21rocsparse_complex_numIdElldS2_S2_EEvT3_20rocsparse_direction_NS_24const_host_device_scalarIT1_EES3_PKS3_PKT2_SC_S9_PKT4_PKT5_S7_PT6_21rocsparse_index_base_b.private_seg_size, 0
	.set _ZN9rocsparseL18bsrxmvn_4x4_kernelILj128ELj64E21rocsparse_complex_numIdElldS2_S2_EEvT3_20rocsparse_direction_NS_24const_host_device_scalarIT1_EES3_PKS3_PKT2_SC_S9_PKT4_PKT5_S7_PT6_21rocsparse_index_base_b.uses_vcc, 1
	.set _ZN9rocsparseL18bsrxmvn_4x4_kernelILj128ELj64E21rocsparse_complex_numIdElldS2_S2_EEvT3_20rocsparse_direction_NS_24const_host_device_scalarIT1_EES3_PKS3_PKT2_SC_S9_PKT4_PKT5_S7_PT6_21rocsparse_index_base_b.uses_flat_scratch, 0
	.set _ZN9rocsparseL18bsrxmvn_4x4_kernelILj128ELj64E21rocsparse_complex_numIdElldS2_S2_EEvT3_20rocsparse_direction_NS_24const_host_device_scalarIT1_EES3_PKS3_PKT2_SC_S9_PKT4_PKT5_S7_PT6_21rocsparse_index_base_b.has_dyn_sized_stack, 0
	.set _ZN9rocsparseL18bsrxmvn_4x4_kernelILj128ELj64E21rocsparse_complex_numIdElldS2_S2_EEvT3_20rocsparse_direction_NS_24const_host_device_scalarIT1_EES3_PKS3_PKT2_SC_S9_PKT4_PKT5_S7_PT6_21rocsparse_index_base_b.has_recursion, 0
	.set _ZN9rocsparseL18bsrxmvn_4x4_kernelILj128ELj64E21rocsparse_complex_numIdElldS2_S2_EEvT3_20rocsparse_direction_NS_24const_host_device_scalarIT1_EES3_PKS3_PKT2_SC_S9_PKT4_PKT5_S7_PT6_21rocsparse_index_base_b.has_indirect_call, 0
	.section	.AMDGPU.csdata,"",@progbits
; Kernel info:
; codeLenInByte = 7864
; TotalNumSgprs: 35
; NumVgprs: 110
; NumAgprs: 0
; TotalNumVgprs: 110
; ScratchSize: 0
; MemoryBound: 0
; FloatMode: 240
; IeeeMode: 1
; LDSByteSize: 0 bytes/workgroup (compile time only)
; SGPRBlocks: 4
; VGPRBlocks: 13
; NumSGPRsForWavesPerEU: 35
; NumVGPRsForWavesPerEU: 110
; AccumOffset: 112
; Occupancy: 4
; WaveLimiterHint : 1
; COMPUTE_PGM_RSRC2:SCRATCH_EN: 0
; COMPUTE_PGM_RSRC2:USER_SGPR: 2
; COMPUTE_PGM_RSRC2:TRAP_HANDLER: 0
; COMPUTE_PGM_RSRC2:TGID_X_EN: 1
; COMPUTE_PGM_RSRC2:TGID_Y_EN: 0
; COMPUTE_PGM_RSRC2:TGID_Z_EN: 0
; COMPUTE_PGM_RSRC2:TIDIG_COMP_CNT: 0
; COMPUTE_PGM_RSRC3_GFX90A:ACCUM_OFFSET: 27
; COMPUTE_PGM_RSRC3_GFX90A:TG_SPLIT: 0
	.section	.text._ZN9rocsparseL18bsrxmvn_4x4_kernelILj128ELj4EdiifddEEvT3_20rocsparse_direction_NS_24const_host_device_scalarIT1_EES1_PKS1_PKT2_SA_S7_PKT4_PKT5_S5_PT6_21rocsparse_index_base_b,"axG",@progbits,_ZN9rocsparseL18bsrxmvn_4x4_kernelILj128ELj4EdiifddEEvT3_20rocsparse_direction_NS_24const_host_device_scalarIT1_EES1_PKS1_PKT2_SA_S7_PKT4_PKT5_S5_PT6_21rocsparse_index_base_b,comdat
	.globl	_ZN9rocsparseL18bsrxmvn_4x4_kernelILj128ELj4EdiifddEEvT3_20rocsparse_direction_NS_24const_host_device_scalarIT1_EES1_PKS1_PKT2_SA_S7_PKT4_PKT5_S5_PT6_21rocsparse_index_base_b ; -- Begin function _ZN9rocsparseL18bsrxmvn_4x4_kernelILj128ELj4EdiifddEEvT3_20rocsparse_direction_NS_24const_host_device_scalarIT1_EES1_PKS1_PKT2_SA_S7_PKT4_PKT5_S5_PT6_21rocsparse_index_base_b
	.p2align	8
	.type	_ZN9rocsparseL18bsrxmvn_4x4_kernelILj128ELj4EdiifddEEvT3_20rocsparse_direction_NS_24const_host_device_scalarIT1_EES1_PKS1_PKT2_SA_S7_PKT4_PKT5_S5_PT6_21rocsparse_index_base_b,@function
_ZN9rocsparseL18bsrxmvn_4x4_kernelILj128ELj4EdiifddEEvT3_20rocsparse_direction_NS_24const_host_device_scalarIT1_EES1_PKS1_PKT2_SA_S7_PKT4_PKT5_S5_PT6_21rocsparse_index_base_b: ; @_ZN9rocsparseL18bsrxmvn_4x4_kernelILj128ELj4EdiifddEEvT3_20rocsparse_direction_NS_24const_host_device_scalarIT1_EES1_PKS1_PKT2_SA_S7_PKT4_PKT5_S5_PT6_21rocsparse_index_base_b
; %bb.0:
	s_load_dwordx2 s[12:13], s[0:1], 0x58
	s_load_dwordx2 s[8:9], s[0:1], 0x8
	;; [unrolled: 1-line block ×3, first 2 shown]
	s_waitcnt lgkmcnt(0)
	s_bitcmp1_b32 s13, 0
	s_cselect_b64 s[10:11], -1, 0
	s_xor_b64 s[6:7], s[10:11], -1
	s_and_b64 vcc, exec, s[10:11]
	v_mov_b64_e32 v[2:3], s[8:9]
	s_cbranch_vccnz .LBB150_2
; %bb.1:
	v_mov_b64_e32 v[2:3], s[8:9]
	flat_load_dwordx2 v[2:3], v[2:3]
.LBB150_2:
	s_andn2_b64 vcc, exec, s[6:7]
	v_mov_b64_e32 v[8:9], s[4:5]
	s_cbranch_vccnz .LBB150_4
; %bb.3:
	v_mov_b64_e32 v[4:5], s[4:5]
	flat_load_dwordx2 v[8:9], v[4:5]
.LBB150_4:
	s_waitcnt vmcnt(0) lgkmcnt(0)
	v_cmp_neq_f64_e32 vcc, 0, v[2:3]
	v_cmp_neq_f64_e64 s[4:5], 1.0, v[8:9]
	s_mov_b64 s[6:7], 0
	s_or_b64 s[4:5], vcc, s[4:5]
	s_and_saveexec_b64 s[8:9], s[4:5]
	s_cbranch_execz .LBB150_10
; %bb.5:
	s_load_dwordx2 s[4:5], s[0:1], 0x18
	s_load_dwordx2 s[14:15], s[0:1], 0x0
	v_lshrrev_b32_e32 v1, 2, v0
	v_lshl_or_b32 v10, s2, 5, v1
	s_mov_b64 s[2:3], 0
	s_waitcnt lgkmcnt(0)
	s_cmp_lg_u64 s[4:5], 0
	s_cbranch_scc0 .LBB150_11
; %bb.6:
	s_load_dword s6, s[0:1], 0x10
                                        ; implicit-def: $vgpr1
	s_waitcnt lgkmcnt(0)
	v_cmp_gt_i32_e32 vcc, s6, v10
	s_and_saveexec_b64 s[6:7], vcc
	s_xor_b64 s[6:7], exec, s[6:7]
	s_cbranch_execz .LBB150_8
; %bb.7:
	v_ashrrev_i32_e32 v11, 31, v10
	v_lshl_add_u64 v[4:5], v[10:11], 2, s[4:5]
	global_load_dword v1, v[4:5], off
	s_mov_b64 s[2:3], exec
	s_waitcnt vmcnt(0)
	v_subrev_u32_e32 v1, s12, v1
.LBB150_8:
	s_or_b64 exec, exec, s[6:7]
	s_mov_b64 s[6:7], s[2:3]
	s_branch .LBB150_12
.LBB150_9:
	v_cmp_gt_i32_e32 vcc, s14, v10
	s_andn2_b64 s[2:3], s[6:7], exec
	s_and_b64 s[4:5], vcc, exec
	s_or_b64 s[6:7], s[2:3], s[4:5]
	s_and_b64 exec, exec, s[6:7]
	s_cbranch_execnz .LBB150_13
.LBB150_10:
	s_endpgm
.LBB150_11:
                                        ; implicit-def: $vgpr1
	s_cbranch_execnz .LBB150_9
.LBB150_12:
	v_mov_b32_e32 v10, v1
	s_and_b64 exec, exec, s[6:7]
	s_cbranch_execz .LBB150_10
.LBB150_13:
	s_load_dwordx8 s[4:11], s[0:1], 0x20
	v_ashrrev_i32_e32 v11, 31, v10
	v_lshlrev_b64 v[4:5], 2, v[10:11]
	v_and_b32_e32 v11, 3, v0
	s_waitcnt lgkmcnt(0)
	v_lshl_add_u64 v[6:7], s[4:5], 0, v[4:5]
	s_cmp_eq_u64 s[6:7], 0
	global_load_dword v85, v[6:7], off
	v_lshl_add_u64 v[6:7], v[6:7], 0, 4
	v_lshl_add_u64 v[4:5], s[6:7], 0, v[4:5]
	s_cselect_b64 vcc, -1, 0
	v_cndmask_b32_e32 v5, v5, v7, vcc
	v_cndmask_b32_e32 v4, v4, v6, vcc
	global_load_dword v1, v[4:5], off
	s_load_dwordx2 s[4:5], s[0:1], 0x40
	s_cmp_eq_u32 s15, 1
	s_waitcnt vmcnt(1)
	v_subrev_u32_e32 v0, s12, v85
	v_add_u32_e32 v4, v0, v11
	v_ashrrev_i32_e32 v5, 31, v4
	s_waitcnt vmcnt(0)
	v_subrev_u32_e32 v84, s12, v1
	v_lshlrev_b64 v[0:1], 6, v[4:5]
	v_lshl_add_u64 v[6:7], s[10:11], 0, v[0:1]
	v_cmp_lt_i32_e64 s[2:3], v4, v84
	s_cbranch_scc1 .LBB150_25
; %bb.14:
	v_mov_b64_e32 v[0:1], 0
	v_mov_b64_e32 v[12:13], 0
	;; [unrolled: 1-line block ×4, first 2 shown]
	s_and_saveexec_b64 s[6:7], s[2:3]
	s_cbranch_execz .LBB150_24
; %bb.15:
	v_add_u32_e32 v0, v85, v11
	v_subrev_u32_e32 v0, s12, v0
	v_add_u32_e32 v0, 4, v0
	v_max_i32_e32 v0, v0, v84
	v_not_b32_e32 v1, v85
	v_add3_u32 v0, s12, v0, v1
	v_sub_u32_e32 v5, v0, v11
	v_and_b32_e32 v0, 12, v5
	v_cmp_ne_u32_e32 vcc, 12, v0
	v_mov_b64_e32 v[16:17], 0
	v_mov_b64_e32 v[14:15], 0
	;; [unrolled: 1-line block ×4, first 2 shown]
	v_mov_b32_e32 v18, v4
	v_mov_b64_e32 v[20:21], v[6:7]
	s_and_saveexec_b64 s[10:11], vcc
	s_cbranch_execz .LBB150_19
; %bb.16:
	v_lshrrev_b32_e32 v0, 2, v5
	v_add_u32_e32 v0, 1, v0
	v_and_b32_e32 v0, 3, v0
	v_sub_u32_e32 v22, 0, v0
	v_mov_b64_e32 v[0:1], 0
	s_mov_b64 s[14:15], 0
	s_mov_b64 s[16:17], 0x100
	v_mov_b64_e32 v[20:21], v[6:7]
	v_mov_b32_e32 v18, v4
	v_mov_b64_e32 v[12:13], 0
	v_mov_b64_e32 v[14:15], 0
	;; [unrolled: 1-line block ×3, first 2 shown]
.LBB150_17:                             ; =>This Inner Loop Header: Depth=1
	v_ashrrev_i32_e32 v19, 31, v18
	v_lshl_add_u64 v[40:41], v[18:19], 2, s[8:9]
	global_load_dword v19, v[40:41], off
	global_load_dwordx4 v[24:27], v[20:21], off
	global_load_dwordx4 v[28:31], v[20:21], off offset:16
	global_load_dwordx4 v[32:35], v[20:21], off offset:32
	;; [unrolled: 1-line block ×3, first 2 shown]
	v_add_co_u32_e32 v22, vcc, 1, v22
	v_lshl_add_u64 v[20:21], v[20:21], 0, s[16:17]
	v_add_u32_e32 v18, 4, v18
	s_or_b64 s[14:15], vcc, s[14:15]
	s_waitcnt vmcnt(4)
	v_subrev_u32_e32 v19, s12, v19
	v_lshlrev_b32_e32 v40, 2, v19
	v_ashrrev_i32_e32 v41, 31, v40
	s_waitcnt lgkmcnt(0)
	v_lshl_add_u64 v[48:49], v[40:41], 3, s[4:5]
	global_load_dwordx4 v[40:43], v[48:49], off
	global_load_dwordx4 v[44:47], v[48:49], off offset:16
	s_waitcnt vmcnt(5)
	v_cvt_f64_f32_e32 v[48:49], v24
	s_waitcnt vmcnt(4)
	v_cvt_f64_f32_e32 v[52:53], v28
	;; [unrolled: 2-line block ×4, first 2 shown]
	v_cvt_f64_f32_e32 v[24:25], v25
	v_cvt_f64_f32_e32 v[28:29], v29
	v_cvt_f64_f32_e32 v[32:33], v33
	v_cvt_f64_f32_e32 v[36:37], v37
	v_cvt_f64_f32_e32 v[50:51], v26
	v_cvt_f64_f32_e32 v[54:55], v30
	v_cvt_f64_f32_e32 v[58:59], v34
	v_cvt_f64_f32_e32 v[62:63], v38
	v_cvt_f64_f32_e32 v[26:27], v27
	v_cvt_f64_f32_e32 v[30:31], v31
	v_cvt_f64_f32_e32 v[34:35], v35
	v_cvt_f64_f32_e32 v[38:39], v39
	s_waitcnt vmcnt(1)
	v_fmac_f64_e32 v[16:17], v[48:49], v[40:41]
	v_fmac_f64_e32 v[14:15], v[52:53], v[40:41]
	;; [unrolled: 1-line block ×8, first 2 shown]
	s_waitcnt vmcnt(0)
	v_fmac_f64_e32 v[16:17], v[50:51], v[44:45]
	v_fmac_f64_e32 v[14:15], v[54:55], v[44:45]
	;; [unrolled: 1-line block ×8, first 2 shown]
	s_andn2_b64 exec, exec, s[14:15]
	s_cbranch_execnz .LBB150_17
; %bb.18:
	s_or_b64 exec, exec, s[14:15]
.LBB150_19:
	s_or_b64 exec, exec, s[10:11]
	v_cmp_lt_u32_e32 vcc, 11, v5
	s_and_saveexec_b64 s[10:11], vcc
	s_cbranch_execz .LBB150_23
; %bb.20:
	s_mov_b64 s[14:15], 0
	s_mov_b64 s[16:17], 0x400
.LBB150_21:                             ; =>This Inner Loop Header: Depth=1
	global_load_dwordx4 v[22:25], v[20:21], off
	global_load_dwordx4 v[26:29], v[20:21], off offset:16
	global_load_dwordx4 v[30:33], v[20:21], off offset:32
	;; [unrolled: 1-line block ×8, first 2 shown]
	v_ashrrev_i32_e32 v19, 31, v18
	s_waitcnt vmcnt(8)
	v_cvt_f64_f32_e32 v[58:59], v22
	s_waitcnt vmcnt(7)
	v_cvt_f64_f32_e32 v[86:87], v26
	;; [unrolled: 2-line block ×3, first 2 shown]
	v_cvt_f64_f32_e32 v[100:101], v33
	v_lshl_add_u64 v[32:33], v[18:19], 2, s[8:9]
	global_load_dword v5, v[32:33], off
	s_waitcnt vmcnt(6)
	v_cvt_f64_f32_e32 v[102:103], v34
	v_cvt_f64_f32_e32 v[104:105], v35
	s_waitcnt vmcnt(2)
	v_cvt_f64_f32_e32 v[120:121], v50
	v_cvt_f64_f32_e32 v[82:83], v51
	;; [unrolled: 1-line block ×14, first 2 shown]
	s_waitcnt vmcnt(1)
	v_cvt_f64_f32_e32 v[28:29], v54
	v_cvt_f64_f32_e32 v[26:27], v55
	;; [unrolled: 1-line block ×4, first 2 shown]
	global_load_dwordx4 v[54:57], v[20:21], off offset:560
	v_cvt_f64_f32_e32 v[110:111], v38
	v_cvt_f64_f32_e32 v[112:113], v39
	;; [unrolled: 1-line block ×8, first 2 shown]
	global_load_dwordx4 v[38:41], v[20:21], off offset:528
	global_load_dwordx4 v[44:47], v[20:21], off offset:544
	v_cvt_f64_f32_e32 v[114:115], v42
	v_cvt_f64_f32_e32 v[116:117], v43
	;; [unrolled: 1-line block ×4, first 2 shown]
	v_add_u32_e32 v18, 16, v18
	v_cmp_ge_i32_e32 vcc, v18, v84
	s_or_b64 s[14:15], vcc, s[14:15]
	s_waitcnt vmcnt(3)
	v_subrev_u32_e32 v5, s12, v5
	v_lshlrev_b32_e32 v34, 2, v5
	v_ashrrev_i32_e32 v35, 31, v34
	s_waitcnt lgkmcnt(0)
	v_lshl_add_u64 v[50:51], v[34:35], 3, s[4:5]
	global_load_dwordx4 v[34:37], v[50:51], off
	global_load_dword v5, v[32:33], off offset:16
	s_waitcnt vmcnt(3)
	v_cvt_f64_f32_e32 v[48:49], v38
	global_load_dwordx4 v[50:53], v[50:51], off offset:16
	s_waitcnt vmcnt(3)
	v_cvt_f64_f32_e32 v[42:43], v46
	v_cvt_f64_f32_e32 v[38:39], v39
	s_waitcnt vmcnt(2)
	v_fmac_f64_e32 v[14:15], v[86:87], v[34:35]
	v_fmac_f64_e32 v[14:15], v[88:89], v[36:37]
	global_load_dwordx4 v[86:89], v[20:21], off offset:768
	v_fmac_f64_e32 v[16:17], v[58:59], v[34:35]
	v_fmac_f64_e32 v[12:13], v[94:95], v[34:35]
	;; [unrolled: 1-line block ×6, first 2 shown]
	s_waitcnt vmcnt(2)
	v_subrev_u32_e32 v5, s12, v5
	v_cvt_f64_f32_e32 v[58:59], v56
	v_cvt_f64_f32_e32 v[36:37], v40
	;; [unrolled: 1-line block ×6, first 2 shown]
	s_waitcnt vmcnt(1)
	v_fmac_f64_e32 v[16:17], v[62:63], v[50:51]
	v_fmac_f64_e32 v[14:15], v[90:91], v[50:51]
	;; [unrolled: 1-line block ×5, first 2 shown]
	v_cvt_f64_f32_e32 v[76:77], v54
	v_cvt_f64_f32_e32 v[62:63], v55
	v_cvt_f64_f32_e32 v[54:55], v57
	v_fmac_f64_e32 v[14:15], v[92:93], v[52:53]
	v_fmac_f64_e32 v[12:13], v[100:101], v[52:53]
	v_fmac_f64_e32 v[0:1], v[108:109], v[52:53]
	global_load_dwordx4 v[90:93], v[20:21], off offset:784
	s_waitcnt vmcnt(1)
	v_cvt_f64_f32_e32 v[56:57], v86
	v_lshlrev_b32_e32 v86, 2, v5
	v_cvt_f64_f32_e32 v[52:53], v87
	v_ashrrev_i32_e32 v87, 31, v86
	v_lshl_add_u64 v[94:95], v[86:87], 3, s[4:5]
	v_cvt_f64_f32_e32 v[50:51], v88
	v_cvt_f64_f32_e32 v[46:47], v89
	global_load_dwordx4 v[86:89], v[94:95], off
	s_waitcnt vmcnt(0)
	v_fmac_f64_e32 v[12:13], v[118:119], v[86:87]
	v_fmac_f64_e32 v[0:1], v[120:121], v[86:87]
	;; [unrolled: 1-line block ×4, first 2 shown]
	global_load_dwordx4 v[80:83], v[20:21], off offset:800
	v_fmac_f64_e32 v[16:17], v[110:111], v[86:87]
	v_fmac_f64_e32 v[16:17], v[112:113], v[88:89]
	;; [unrolled: 1-line block ×4, first 2 shown]
	v_cvt_f64_f32_e32 v[86:87], v90
	v_cvt_f64_f32_e32 v[88:89], v91
	;; [unrolled: 1-line block ×4, first 2 shown]
	s_waitcnt vmcnt(0)
	v_cvt_f64_f32_e32 v[96:97], v80
	v_cvt_f64_f32_e32 v[98:99], v81
	;; [unrolled: 1-line block ×4, first 2 shown]
	global_load_dwordx4 v[80:83], v[20:21], off offset:816
	v_lshl_add_u64 v[20:21], v[20:21], 0, s[16:17]
	s_waitcnt vmcnt(0)
	v_cvt_f64_f32_e32 v[104:105], v80
	v_cvt_f64_f32_e32 v[106:107], v81
	;; [unrolled: 1-line block ×4, first 2 shown]
	global_load_dwordx4 v[80:83], v[94:95], off offset:16
	global_load_dword v5, v[32:33], off offset:32
	global_load_dword v19, v[32:33], off offset:48
	s_waitcnt vmcnt(1)
	v_subrev_u32_e32 v5, s12, v5
	v_fmac_f64_e32 v[0:1], v[78:79], v[80:81]
	s_waitcnt vmcnt(0)
	v_subrev_u32_e32 v19, s12, v19
	v_fmac_f64_e32 v[0:1], v[30:31], v[82:83]
	v_lshlrev_b32_e32 v30, 2, v5
	v_fmac_f64_e32 v[16:17], v[66:67], v[80:81]
	v_lshlrev_b32_e32 v32, 2, v19
	v_ashrrev_i32_e32 v31, 31, v30
	v_fmac_f64_e32 v[12:13], v[74:75], v[80:81]
	v_fmac_f64_e32 v[16:17], v[64:65], v[82:83]
	v_ashrrev_i32_e32 v33, 31, v32
	v_lshl_add_u64 v[64:65], v[30:31], 3, s[4:5]
	v_fmac_f64_e32 v[12:13], v[72:73], v[82:83]
	v_lshl_add_u64 v[72:73], v[32:33], 3, s[4:5]
	global_load_dwordx4 v[30:33], v[64:65], off
	v_fmac_f64_e32 v[14:15], v[70:71], v[80:81]
	v_fmac_f64_e32 v[14:15], v[68:69], v[82:83]
	global_load_dwordx4 v[68:71], v[72:73], off
	s_waitcnt vmcnt(1)
	v_fmac_f64_e32 v[16:17], v[28:29], v[30:31]
	global_load_dwordx4 v[64:67], v[64:65], off offset:16
	v_fmac_f64_e32 v[14:15], v[48:49], v[30:31]
	v_fmac_f64_e32 v[12:13], v[60:61], v[30:31]
	;; [unrolled: 1-line block ×3, first 2 shown]
	global_load_dwordx4 v[28:31], v[72:73], off offset:16
	v_fmac_f64_e32 v[16:17], v[26:27], v[32:33]
	v_fmac_f64_e32 v[14:15], v[38:39], v[32:33]
	;; [unrolled: 1-line block ×4, first 2 shown]
	s_waitcnt vmcnt(1)
	v_fmac_f64_e32 v[16:17], v[24:25], v[64:65]
	v_fmac_f64_e32 v[14:15], v[36:37], v[64:65]
	v_fmac_f64_e32 v[12:13], v[42:43], v[64:65]
	v_fmac_f64_e32 v[0:1], v[58:59], v[64:65]
	v_fmac_f64_e32 v[16:17], v[22:23], v[66:67]
	v_fmac_f64_e32 v[14:15], v[34:35], v[66:67]
	v_fmac_f64_e32 v[12:13], v[40:41], v[66:67]
	v_fmac_f64_e32 v[0:1], v[54:55], v[66:67]
	v_fmac_f64_e32 v[16:17], v[56:57], v[68:69]
	v_fmac_f64_e32 v[14:15], v[86:87], v[68:69]
	v_fmac_f64_e32 v[12:13], v[96:97], v[68:69]
	v_fmac_f64_e32 v[0:1], v[104:105], v[68:69]
	v_fmac_f64_e32 v[16:17], v[52:53], v[70:71]
	v_fmac_f64_e32 v[14:15], v[88:89], v[70:71]
	v_fmac_f64_e32 v[12:13], v[98:99], v[70:71]
	v_fmac_f64_e32 v[0:1], v[106:107], v[70:71]
	s_waitcnt vmcnt(0)
	v_fmac_f64_e32 v[16:17], v[50:51], v[28:29]
	v_fmac_f64_e32 v[14:15], v[90:91], v[28:29]
	;; [unrolled: 1-line block ×8, first 2 shown]
	s_andn2_b64 exec, exec, s[14:15]
	s_cbranch_execnz .LBB150_21
; %bb.22:
	s_or_b64 exec, exec, s[14:15]
.LBB150_23:
	s_or_b64 exec, exec, s[10:11]
.LBB150_24:
	s_or_b64 exec, exec, s[6:7]
	s_cbranch_execz .LBB150_26
	s_branch .LBB150_37
.LBB150_25:
                                        ; implicit-def: $vgpr0_vgpr1
                                        ; implicit-def: $vgpr12_vgpr13
                                        ; implicit-def: $vgpr14_vgpr15
                                        ; implicit-def: $vgpr16_vgpr17
.LBB150_26:
	v_mov_b64_e32 v[0:1], 0
	v_mov_b64_e32 v[12:13], 0
	;; [unrolled: 1-line block ×4, first 2 shown]
	s_and_saveexec_b64 s[6:7], s[2:3]
	s_cbranch_execz .LBB150_36
; %bb.27:
	v_add_u32_e32 v0, v85, v11
	v_subrev_u32_e32 v0, s12, v0
	v_add_u32_e32 v0, 4, v0
	v_max_i32_e32 v0, v0, v84
	v_not_b32_e32 v1, v85
	v_add3_u32 v0, s12, v0, v1
	v_sub_u32_e32 v18, v0, v11
	v_and_b32_e32 v0, 12, v18
	v_cmp_ne_u32_e32 vcc, 12, v0
	v_mov_b64_e32 v[16:17], 0
	v_mov_b64_e32 v[14:15], 0
	;; [unrolled: 1-line block ×4, first 2 shown]
	s_and_saveexec_b64 s[2:3], vcc
	s_cbranch_execz .LBB150_31
; %bb.28:
	v_lshrrev_b32_e32 v0, 2, v18
	v_add_u32_e32 v0, 1, v0
	v_and_b32_e32 v0, 3, v0
	v_sub_u32_e32 v19, 0, v0
	v_mov_b64_e32 v[0:1], 0
	s_mov_b64 s[10:11], 0
	s_mov_b64 s[14:15], 0x100
	v_mov_b64_e32 v[12:13], 0
	v_mov_b64_e32 v[14:15], 0
	;; [unrolled: 1-line block ×3, first 2 shown]
.LBB150_29:                             ; =>This Inner Loop Header: Depth=1
	v_ashrrev_i32_e32 v5, 31, v4
	v_lshl_add_u64 v[32:33], v[4:5], 2, s[8:9]
	global_load_dword v5, v[32:33], off
	global_load_dwordx4 v[20:23], v[6:7], off
	global_load_dwordx4 v[24:27], v[6:7], off offset:16
	global_load_dwordx4 v[28:31], v[6:7], off offset:32
	v_add_co_u32_e32 v19, vcc, 1, v19
	v_add_u32_e32 v4, 4, v4
	s_or_b64 s[10:11], vcc, s[10:11]
	s_waitcnt vmcnt(3)
	v_subrev_u32_e32 v5, s12, v5
	v_lshlrev_b32_e32 v32, 2, v5
	v_ashrrev_i32_e32 v33, 31, v32
	s_waitcnt lgkmcnt(0)
	v_lshl_add_u64 v[44:45], v[32:33], 3, s[4:5]
	global_load_dwordx4 v[32:35], v[44:45], off offset:16
	global_load_dwordx4 v[36:39], v[44:45], off
	global_load_dwordx4 v[40:43], v[6:7], off offset:48
	s_waitcnt vmcnt(5)
	v_cvt_f64_f32_e32 v[44:45], v20
	v_cvt_f64_f32_e32 v[20:21], v21
	v_cvt_f64_f32_e32 v[46:47], v22
	v_cvt_f64_f32_e32 v[22:23], v23
	s_waitcnt vmcnt(4)
	v_cvt_f64_f32_e32 v[48:49], v24
	v_cvt_f64_f32_e32 v[24:25], v25
	v_cvt_f64_f32_e32 v[50:51], v26
	v_cvt_f64_f32_e32 v[26:27], v27
	;; [unrolled: 5-line block ×3, first 2 shown]
	v_lshl_add_u64 v[6:7], v[6:7], 0, s[14:15]
	s_waitcnt vmcnt(1)
	v_fmac_f64_e32 v[16:17], v[44:45], v[36:37]
	v_fmac_f64_e32 v[14:15], v[20:21], v[36:37]
	;; [unrolled: 1-line block ×8, first 2 shown]
	s_waitcnt vmcnt(0)
	v_cvt_f64_f32_e32 v[56:57], v40
	v_cvt_f64_f32_e32 v[40:41], v41
	;; [unrolled: 1-line block ×4, first 2 shown]
	v_fmac_f64_e32 v[16:17], v[52:53], v[32:33]
	v_fmac_f64_e32 v[14:15], v[28:29], v[32:33]
	;; [unrolled: 1-line block ×8, first 2 shown]
	s_andn2_b64 exec, exec, s[10:11]
	s_cbranch_execnz .LBB150_29
; %bb.30:
	s_or_b64 exec, exec, s[10:11]
.LBB150_31:
	s_or_b64 exec, exec, s[2:3]
	v_cmp_lt_u32_e32 vcc, 11, v18
	s_and_saveexec_b64 s[2:3], vcc
	s_cbranch_execz .LBB150_35
; %bb.32:
	s_mov_b64 s[10:11], 0
	s_mov_b64 s[14:15], 0x400
.LBB150_33:                             ; =>This Inner Loop Header: Depth=1
	global_load_dwordx4 v[18:21], v[6:7], off
	global_load_dwordx4 v[22:25], v[6:7], off offset:16
	global_load_dwordx4 v[26:29], v[6:7], off offset:32
	;; [unrolled: 1-line block ×6, first 2 shown]
	v_ashrrev_i32_e32 v5, 31, v4
	s_waitcnt vmcnt(6)
	v_cvt_f64_f32_e32 v[48:49], v20
	v_cvt_f64_f32_e32 v[50:51], v21
	;; [unrolled: 1-line block ×3, first 2 shown]
	s_waitcnt vmcnt(3)
	v_cvt_f64_f32_e32 v[68:69], v30
	v_cvt_f64_f32_e32 v[70:71], v31
	v_lshl_add_u64 v[30:31], v[4:5], 2, s[8:9]
	s_waitcnt vmcnt(0)
	v_cvt_f64_f32_e32 v[20:21], v42
	global_load_dword v5, v[30:31], off
	global_load_dword v42, v[30:31], off offset:16
	global_load_dword v85, v[30:31], off offset:32
	;; [unrolled: 1-line block ×3, first 2 shown]
	v_cvt_f64_f32_e32 v[86:87], v38
	v_cvt_f64_f32_e32 v[88:89], v39
	;; [unrolled: 1-line block ×13, first 2 shown]
	global_load_dwordx4 v[34:37], v[6:7], off offset:304
	v_cvt_f64_f32_e32 v[60:61], v26
	v_cvt_f64_f32_e32 v[62:63], v27
	;; [unrolled: 1-line block ×9, first 2 shown]
	v_add_u32_e32 v4, 16, v4
	v_cmp_ge_i32_e32 vcc, v4, v84
	s_or_b64 s[10:11], vcc, s[10:11]
	s_waitcnt vmcnt(4)
	v_subrev_u32_e32 v5, s12, v5
	v_lshlrev_b32_e32 v30, 2, v5
	v_ashrrev_i32_e32 v31, 31, v30
	s_waitcnt lgkmcnt(0)
	v_lshl_add_u64 v[38:39], v[30:31], 3, s[4:5]
	global_load_dwordx4 v[30:33], v[38:39], off
	s_waitcnt vmcnt(4)
	v_subrev_u32_e32 v5, s12, v42
	global_load_dwordx4 v[42:45], v[6:7], off offset:560
	s_waitcnt vmcnt(1)
	v_fmac_f64_e32 v[16:17], v[46:47], v[30:31]
	v_fmac_f64_e32 v[14:15], v[18:19], v[30:31]
	;; [unrolled: 1-line block ×8, first 2 shown]
	global_load_dwordx4 v[30:33], v[6:7], off offset:512
	v_cvt_f64_f32_e32 v[54:55], v34
	v_cvt_f64_f32_e32 v[56:57], v35
	;; [unrolled: 1-line block ×4, first 2 shown]
	global_load_dwordx4 v[34:37], v[6:7], off offset:528
	global_load_dwordx4 v[46:49], v[6:7], off offset:768
	s_waitcnt vmcnt(2)
	v_cvt_f64_f32_e32 v[94:95], v30
	v_cvt_f64_f32_e32 v[96:97], v31
	;; [unrolled: 1-line block ×4, first 2 shown]
	global_load_dwordx4 v[30:33], v[38:39], off offset:16
	s_waitcnt vmcnt(0)
	v_fmac_f64_e32 v[16:17], v[60:61], v[30:31]
	v_fmac_f64_e32 v[14:15], v[62:63], v[30:31]
	;; [unrolled: 1-line block ×8, first 2 shown]
	global_load_dwordx4 v[30:33], v[6:7], off offset:544
	v_cvt_f64_f32_e32 v[64:65], v36
	v_cvt_f64_f32_e32 v[66:67], v37
	v_cvt_f64_f32_e32 v[60:61], v34
	v_cvt_f64_f32_e32 v[62:63], v35
	v_cvt_f64_f32_e32 v[34:35], v45
	s_waitcnt vmcnt(0)
	v_cvt_f64_f32_e32 v[38:39], v30
	v_lshlrev_b32_e32 v30, 2, v5
	v_cvt_f64_f32_e32 v[40:41], v31
	v_ashrrev_i32_e32 v31, 31, v30
	v_lshl_add_u64 v[50:51], v[30:31], 3, s[4:5]
	v_cvt_f64_f32_e32 v[36:37], v32
	v_cvt_f64_f32_e32 v[18:19], v33
	global_load_dwordx4 v[30:33], v[50:51], off
	v_subrev_u32_e32 v5, s12, v85
	global_load_dwordx4 v[50:53], v[50:51], off offset:16
	s_waitcnt vmcnt(1)
	v_fmac_f64_e32 v[16:17], v[76:77], v[30:31]
	v_fmac_f64_e32 v[14:15], v[78:79], v[30:31]
	;; [unrolled: 1-line block ×4, first 2 shown]
	s_waitcnt vmcnt(0)
	v_fmac_f64_e32 v[16:17], v[20:21], v[50:51]
	v_fmac_f64_e32 v[14:15], v[22:23], v[50:51]
	global_load_dwordx4 v[20:23], v[6:7], off offset:784
	v_fmac_f64_e32 v[12:13], v[80:81], v[30:31]
	v_fmac_f64_e32 v[0:1], v[82:83], v[30:31]
	v_fmac_f64_e32 v[12:13], v[90:91], v[32:33]
	v_fmac_f64_e32 v[0:1], v[28:29], v[32:33]
	v_fmac_f64_e32 v[12:13], v[24:25], v[50:51]
	v_fmac_f64_e32 v[0:1], v[26:27], v[50:51]
	v_fmac_f64_e32 v[16:17], v[54:55], v[52:53]
	v_fmac_f64_e32 v[14:15], v[56:57], v[52:53]
	v_fmac_f64_e32 v[12:13], v[58:59], v[52:53]
	v_fmac_f64_e32 v[0:1], v[92:93], v[52:53]
	global_load_dwordx4 v[24:27], v[6:7], off offset:816
	v_cvt_f64_f32_e32 v[28:29], v42
	v_cvt_f64_f32_e32 v[30:31], v43
	;; [unrolled: 1-line block ×7, first 2 shown]
	s_waitcnt vmcnt(1)
	v_cvt_f64_f32_e32 v[50:51], v20
	v_cvt_f64_f32_e32 v[52:53], v21
	;; [unrolled: 1-line block ×4, first 2 shown]
	global_load_dwordx4 v[20:23], v[6:7], off offset:800
	v_lshl_add_u64 v[6:7], v[6:7], 0, s[14:15]
	s_waitcnt vmcnt(0)
	v_cvt_f64_f32_e32 v[58:59], v20
	v_lshlrev_b32_e32 v20, 2, v5
	v_cvt_f64_f32_e32 v[68:69], v21
	v_ashrrev_i32_e32 v21, 31, v20
	v_lshl_add_u64 v[74:75], v[20:21], 3, s[4:5]
	v_cvt_f64_f32_e32 v[70:71], v22
	v_cvt_f64_f32_e32 v[72:73], v23
	global_load_dwordx4 v[20:23], v[74:75], off
	v_subrev_u32_e32 v5, s12, v102
	s_waitcnt vmcnt(0)
	v_fmac_f64_e32 v[16:17], v[94:95], v[20:21]
	v_fmac_f64_e32 v[14:15], v[96:97], v[20:21]
	;; [unrolled: 1-line block ×4, first 2 shown]
	v_lshlrev_b32_e32 v20, 2, v5
	v_ashrrev_i32_e32 v21, 31, v20
	v_fmac_f64_e32 v[16:17], v[60:61], v[22:23]
	v_fmac_f64_e32 v[14:15], v[62:63], v[22:23]
	v_fmac_f64_e32 v[12:13], v[64:65], v[22:23]
	v_fmac_f64_e32 v[0:1], v[66:67], v[22:23]
	v_lshl_add_u64 v[76:77], v[20:21], 3, s[4:5]
	global_load_dwordx4 v[20:23], v[74:75], off offset:16
	v_cvt_f64_f32_e32 v[60:61], v24
	v_cvt_f64_f32_e32 v[62:63], v25
	;; [unrolled: 1-line block ×4, first 2 shown]
	global_load_dwordx4 v[24:27], v[76:77], off
	s_waitcnt vmcnt(1)
	v_fmac_f64_e32 v[16:17], v[38:39], v[20:21]
	v_fmac_f64_e32 v[12:13], v[36:37], v[20:21]
	global_load_dwordx4 v[36:39], v[76:77], off offset:16
	v_fmac_f64_e32 v[14:15], v[40:41], v[20:21]
	v_fmac_f64_e32 v[0:1], v[18:19], v[20:21]
	;; [unrolled: 1-line block ×6, first 2 shown]
	s_waitcnt vmcnt(1)
	v_fmac_f64_e32 v[16:17], v[42:43], v[24:25]
	v_fmac_f64_e32 v[14:15], v[44:45], v[24:25]
	;; [unrolled: 1-line block ×8, first 2 shown]
	s_waitcnt vmcnt(0)
	v_fmac_f64_e32 v[16:17], v[58:59], v[36:37]
	v_fmac_f64_e32 v[14:15], v[68:69], v[36:37]
	;; [unrolled: 1-line block ×8, first 2 shown]
	s_andn2_b64 exec, exec, s[10:11]
	s_cbranch_execnz .LBB150_33
; %bb.34:
	s_or_b64 exec, exec, s[10:11]
.LBB150_35:
	s_or_b64 exec, exec, s[2:3]
.LBB150_36:
	s_or_b64 exec, exec, s[6:7]
.LBB150_37:
	v_mov_b32_dpp v4, v16 row_shr:1 row_mask:0xf bank_mask:0xf
	v_mov_b32_dpp v5, v17 row_shr:1 row_mask:0xf bank_mask:0xf
	v_add_f64 v[4:5], v[16:17], v[4:5]
	v_mov_b32_dpp v16, v14 row_shr:1 row_mask:0xf bank_mask:0xf
	v_mov_b32_dpp v17, v15 row_shr:1 row_mask:0xf bank_mask:0xf
	;; [unrolled: 1-line block ×6, first 2 shown]
	v_add_f64 v[14:15], v[14:15], v[16:17]
	v_add_f64 v[12:13], v[12:13], v[18:19]
	;; [unrolled: 1-line block ×3, first 2 shown]
	v_mov_b32_dpp v6, v4 row_shr:2 row_mask:0xf bank_mask:0xf
	v_mov_b32_dpp v7, v5 row_shr:2 row_mask:0xf bank_mask:0xf
	;; [unrolled: 1-line block ×8, first 2 shown]
	v_cmp_eq_u32_e32 vcc, 3, v11
	s_and_b64 exec, exec, vcc
	s_cbranch_execz .LBB150_10
; %bb.38:
	s_load_dwordx2 s[0:1], s[0:1], 0x50
	v_add_f64 v[4:5], v[4:5], v[6:7]
	v_add_f64 v[6:7], v[14:15], v[16:17]
	;; [unrolled: 1-line block ×4, first 2 shown]
	v_cmp_eq_f64_e32 vcc, 0, v[8:9]
	v_mul_f64 v[4:5], v[2:3], v[4:5]
	v_mul_f64 v[6:7], v[2:3], v[6:7]
	;; [unrolled: 1-line block ×4, first 2 shown]
	v_lshlrev_b32_e32 v10, 2, v10
	s_and_saveexec_b64 s[2:3], vcc
	s_xor_b64 s[2:3], exec, s[2:3]
	s_cbranch_execz .LBB150_40
; %bb.39:
	v_ashrrev_i32_e32 v11, 31, v10
	s_waitcnt lgkmcnt(0)
	v_lshl_add_u64 v[8:9], v[10:11], 3, s[0:1]
	global_store_dwordx4 v[8:9], v[4:7], off
	global_store_dwordx4 v[8:9], v[0:3], off offset:16
                                        ; implicit-def: $vgpr10
                                        ; implicit-def: $vgpr8_vgpr9
                                        ; implicit-def: $vgpr4_vgpr5
                                        ; implicit-def: $vgpr0_vgpr1
.LBB150_40:
	s_andn2_saveexec_b64 s[2:3], s[2:3]
	s_cbranch_execz .LBB150_10
; %bb.41:
	v_ashrrev_i32_e32 v11, 31, v10
	s_waitcnt lgkmcnt(0)
	v_lshl_add_u64 v[18:19], v[10:11], 3, s[0:1]
	global_load_dwordx4 v[10:13], v[18:19], off
	global_load_dwordx4 v[14:17], v[18:19], off offset:16
	s_waitcnt vmcnt(1)
	v_fmac_f64_e32 v[4:5], v[8:9], v[10:11]
	v_fmac_f64_e32 v[6:7], v[8:9], v[12:13]
	s_waitcnt vmcnt(0)
	v_fmac_f64_e32 v[0:1], v[8:9], v[14:15]
	v_fmac_f64_e32 v[2:3], v[8:9], v[16:17]
	global_store_dwordx4 v[18:19], v[4:7], off
	global_store_dwordx4 v[18:19], v[0:3], off offset:16
	s_endpgm
	.section	.rodata,"a",@progbits
	.p2align	6, 0x0
	.amdhsa_kernel _ZN9rocsparseL18bsrxmvn_4x4_kernelILj128ELj4EdiifddEEvT3_20rocsparse_direction_NS_24const_host_device_scalarIT1_EES1_PKS1_PKT2_SA_S7_PKT4_PKT5_S5_PT6_21rocsparse_index_base_b
		.amdhsa_group_segment_fixed_size 0
		.amdhsa_private_segment_fixed_size 0
		.amdhsa_kernarg_size 96
		.amdhsa_user_sgpr_count 2
		.amdhsa_user_sgpr_dispatch_ptr 0
		.amdhsa_user_sgpr_queue_ptr 0
		.amdhsa_user_sgpr_kernarg_segment_ptr 1
		.amdhsa_user_sgpr_dispatch_id 0
		.amdhsa_user_sgpr_kernarg_preload_length 0
		.amdhsa_user_sgpr_kernarg_preload_offset 0
		.amdhsa_user_sgpr_private_segment_size 0
		.amdhsa_uses_dynamic_stack 0
		.amdhsa_enable_private_segment 0
		.amdhsa_system_sgpr_workgroup_id_x 1
		.amdhsa_system_sgpr_workgroup_id_y 0
		.amdhsa_system_sgpr_workgroup_id_z 0
		.amdhsa_system_sgpr_workgroup_info 0
		.amdhsa_system_vgpr_workitem_id 0
		.amdhsa_next_free_vgpr 122
		.amdhsa_next_free_sgpr 18
		.amdhsa_accum_offset 124
		.amdhsa_reserve_vcc 1
		.amdhsa_float_round_mode_32 0
		.amdhsa_float_round_mode_16_64 0
		.amdhsa_float_denorm_mode_32 3
		.amdhsa_float_denorm_mode_16_64 3
		.amdhsa_dx10_clamp 1
		.amdhsa_ieee_mode 1
		.amdhsa_fp16_overflow 0
		.amdhsa_tg_split 0
		.amdhsa_exception_fp_ieee_invalid_op 0
		.amdhsa_exception_fp_denorm_src 0
		.amdhsa_exception_fp_ieee_div_zero 0
		.amdhsa_exception_fp_ieee_overflow 0
		.amdhsa_exception_fp_ieee_underflow 0
		.amdhsa_exception_fp_ieee_inexact 0
		.amdhsa_exception_int_div_zero 0
	.end_amdhsa_kernel
	.section	.text._ZN9rocsparseL18bsrxmvn_4x4_kernelILj128ELj4EdiifddEEvT3_20rocsparse_direction_NS_24const_host_device_scalarIT1_EES1_PKS1_PKT2_SA_S7_PKT4_PKT5_S5_PT6_21rocsparse_index_base_b,"axG",@progbits,_ZN9rocsparseL18bsrxmvn_4x4_kernelILj128ELj4EdiifddEEvT3_20rocsparse_direction_NS_24const_host_device_scalarIT1_EES1_PKS1_PKT2_SA_S7_PKT4_PKT5_S5_PT6_21rocsparse_index_base_b,comdat
.Lfunc_end150:
	.size	_ZN9rocsparseL18bsrxmvn_4x4_kernelILj128ELj4EdiifddEEvT3_20rocsparse_direction_NS_24const_host_device_scalarIT1_EES1_PKS1_PKT2_SA_S7_PKT4_PKT5_S5_PT6_21rocsparse_index_base_b, .Lfunc_end150-_ZN9rocsparseL18bsrxmvn_4x4_kernelILj128ELj4EdiifddEEvT3_20rocsparse_direction_NS_24const_host_device_scalarIT1_EES1_PKS1_PKT2_SA_S7_PKT4_PKT5_S5_PT6_21rocsparse_index_base_b
                                        ; -- End function
	.set _ZN9rocsparseL18bsrxmvn_4x4_kernelILj128ELj4EdiifddEEvT3_20rocsparse_direction_NS_24const_host_device_scalarIT1_EES1_PKS1_PKT2_SA_S7_PKT4_PKT5_S5_PT6_21rocsparse_index_base_b.num_vgpr, 122
	.set _ZN9rocsparseL18bsrxmvn_4x4_kernelILj128ELj4EdiifddEEvT3_20rocsparse_direction_NS_24const_host_device_scalarIT1_EES1_PKS1_PKT2_SA_S7_PKT4_PKT5_S5_PT6_21rocsparse_index_base_b.num_agpr, 0
	.set _ZN9rocsparseL18bsrxmvn_4x4_kernelILj128ELj4EdiifddEEvT3_20rocsparse_direction_NS_24const_host_device_scalarIT1_EES1_PKS1_PKT2_SA_S7_PKT4_PKT5_S5_PT6_21rocsparse_index_base_b.numbered_sgpr, 18
	.set _ZN9rocsparseL18bsrxmvn_4x4_kernelILj128ELj4EdiifddEEvT3_20rocsparse_direction_NS_24const_host_device_scalarIT1_EES1_PKS1_PKT2_SA_S7_PKT4_PKT5_S5_PT6_21rocsparse_index_base_b.num_named_barrier, 0
	.set _ZN9rocsparseL18bsrxmvn_4x4_kernelILj128ELj4EdiifddEEvT3_20rocsparse_direction_NS_24const_host_device_scalarIT1_EES1_PKS1_PKT2_SA_S7_PKT4_PKT5_S5_PT6_21rocsparse_index_base_b.private_seg_size, 0
	.set _ZN9rocsparseL18bsrxmvn_4x4_kernelILj128ELj4EdiifddEEvT3_20rocsparse_direction_NS_24const_host_device_scalarIT1_EES1_PKS1_PKT2_SA_S7_PKT4_PKT5_S5_PT6_21rocsparse_index_base_b.uses_vcc, 1
	.set _ZN9rocsparseL18bsrxmvn_4x4_kernelILj128ELj4EdiifddEEvT3_20rocsparse_direction_NS_24const_host_device_scalarIT1_EES1_PKS1_PKT2_SA_S7_PKT4_PKT5_S5_PT6_21rocsparse_index_base_b.uses_flat_scratch, 0
	.set _ZN9rocsparseL18bsrxmvn_4x4_kernelILj128ELj4EdiifddEEvT3_20rocsparse_direction_NS_24const_host_device_scalarIT1_EES1_PKS1_PKT2_SA_S7_PKT4_PKT5_S5_PT6_21rocsparse_index_base_b.has_dyn_sized_stack, 0
	.set _ZN9rocsparseL18bsrxmvn_4x4_kernelILj128ELj4EdiifddEEvT3_20rocsparse_direction_NS_24const_host_device_scalarIT1_EES1_PKS1_PKT2_SA_S7_PKT4_PKT5_S5_PT6_21rocsparse_index_base_b.has_recursion, 0
	.set _ZN9rocsparseL18bsrxmvn_4x4_kernelILj128ELj4EdiifddEEvT3_20rocsparse_direction_NS_24const_host_device_scalarIT1_EES1_PKS1_PKT2_SA_S7_PKT4_PKT5_S5_PT6_21rocsparse_index_base_b.has_indirect_call, 0
	.section	.AMDGPU.csdata,"",@progbits
; Kernel info:
; codeLenInByte = 3604
; TotalNumSgprs: 24
; NumVgprs: 122
; NumAgprs: 0
; TotalNumVgprs: 122
; ScratchSize: 0
; MemoryBound: 0
; FloatMode: 240
; IeeeMode: 1
; LDSByteSize: 0 bytes/workgroup (compile time only)
; SGPRBlocks: 2
; VGPRBlocks: 15
; NumSGPRsForWavesPerEU: 24
; NumVGPRsForWavesPerEU: 122
; AccumOffset: 124
; Occupancy: 4
; WaveLimiterHint : 1
; COMPUTE_PGM_RSRC2:SCRATCH_EN: 0
; COMPUTE_PGM_RSRC2:USER_SGPR: 2
; COMPUTE_PGM_RSRC2:TRAP_HANDLER: 0
; COMPUTE_PGM_RSRC2:TGID_X_EN: 1
; COMPUTE_PGM_RSRC2:TGID_Y_EN: 0
; COMPUTE_PGM_RSRC2:TGID_Z_EN: 0
; COMPUTE_PGM_RSRC2:TIDIG_COMP_CNT: 0
; COMPUTE_PGM_RSRC3_GFX90A:ACCUM_OFFSET: 30
; COMPUTE_PGM_RSRC3_GFX90A:TG_SPLIT: 0
	.section	.text._ZN9rocsparseL18bsrxmvn_4x4_kernelILj128ELj8EdiifddEEvT3_20rocsparse_direction_NS_24const_host_device_scalarIT1_EES1_PKS1_PKT2_SA_S7_PKT4_PKT5_S5_PT6_21rocsparse_index_base_b,"axG",@progbits,_ZN9rocsparseL18bsrxmvn_4x4_kernelILj128ELj8EdiifddEEvT3_20rocsparse_direction_NS_24const_host_device_scalarIT1_EES1_PKS1_PKT2_SA_S7_PKT4_PKT5_S5_PT6_21rocsparse_index_base_b,comdat
	.globl	_ZN9rocsparseL18bsrxmvn_4x4_kernelILj128ELj8EdiifddEEvT3_20rocsparse_direction_NS_24const_host_device_scalarIT1_EES1_PKS1_PKT2_SA_S7_PKT4_PKT5_S5_PT6_21rocsparse_index_base_b ; -- Begin function _ZN9rocsparseL18bsrxmvn_4x4_kernelILj128ELj8EdiifddEEvT3_20rocsparse_direction_NS_24const_host_device_scalarIT1_EES1_PKS1_PKT2_SA_S7_PKT4_PKT5_S5_PT6_21rocsparse_index_base_b
	.p2align	8
	.type	_ZN9rocsparseL18bsrxmvn_4x4_kernelILj128ELj8EdiifddEEvT3_20rocsparse_direction_NS_24const_host_device_scalarIT1_EES1_PKS1_PKT2_SA_S7_PKT4_PKT5_S5_PT6_21rocsparse_index_base_b,@function
_ZN9rocsparseL18bsrxmvn_4x4_kernelILj128ELj8EdiifddEEvT3_20rocsparse_direction_NS_24const_host_device_scalarIT1_EES1_PKS1_PKT2_SA_S7_PKT4_PKT5_S5_PT6_21rocsparse_index_base_b: ; @_ZN9rocsparseL18bsrxmvn_4x4_kernelILj128ELj8EdiifddEEvT3_20rocsparse_direction_NS_24const_host_device_scalarIT1_EES1_PKS1_PKT2_SA_S7_PKT4_PKT5_S5_PT6_21rocsparse_index_base_b
; %bb.0:
	s_load_dwordx2 s[12:13], s[0:1], 0x58
	s_load_dwordx2 s[8:9], s[0:1], 0x8
	s_load_dwordx2 s[4:5], s[0:1], 0x48
	s_waitcnt lgkmcnt(0)
	s_bitcmp1_b32 s13, 0
	s_cselect_b64 s[10:11], -1, 0
	s_xor_b64 s[6:7], s[10:11], -1
	s_and_b64 vcc, exec, s[10:11]
	v_mov_b64_e32 v[2:3], s[8:9]
	s_cbranch_vccnz .LBB151_2
; %bb.1:
	v_mov_b64_e32 v[2:3], s[8:9]
	flat_load_dwordx2 v[2:3], v[2:3]
.LBB151_2:
	s_andn2_b64 vcc, exec, s[6:7]
	v_mov_b64_e32 v[8:9], s[4:5]
	s_cbranch_vccnz .LBB151_4
; %bb.3:
	v_mov_b64_e32 v[4:5], s[4:5]
	flat_load_dwordx2 v[8:9], v[4:5]
.LBB151_4:
	s_waitcnt vmcnt(0) lgkmcnt(0)
	v_cmp_neq_f64_e32 vcc, 0, v[2:3]
	v_cmp_neq_f64_e64 s[4:5], 1.0, v[8:9]
	s_mov_b64 s[6:7], 0
	s_or_b64 s[4:5], vcc, s[4:5]
	s_and_saveexec_b64 s[8:9], s[4:5]
	s_cbranch_execz .LBB151_10
; %bb.5:
	s_load_dwordx2 s[4:5], s[0:1], 0x18
	s_load_dwordx2 s[14:15], s[0:1], 0x0
	v_lshrrev_b32_e32 v1, 3, v0
	v_lshl_or_b32 v10, s2, 4, v1
	s_mov_b64 s[2:3], 0
	s_waitcnt lgkmcnt(0)
	s_cmp_lg_u64 s[4:5], 0
	s_cbranch_scc0 .LBB151_11
; %bb.6:
	s_load_dword s6, s[0:1], 0x10
                                        ; implicit-def: $vgpr1
	s_waitcnt lgkmcnt(0)
	v_cmp_gt_i32_e32 vcc, s6, v10
	s_and_saveexec_b64 s[6:7], vcc
	s_xor_b64 s[6:7], exec, s[6:7]
	s_cbranch_execz .LBB151_8
; %bb.7:
	v_ashrrev_i32_e32 v11, 31, v10
	v_lshl_add_u64 v[4:5], v[10:11], 2, s[4:5]
	global_load_dword v1, v[4:5], off
	s_mov_b64 s[2:3], exec
	s_waitcnt vmcnt(0)
	v_subrev_u32_e32 v1, s12, v1
.LBB151_8:
	s_or_b64 exec, exec, s[6:7]
	s_mov_b64 s[6:7], s[2:3]
	s_branch .LBB151_12
.LBB151_9:
	v_cmp_gt_i32_e32 vcc, s14, v10
	s_andn2_b64 s[2:3], s[6:7], exec
	s_and_b64 s[4:5], vcc, exec
	s_or_b64 s[6:7], s[2:3], s[4:5]
	s_and_b64 exec, exec, s[6:7]
	s_cbranch_execnz .LBB151_13
.LBB151_10:
	s_endpgm
.LBB151_11:
                                        ; implicit-def: $vgpr1
	s_cbranch_execnz .LBB151_9
.LBB151_12:
	v_mov_b32_e32 v10, v1
	s_and_b64 exec, exec, s[6:7]
	s_cbranch_execz .LBB151_10
.LBB151_13:
	s_load_dwordx8 s[4:11], s[0:1], 0x20
	v_ashrrev_i32_e32 v11, 31, v10
	v_lshlrev_b64 v[4:5], 2, v[10:11]
	v_and_b32_e32 v11, 7, v0
	s_waitcnt lgkmcnt(0)
	v_lshl_add_u64 v[6:7], s[4:5], 0, v[4:5]
	s_cmp_eq_u64 s[6:7], 0
	global_load_dword v85, v[6:7], off
	v_lshl_add_u64 v[6:7], v[6:7], 0, 4
	v_lshl_add_u64 v[4:5], s[6:7], 0, v[4:5]
	s_cselect_b64 vcc, -1, 0
	v_cndmask_b32_e32 v5, v5, v7, vcc
	v_cndmask_b32_e32 v4, v4, v6, vcc
	global_load_dword v1, v[4:5], off
	s_load_dwordx2 s[4:5], s[0:1], 0x40
	s_cmp_eq_u32 s15, 1
	s_waitcnt vmcnt(1)
	v_subrev_u32_e32 v0, s12, v85
	v_add_u32_e32 v4, v0, v11
	v_ashrrev_i32_e32 v5, 31, v4
	s_waitcnt vmcnt(0)
	v_subrev_u32_e32 v84, s12, v1
	v_lshlrev_b64 v[0:1], 6, v[4:5]
	v_lshl_add_u64 v[6:7], s[10:11], 0, v[0:1]
	v_cmp_lt_i32_e64 s[2:3], v4, v84
	s_cbranch_scc1 .LBB151_25
; %bb.14:
	v_mov_b64_e32 v[0:1], 0
	v_mov_b64_e32 v[12:13], 0
	;; [unrolled: 1-line block ×4, first 2 shown]
	s_and_saveexec_b64 s[6:7], s[2:3]
	s_cbranch_execz .LBB151_24
; %bb.15:
	v_add_u32_e32 v0, v85, v11
	v_subrev_u32_e32 v0, s12, v0
	v_add_u32_e32 v0, 8, v0
	v_max_i32_e32 v0, v0, v84
	v_not_b32_e32 v1, v85
	v_add3_u32 v0, s12, v0, v1
	v_sub_u32_e32 v5, v0, v11
	v_and_b32_e32 v0, 24, v5
	v_cmp_ne_u32_e32 vcc, 24, v0
	v_mov_b64_e32 v[16:17], 0
	v_mov_b64_e32 v[14:15], 0
	;; [unrolled: 1-line block ×4, first 2 shown]
	v_mov_b32_e32 v18, v4
	v_mov_b64_e32 v[20:21], v[6:7]
	s_and_saveexec_b64 s[10:11], vcc
	s_cbranch_execz .LBB151_19
; %bb.16:
	v_lshrrev_b32_e32 v0, 3, v5
	v_add_u32_e32 v0, 1, v0
	v_and_b32_e32 v0, 3, v0
	v_sub_u32_e32 v22, 0, v0
	v_mov_b64_e32 v[0:1], 0
	s_mov_b64 s[14:15], 0
	s_mov_b64 s[16:17], 0x200
	v_mov_b64_e32 v[20:21], v[6:7]
	v_mov_b32_e32 v18, v4
	v_mov_b64_e32 v[12:13], 0
	v_mov_b64_e32 v[14:15], 0
	;; [unrolled: 1-line block ×3, first 2 shown]
.LBB151_17:                             ; =>This Inner Loop Header: Depth=1
	v_ashrrev_i32_e32 v19, 31, v18
	v_lshl_add_u64 v[40:41], v[18:19], 2, s[8:9]
	global_load_dword v19, v[40:41], off
	global_load_dwordx4 v[24:27], v[20:21], off
	global_load_dwordx4 v[28:31], v[20:21], off offset:16
	global_load_dwordx4 v[32:35], v[20:21], off offset:32
	;; [unrolled: 1-line block ×3, first 2 shown]
	v_add_co_u32_e32 v22, vcc, 1, v22
	v_lshl_add_u64 v[20:21], v[20:21], 0, s[16:17]
	v_add_u32_e32 v18, 8, v18
	s_or_b64 s[14:15], vcc, s[14:15]
	s_waitcnt vmcnt(4)
	v_subrev_u32_e32 v19, s12, v19
	v_lshlrev_b32_e32 v40, 2, v19
	v_ashrrev_i32_e32 v41, 31, v40
	s_waitcnt lgkmcnt(0)
	v_lshl_add_u64 v[48:49], v[40:41], 3, s[4:5]
	global_load_dwordx4 v[40:43], v[48:49], off
	global_load_dwordx4 v[44:47], v[48:49], off offset:16
	s_waitcnt vmcnt(5)
	v_cvt_f64_f32_e32 v[48:49], v24
	s_waitcnt vmcnt(4)
	v_cvt_f64_f32_e32 v[52:53], v28
	;; [unrolled: 2-line block ×4, first 2 shown]
	v_cvt_f64_f32_e32 v[24:25], v25
	v_cvt_f64_f32_e32 v[28:29], v29
	v_cvt_f64_f32_e32 v[32:33], v33
	v_cvt_f64_f32_e32 v[36:37], v37
	v_cvt_f64_f32_e32 v[50:51], v26
	v_cvt_f64_f32_e32 v[54:55], v30
	v_cvt_f64_f32_e32 v[58:59], v34
	v_cvt_f64_f32_e32 v[62:63], v38
	v_cvt_f64_f32_e32 v[26:27], v27
	v_cvt_f64_f32_e32 v[30:31], v31
	v_cvt_f64_f32_e32 v[34:35], v35
	v_cvt_f64_f32_e32 v[38:39], v39
	s_waitcnt vmcnt(1)
	v_fmac_f64_e32 v[16:17], v[48:49], v[40:41]
	v_fmac_f64_e32 v[14:15], v[52:53], v[40:41]
	;; [unrolled: 1-line block ×8, first 2 shown]
	s_waitcnt vmcnt(0)
	v_fmac_f64_e32 v[16:17], v[50:51], v[44:45]
	v_fmac_f64_e32 v[14:15], v[54:55], v[44:45]
	;; [unrolled: 1-line block ×8, first 2 shown]
	s_andn2_b64 exec, exec, s[14:15]
	s_cbranch_execnz .LBB151_17
; %bb.18:
	s_or_b64 exec, exec, s[14:15]
.LBB151_19:
	s_or_b64 exec, exec, s[10:11]
	v_cmp_lt_u32_e32 vcc, 23, v5
	s_and_saveexec_b64 s[10:11], vcc
	s_cbranch_execz .LBB151_23
; %bb.20:
	s_mov_b64 s[14:15], 0
	s_mov_b64 s[16:17], 0x800
.LBB151_21:                             ; =>This Inner Loop Header: Depth=1
	global_load_dwordx4 v[22:25], v[20:21], off
	global_load_dwordx4 v[26:29], v[20:21], off offset:16
	global_load_dwordx4 v[30:33], v[20:21], off offset:32
	;; [unrolled: 1-line block ×8, first 2 shown]
	v_ashrrev_i32_e32 v19, 31, v18
	s_waitcnt vmcnt(8)
	v_cvt_f64_f32_e32 v[58:59], v22
	s_waitcnt vmcnt(7)
	v_cvt_f64_f32_e32 v[86:87], v26
	;; [unrolled: 2-line block ×3, first 2 shown]
	v_cvt_f64_f32_e32 v[100:101], v33
	v_lshl_add_u64 v[32:33], v[18:19], 2, s[8:9]
	global_load_dword v5, v[32:33], off
	s_waitcnt vmcnt(6)
	v_cvt_f64_f32_e32 v[102:103], v34
	v_cvt_f64_f32_e32 v[104:105], v35
	s_waitcnt vmcnt(2)
	v_cvt_f64_f32_e32 v[120:121], v50
	v_cvt_f64_f32_e32 v[82:83], v51
	;; [unrolled: 1-line block ×14, first 2 shown]
	s_waitcnt vmcnt(1)
	v_cvt_f64_f32_e32 v[28:29], v54
	v_cvt_f64_f32_e32 v[26:27], v55
	;; [unrolled: 1-line block ×4, first 2 shown]
	global_load_dwordx4 v[54:57], v[20:21], off offset:1072
	v_cvt_f64_f32_e32 v[110:111], v38
	v_cvt_f64_f32_e32 v[112:113], v39
	v_cvt_f64_f32_e32 v[66:67], v40
	v_cvt_f64_f32_e32 v[64:65], v41
	v_cvt_f64_f32_e32 v[70:71], v44
	v_cvt_f64_f32_e32 v[68:69], v45
	v_cvt_f64_f32_e32 v[118:119], v46
	v_cvt_f64_f32_e32 v[80:81], v47
	global_load_dwordx4 v[38:41], v[20:21], off offset:1040
	global_load_dwordx4 v[44:47], v[20:21], off offset:1056
	v_cvt_f64_f32_e32 v[114:115], v42
	v_cvt_f64_f32_e32 v[116:117], v43
	;; [unrolled: 1-line block ×4, first 2 shown]
	v_add_u32_e32 v18, 32, v18
	v_cmp_ge_i32_e32 vcc, v18, v84
	s_or_b64 s[14:15], vcc, s[14:15]
	s_waitcnt vmcnt(3)
	v_subrev_u32_e32 v5, s12, v5
	v_lshlrev_b32_e32 v34, 2, v5
	v_ashrrev_i32_e32 v35, 31, v34
	s_waitcnt lgkmcnt(0)
	v_lshl_add_u64 v[50:51], v[34:35], 3, s[4:5]
	global_load_dwordx4 v[34:37], v[50:51], off
	global_load_dword v5, v[32:33], off offset:32
	s_waitcnt vmcnt(3)
	v_cvt_f64_f32_e32 v[48:49], v38
	global_load_dwordx4 v[50:53], v[50:51], off offset:16
	s_waitcnt vmcnt(3)
	v_cvt_f64_f32_e32 v[42:43], v46
	v_cvt_f64_f32_e32 v[38:39], v39
	s_waitcnt vmcnt(2)
	v_fmac_f64_e32 v[14:15], v[86:87], v[34:35]
	v_fmac_f64_e32 v[14:15], v[88:89], v[36:37]
	global_load_dwordx4 v[86:89], v[20:21], off offset:1536
	v_fmac_f64_e32 v[16:17], v[58:59], v[34:35]
	v_fmac_f64_e32 v[12:13], v[94:95], v[34:35]
	;; [unrolled: 1-line block ×6, first 2 shown]
	s_waitcnt vmcnt(2)
	v_subrev_u32_e32 v5, s12, v5
	v_cvt_f64_f32_e32 v[58:59], v56
	v_cvt_f64_f32_e32 v[36:37], v40
	;; [unrolled: 1-line block ×6, first 2 shown]
	s_waitcnt vmcnt(1)
	v_fmac_f64_e32 v[16:17], v[62:63], v[50:51]
	v_fmac_f64_e32 v[14:15], v[90:91], v[50:51]
	;; [unrolled: 1-line block ×5, first 2 shown]
	v_cvt_f64_f32_e32 v[76:77], v54
	v_cvt_f64_f32_e32 v[62:63], v55
	v_cvt_f64_f32_e32 v[54:55], v57
	v_fmac_f64_e32 v[14:15], v[92:93], v[52:53]
	v_fmac_f64_e32 v[12:13], v[100:101], v[52:53]
	;; [unrolled: 1-line block ×3, first 2 shown]
	global_load_dwordx4 v[90:93], v[20:21], off offset:1552
	s_waitcnt vmcnt(1)
	v_cvt_f64_f32_e32 v[56:57], v86
	v_lshlrev_b32_e32 v86, 2, v5
	v_cvt_f64_f32_e32 v[52:53], v87
	v_ashrrev_i32_e32 v87, 31, v86
	v_lshl_add_u64 v[94:95], v[86:87], 3, s[4:5]
	v_cvt_f64_f32_e32 v[50:51], v88
	v_cvt_f64_f32_e32 v[46:47], v89
	global_load_dwordx4 v[86:89], v[94:95], off
	s_waitcnt vmcnt(0)
	v_fmac_f64_e32 v[12:13], v[118:119], v[86:87]
	v_fmac_f64_e32 v[0:1], v[120:121], v[86:87]
	;; [unrolled: 1-line block ×4, first 2 shown]
	global_load_dwordx4 v[80:83], v[20:21], off offset:1568
	v_fmac_f64_e32 v[16:17], v[110:111], v[86:87]
	v_fmac_f64_e32 v[16:17], v[112:113], v[88:89]
	;; [unrolled: 1-line block ×4, first 2 shown]
	v_cvt_f64_f32_e32 v[86:87], v90
	v_cvt_f64_f32_e32 v[88:89], v91
	;; [unrolled: 1-line block ×4, first 2 shown]
	s_waitcnt vmcnt(0)
	v_cvt_f64_f32_e32 v[96:97], v80
	v_cvt_f64_f32_e32 v[98:99], v81
	;; [unrolled: 1-line block ×4, first 2 shown]
	global_load_dwordx4 v[80:83], v[20:21], off offset:1584
	v_lshl_add_u64 v[20:21], v[20:21], 0, s[16:17]
	s_waitcnt vmcnt(0)
	v_cvt_f64_f32_e32 v[104:105], v80
	v_cvt_f64_f32_e32 v[106:107], v81
	;; [unrolled: 1-line block ×4, first 2 shown]
	global_load_dwordx4 v[80:83], v[94:95], off offset:16
	global_load_dword v5, v[32:33], off offset:64
	global_load_dword v19, v[32:33], off offset:96
	s_waitcnt vmcnt(1)
	v_subrev_u32_e32 v5, s12, v5
	v_fmac_f64_e32 v[0:1], v[78:79], v[80:81]
	s_waitcnt vmcnt(0)
	v_subrev_u32_e32 v19, s12, v19
	v_fmac_f64_e32 v[0:1], v[30:31], v[82:83]
	v_lshlrev_b32_e32 v30, 2, v5
	v_fmac_f64_e32 v[16:17], v[66:67], v[80:81]
	v_lshlrev_b32_e32 v32, 2, v19
	v_ashrrev_i32_e32 v31, 31, v30
	v_fmac_f64_e32 v[12:13], v[74:75], v[80:81]
	v_fmac_f64_e32 v[16:17], v[64:65], v[82:83]
	v_ashrrev_i32_e32 v33, 31, v32
	v_lshl_add_u64 v[64:65], v[30:31], 3, s[4:5]
	v_fmac_f64_e32 v[12:13], v[72:73], v[82:83]
	v_lshl_add_u64 v[72:73], v[32:33], 3, s[4:5]
	global_load_dwordx4 v[30:33], v[64:65], off
	v_fmac_f64_e32 v[14:15], v[70:71], v[80:81]
	v_fmac_f64_e32 v[14:15], v[68:69], v[82:83]
	global_load_dwordx4 v[68:71], v[72:73], off
	s_waitcnt vmcnt(1)
	v_fmac_f64_e32 v[16:17], v[28:29], v[30:31]
	global_load_dwordx4 v[64:67], v[64:65], off offset:16
	v_fmac_f64_e32 v[14:15], v[48:49], v[30:31]
	v_fmac_f64_e32 v[12:13], v[60:61], v[30:31]
	;; [unrolled: 1-line block ×3, first 2 shown]
	global_load_dwordx4 v[28:31], v[72:73], off offset:16
	v_fmac_f64_e32 v[16:17], v[26:27], v[32:33]
	v_fmac_f64_e32 v[14:15], v[38:39], v[32:33]
	;; [unrolled: 1-line block ×4, first 2 shown]
	s_waitcnt vmcnt(1)
	v_fmac_f64_e32 v[16:17], v[24:25], v[64:65]
	v_fmac_f64_e32 v[14:15], v[36:37], v[64:65]
	;; [unrolled: 1-line block ×16, first 2 shown]
	s_waitcnt vmcnt(0)
	v_fmac_f64_e32 v[16:17], v[50:51], v[28:29]
	v_fmac_f64_e32 v[14:15], v[90:91], v[28:29]
	;; [unrolled: 1-line block ×8, first 2 shown]
	s_andn2_b64 exec, exec, s[14:15]
	s_cbranch_execnz .LBB151_21
; %bb.22:
	s_or_b64 exec, exec, s[14:15]
.LBB151_23:
	s_or_b64 exec, exec, s[10:11]
.LBB151_24:
	s_or_b64 exec, exec, s[6:7]
	s_cbranch_execz .LBB151_26
	s_branch .LBB151_37
.LBB151_25:
                                        ; implicit-def: $vgpr0_vgpr1
                                        ; implicit-def: $vgpr12_vgpr13
                                        ; implicit-def: $vgpr14_vgpr15
                                        ; implicit-def: $vgpr16_vgpr17
.LBB151_26:
	v_mov_b64_e32 v[0:1], 0
	v_mov_b64_e32 v[12:13], 0
	;; [unrolled: 1-line block ×4, first 2 shown]
	s_and_saveexec_b64 s[6:7], s[2:3]
	s_cbranch_execz .LBB151_36
; %bb.27:
	v_add_u32_e32 v0, v85, v11
	v_subrev_u32_e32 v0, s12, v0
	v_add_u32_e32 v0, 8, v0
	v_max_i32_e32 v0, v0, v84
	v_not_b32_e32 v1, v85
	v_add3_u32 v0, s12, v0, v1
	v_sub_u32_e32 v18, v0, v11
	v_and_b32_e32 v0, 24, v18
	v_cmp_ne_u32_e32 vcc, 24, v0
	v_mov_b64_e32 v[16:17], 0
	v_mov_b64_e32 v[14:15], 0
	;; [unrolled: 1-line block ×4, first 2 shown]
	s_and_saveexec_b64 s[2:3], vcc
	s_cbranch_execz .LBB151_31
; %bb.28:
	v_lshrrev_b32_e32 v0, 3, v18
	v_add_u32_e32 v0, 1, v0
	v_and_b32_e32 v0, 3, v0
	v_sub_u32_e32 v19, 0, v0
	v_mov_b64_e32 v[0:1], 0
	s_mov_b64 s[10:11], 0
	s_mov_b64 s[14:15], 0x200
	v_mov_b64_e32 v[12:13], 0
	v_mov_b64_e32 v[14:15], 0
	;; [unrolled: 1-line block ×3, first 2 shown]
.LBB151_29:                             ; =>This Inner Loop Header: Depth=1
	v_ashrrev_i32_e32 v5, 31, v4
	v_lshl_add_u64 v[32:33], v[4:5], 2, s[8:9]
	global_load_dword v5, v[32:33], off
	global_load_dwordx4 v[20:23], v[6:7], off
	global_load_dwordx4 v[24:27], v[6:7], off offset:16
	global_load_dwordx4 v[28:31], v[6:7], off offset:32
	v_add_co_u32_e32 v19, vcc, 1, v19
	v_add_u32_e32 v4, 8, v4
	s_or_b64 s[10:11], vcc, s[10:11]
	s_waitcnt vmcnt(3)
	v_subrev_u32_e32 v5, s12, v5
	v_lshlrev_b32_e32 v32, 2, v5
	v_ashrrev_i32_e32 v33, 31, v32
	s_waitcnt lgkmcnt(0)
	v_lshl_add_u64 v[44:45], v[32:33], 3, s[4:5]
	global_load_dwordx4 v[32:35], v[44:45], off offset:16
	global_load_dwordx4 v[36:39], v[44:45], off
	global_load_dwordx4 v[40:43], v[6:7], off offset:48
	s_waitcnt vmcnt(5)
	v_cvt_f64_f32_e32 v[44:45], v20
	v_cvt_f64_f32_e32 v[20:21], v21
	v_cvt_f64_f32_e32 v[46:47], v22
	v_cvt_f64_f32_e32 v[22:23], v23
	s_waitcnt vmcnt(4)
	v_cvt_f64_f32_e32 v[48:49], v24
	v_cvt_f64_f32_e32 v[24:25], v25
	v_cvt_f64_f32_e32 v[50:51], v26
	v_cvt_f64_f32_e32 v[26:27], v27
	;; [unrolled: 5-line block ×3, first 2 shown]
	v_lshl_add_u64 v[6:7], v[6:7], 0, s[14:15]
	s_waitcnt vmcnt(1)
	v_fmac_f64_e32 v[16:17], v[44:45], v[36:37]
	v_fmac_f64_e32 v[14:15], v[20:21], v[36:37]
	;; [unrolled: 1-line block ×8, first 2 shown]
	s_waitcnt vmcnt(0)
	v_cvt_f64_f32_e32 v[56:57], v40
	v_cvt_f64_f32_e32 v[40:41], v41
	;; [unrolled: 1-line block ×4, first 2 shown]
	v_fmac_f64_e32 v[16:17], v[52:53], v[32:33]
	v_fmac_f64_e32 v[14:15], v[28:29], v[32:33]
	;; [unrolled: 1-line block ×8, first 2 shown]
	s_andn2_b64 exec, exec, s[10:11]
	s_cbranch_execnz .LBB151_29
; %bb.30:
	s_or_b64 exec, exec, s[10:11]
.LBB151_31:
	s_or_b64 exec, exec, s[2:3]
	v_cmp_lt_u32_e32 vcc, 23, v18
	s_and_saveexec_b64 s[2:3], vcc
	s_cbranch_execz .LBB151_35
; %bb.32:
	s_mov_b64 s[10:11], 0
	s_mov_b64 s[14:15], 0x800
.LBB151_33:                             ; =>This Inner Loop Header: Depth=1
	global_load_dwordx4 v[18:21], v[6:7], off
	global_load_dwordx4 v[22:25], v[6:7], off offset:16
	global_load_dwordx4 v[26:29], v[6:7], off offset:32
	;; [unrolled: 1-line block ×6, first 2 shown]
	v_ashrrev_i32_e32 v5, 31, v4
	s_waitcnt vmcnt(6)
	v_cvt_f64_f32_e32 v[48:49], v20
	v_cvt_f64_f32_e32 v[50:51], v21
	;; [unrolled: 1-line block ×3, first 2 shown]
	s_waitcnt vmcnt(3)
	v_cvt_f64_f32_e32 v[68:69], v30
	v_cvt_f64_f32_e32 v[70:71], v31
	v_lshl_add_u64 v[30:31], v[4:5], 2, s[8:9]
	s_waitcnt vmcnt(0)
	v_cvt_f64_f32_e32 v[20:21], v42
	global_load_dword v5, v[30:31], off
	global_load_dword v42, v[30:31], off offset:32
	global_load_dword v85, v[30:31], off offset:64
	;; [unrolled: 1-line block ×3, first 2 shown]
	v_cvt_f64_f32_e32 v[86:87], v38
	v_cvt_f64_f32_e32 v[88:89], v39
	v_cvt_f64_f32_e32 v[72:73], v32
	v_cvt_f64_f32_e32 v[74:75], v33
	v_cvt_f64_f32_e32 v[18:19], v19
	v_cvt_f64_f32_e32 v[52:53], v22
	v_cvt_f64_f32_e32 v[54:55], v23
	v_cvt_f64_f32_e32 v[56:57], v24
	v_cvt_f64_f32_e32 v[58:59], v25
	v_cvt_f64_f32_e32 v[76:77], v34
	v_cvt_f64_f32_e32 v[78:79], v35
	v_cvt_f64_f32_e32 v[80:81], v36
	v_cvt_f64_f32_e32 v[82:83], v37
	global_load_dwordx4 v[34:37], v[6:7], off offset:560
	v_cvt_f64_f32_e32 v[60:61], v26
	v_cvt_f64_f32_e32 v[62:63], v27
	;; [unrolled: 1-line block ×9, first 2 shown]
	v_add_u32_e32 v4, 32, v4
	v_cmp_ge_i32_e32 vcc, v4, v84
	s_or_b64 s[10:11], vcc, s[10:11]
	s_waitcnt vmcnt(4)
	v_subrev_u32_e32 v5, s12, v5
	v_lshlrev_b32_e32 v30, 2, v5
	v_ashrrev_i32_e32 v31, 31, v30
	s_waitcnt lgkmcnt(0)
	v_lshl_add_u64 v[38:39], v[30:31], 3, s[4:5]
	global_load_dwordx4 v[30:33], v[38:39], off
	s_waitcnt vmcnt(4)
	v_subrev_u32_e32 v5, s12, v42
	global_load_dwordx4 v[42:45], v[6:7], off offset:1072
	s_waitcnt vmcnt(1)
	v_fmac_f64_e32 v[16:17], v[46:47], v[30:31]
	v_fmac_f64_e32 v[14:15], v[18:19], v[30:31]
	v_fmac_f64_e32 v[12:13], v[48:49], v[30:31]
	v_fmac_f64_e32 v[0:1], v[50:51], v[30:31]
	v_fmac_f64_e32 v[16:17], v[52:53], v[32:33]
	v_fmac_f64_e32 v[14:15], v[54:55], v[32:33]
	v_fmac_f64_e32 v[12:13], v[56:57], v[32:33]
	v_fmac_f64_e32 v[0:1], v[58:59], v[32:33]
	global_load_dwordx4 v[30:33], v[6:7], off offset:1024
	v_cvt_f64_f32_e32 v[54:55], v34
	v_cvt_f64_f32_e32 v[56:57], v35
	;; [unrolled: 1-line block ×4, first 2 shown]
	global_load_dwordx4 v[34:37], v[6:7], off offset:1040
	global_load_dwordx4 v[46:49], v[6:7], off offset:1536
	s_waitcnt vmcnt(2)
	v_cvt_f64_f32_e32 v[94:95], v30
	v_cvt_f64_f32_e32 v[96:97], v31
	v_cvt_f64_f32_e32 v[98:99], v32
	v_cvt_f64_f32_e32 v[100:101], v33
	global_load_dwordx4 v[30:33], v[38:39], off offset:16
	s_waitcnt vmcnt(0)
	v_fmac_f64_e32 v[16:17], v[60:61], v[30:31]
	v_fmac_f64_e32 v[14:15], v[62:63], v[30:31]
	;; [unrolled: 1-line block ×8, first 2 shown]
	global_load_dwordx4 v[30:33], v[6:7], off offset:1056
	v_cvt_f64_f32_e32 v[64:65], v36
	v_cvt_f64_f32_e32 v[66:67], v37
	;; [unrolled: 1-line block ×5, first 2 shown]
	s_waitcnt vmcnt(0)
	v_cvt_f64_f32_e32 v[38:39], v30
	v_lshlrev_b32_e32 v30, 2, v5
	v_cvt_f64_f32_e32 v[40:41], v31
	v_ashrrev_i32_e32 v31, 31, v30
	v_lshl_add_u64 v[50:51], v[30:31], 3, s[4:5]
	v_cvt_f64_f32_e32 v[36:37], v32
	v_cvt_f64_f32_e32 v[18:19], v33
	global_load_dwordx4 v[30:33], v[50:51], off
	v_subrev_u32_e32 v5, s12, v85
	global_load_dwordx4 v[50:53], v[50:51], off offset:16
	s_waitcnt vmcnt(1)
	v_fmac_f64_e32 v[16:17], v[76:77], v[30:31]
	v_fmac_f64_e32 v[14:15], v[78:79], v[30:31]
	;; [unrolled: 1-line block ×4, first 2 shown]
	s_waitcnt vmcnt(0)
	v_fmac_f64_e32 v[16:17], v[20:21], v[50:51]
	v_fmac_f64_e32 v[14:15], v[22:23], v[50:51]
	global_load_dwordx4 v[20:23], v[6:7], off offset:1552
	v_fmac_f64_e32 v[12:13], v[80:81], v[30:31]
	v_fmac_f64_e32 v[0:1], v[82:83], v[30:31]
	;; [unrolled: 1-line block ×10, first 2 shown]
	global_load_dwordx4 v[24:27], v[6:7], off offset:1584
	v_cvt_f64_f32_e32 v[28:29], v42
	v_cvt_f64_f32_e32 v[30:31], v43
	;; [unrolled: 1-line block ×7, first 2 shown]
	s_waitcnt vmcnt(1)
	v_cvt_f64_f32_e32 v[50:51], v20
	v_cvt_f64_f32_e32 v[52:53], v21
	;; [unrolled: 1-line block ×4, first 2 shown]
	global_load_dwordx4 v[20:23], v[6:7], off offset:1568
	v_lshl_add_u64 v[6:7], v[6:7], 0, s[14:15]
	s_waitcnt vmcnt(0)
	v_cvt_f64_f32_e32 v[58:59], v20
	v_lshlrev_b32_e32 v20, 2, v5
	v_cvt_f64_f32_e32 v[68:69], v21
	v_ashrrev_i32_e32 v21, 31, v20
	v_lshl_add_u64 v[74:75], v[20:21], 3, s[4:5]
	v_cvt_f64_f32_e32 v[70:71], v22
	v_cvt_f64_f32_e32 v[72:73], v23
	global_load_dwordx4 v[20:23], v[74:75], off
	v_subrev_u32_e32 v5, s12, v102
	s_waitcnt vmcnt(0)
	v_fmac_f64_e32 v[16:17], v[94:95], v[20:21]
	v_fmac_f64_e32 v[14:15], v[96:97], v[20:21]
	;; [unrolled: 1-line block ×4, first 2 shown]
	v_lshlrev_b32_e32 v20, 2, v5
	v_ashrrev_i32_e32 v21, 31, v20
	v_fmac_f64_e32 v[16:17], v[60:61], v[22:23]
	v_fmac_f64_e32 v[14:15], v[62:63], v[22:23]
	;; [unrolled: 1-line block ×4, first 2 shown]
	v_lshl_add_u64 v[76:77], v[20:21], 3, s[4:5]
	global_load_dwordx4 v[20:23], v[74:75], off offset:16
	v_cvt_f64_f32_e32 v[60:61], v24
	v_cvt_f64_f32_e32 v[62:63], v25
	;; [unrolled: 1-line block ×4, first 2 shown]
	global_load_dwordx4 v[24:27], v[76:77], off
	s_waitcnt vmcnt(1)
	v_fmac_f64_e32 v[16:17], v[38:39], v[20:21]
	v_fmac_f64_e32 v[12:13], v[36:37], v[20:21]
	global_load_dwordx4 v[36:39], v[76:77], off offset:16
	v_fmac_f64_e32 v[14:15], v[40:41], v[20:21]
	v_fmac_f64_e32 v[0:1], v[18:19], v[20:21]
	;; [unrolled: 1-line block ×6, first 2 shown]
	s_waitcnt vmcnt(1)
	v_fmac_f64_e32 v[16:17], v[42:43], v[24:25]
	v_fmac_f64_e32 v[14:15], v[44:45], v[24:25]
	;; [unrolled: 1-line block ×8, first 2 shown]
	s_waitcnt vmcnt(0)
	v_fmac_f64_e32 v[16:17], v[58:59], v[36:37]
	v_fmac_f64_e32 v[14:15], v[68:69], v[36:37]
	;; [unrolled: 1-line block ×8, first 2 shown]
	s_andn2_b64 exec, exec, s[10:11]
	s_cbranch_execnz .LBB151_33
; %bb.34:
	s_or_b64 exec, exec, s[10:11]
.LBB151_35:
	s_or_b64 exec, exec, s[2:3]
.LBB151_36:
	s_or_b64 exec, exec, s[6:7]
.LBB151_37:
	v_mov_b32_dpp v4, v16 row_shr:1 row_mask:0xf bank_mask:0xf
	v_mov_b32_dpp v5, v17 row_shr:1 row_mask:0xf bank_mask:0xf
	v_add_f64 v[4:5], v[16:17], v[4:5]
	v_mov_b32_dpp v16, v14 row_shr:1 row_mask:0xf bank_mask:0xf
	v_mov_b32_dpp v17, v15 row_shr:1 row_mask:0xf bank_mask:0xf
	v_mov_b32_dpp v18, v12 row_shr:1 row_mask:0xf bank_mask:0xf
	v_mov_b32_dpp v19, v13 row_shr:1 row_mask:0xf bank_mask:0xf
	v_mov_b32_dpp v20, v0 row_shr:1 row_mask:0xf bank_mask:0xf
	v_mov_b32_dpp v21, v1 row_shr:1 row_mask:0xf bank_mask:0xf
	v_add_f64 v[14:15], v[14:15], v[16:17]
	v_add_f64 v[12:13], v[12:13], v[18:19]
	;; [unrolled: 1-line block ×3, first 2 shown]
	v_mov_b32_dpp v6, v4 row_shr:2 row_mask:0xf bank_mask:0xf
	v_mov_b32_dpp v7, v5 row_shr:2 row_mask:0xf bank_mask:0xf
	;; [unrolled: 1-line block ×8, first 2 shown]
	v_add_f64 v[4:5], v[4:5], v[6:7]
	v_add_f64 v[14:15], v[14:15], v[16:17]
	;; [unrolled: 1-line block ×4, first 2 shown]
	v_mov_b32_dpp v6, v4 row_shr:4 row_mask:0xf bank_mask:0xe
	v_mov_b32_dpp v7, v5 row_shr:4 row_mask:0xf bank_mask:0xe
	;; [unrolled: 1-line block ×8, first 2 shown]
	v_cmp_eq_u32_e32 vcc, 7, v11
	s_and_b64 exec, exec, vcc
	s_cbranch_execz .LBB151_10
; %bb.38:
	s_load_dwordx2 s[0:1], s[0:1], 0x50
	v_add_f64 v[4:5], v[4:5], v[6:7]
	v_add_f64 v[6:7], v[14:15], v[16:17]
	;; [unrolled: 1-line block ×4, first 2 shown]
	v_cmp_eq_f64_e32 vcc, 0, v[8:9]
	v_mul_f64 v[4:5], v[2:3], v[4:5]
	v_mul_f64 v[6:7], v[2:3], v[6:7]
	;; [unrolled: 1-line block ×4, first 2 shown]
	v_lshlrev_b32_e32 v10, 2, v10
	s_and_saveexec_b64 s[2:3], vcc
	s_xor_b64 s[2:3], exec, s[2:3]
	s_cbranch_execz .LBB151_40
; %bb.39:
	v_ashrrev_i32_e32 v11, 31, v10
	s_waitcnt lgkmcnt(0)
	v_lshl_add_u64 v[8:9], v[10:11], 3, s[0:1]
	global_store_dwordx4 v[8:9], v[4:7], off
	global_store_dwordx4 v[8:9], v[0:3], off offset:16
                                        ; implicit-def: $vgpr10
                                        ; implicit-def: $vgpr8_vgpr9
                                        ; implicit-def: $vgpr4_vgpr5
                                        ; implicit-def: $vgpr0_vgpr1
.LBB151_40:
	s_andn2_saveexec_b64 s[2:3], s[2:3]
	s_cbranch_execz .LBB151_10
; %bb.41:
	v_ashrrev_i32_e32 v11, 31, v10
	s_waitcnt lgkmcnt(0)
	v_lshl_add_u64 v[18:19], v[10:11], 3, s[0:1]
	global_load_dwordx4 v[10:13], v[18:19], off
	global_load_dwordx4 v[14:17], v[18:19], off offset:16
	s_waitcnt vmcnt(1)
	v_fmac_f64_e32 v[4:5], v[8:9], v[10:11]
	v_fmac_f64_e32 v[6:7], v[8:9], v[12:13]
	s_waitcnt vmcnt(0)
	v_fmac_f64_e32 v[0:1], v[8:9], v[14:15]
	v_fmac_f64_e32 v[2:3], v[8:9], v[16:17]
	global_store_dwordx4 v[18:19], v[4:7], off
	global_store_dwordx4 v[18:19], v[0:3], off offset:16
	s_endpgm
	.section	.rodata,"a",@progbits
	.p2align	6, 0x0
	.amdhsa_kernel _ZN9rocsparseL18bsrxmvn_4x4_kernelILj128ELj8EdiifddEEvT3_20rocsparse_direction_NS_24const_host_device_scalarIT1_EES1_PKS1_PKT2_SA_S7_PKT4_PKT5_S5_PT6_21rocsparse_index_base_b
		.amdhsa_group_segment_fixed_size 0
		.amdhsa_private_segment_fixed_size 0
		.amdhsa_kernarg_size 96
		.amdhsa_user_sgpr_count 2
		.amdhsa_user_sgpr_dispatch_ptr 0
		.amdhsa_user_sgpr_queue_ptr 0
		.amdhsa_user_sgpr_kernarg_segment_ptr 1
		.amdhsa_user_sgpr_dispatch_id 0
		.amdhsa_user_sgpr_kernarg_preload_length 0
		.amdhsa_user_sgpr_kernarg_preload_offset 0
		.amdhsa_user_sgpr_private_segment_size 0
		.amdhsa_uses_dynamic_stack 0
		.amdhsa_enable_private_segment 0
		.amdhsa_system_sgpr_workgroup_id_x 1
		.amdhsa_system_sgpr_workgroup_id_y 0
		.amdhsa_system_sgpr_workgroup_id_z 0
		.amdhsa_system_sgpr_workgroup_info 0
		.amdhsa_system_vgpr_workitem_id 0
		.amdhsa_next_free_vgpr 122
		.amdhsa_next_free_sgpr 18
		.amdhsa_accum_offset 124
		.amdhsa_reserve_vcc 1
		.amdhsa_float_round_mode_32 0
		.amdhsa_float_round_mode_16_64 0
		.amdhsa_float_denorm_mode_32 3
		.amdhsa_float_denorm_mode_16_64 3
		.amdhsa_dx10_clamp 1
		.amdhsa_ieee_mode 1
		.amdhsa_fp16_overflow 0
		.amdhsa_tg_split 0
		.amdhsa_exception_fp_ieee_invalid_op 0
		.amdhsa_exception_fp_denorm_src 0
		.amdhsa_exception_fp_ieee_div_zero 0
		.amdhsa_exception_fp_ieee_overflow 0
		.amdhsa_exception_fp_ieee_underflow 0
		.amdhsa_exception_fp_ieee_inexact 0
		.amdhsa_exception_int_div_zero 0
	.end_amdhsa_kernel
	.section	.text._ZN9rocsparseL18bsrxmvn_4x4_kernelILj128ELj8EdiifddEEvT3_20rocsparse_direction_NS_24const_host_device_scalarIT1_EES1_PKS1_PKT2_SA_S7_PKT4_PKT5_S5_PT6_21rocsparse_index_base_b,"axG",@progbits,_ZN9rocsparseL18bsrxmvn_4x4_kernelILj128ELj8EdiifddEEvT3_20rocsparse_direction_NS_24const_host_device_scalarIT1_EES1_PKS1_PKT2_SA_S7_PKT4_PKT5_S5_PT6_21rocsparse_index_base_b,comdat
.Lfunc_end151:
	.size	_ZN9rocsparseL18bsrxmvn_4x4_kernelILj128ELj8EdiifddEEvT3_20rocsparse_direction_NS_24const_host_device_scalarIT1_EES1_PKS1_PKT2_SA_S7_PKT4_PKT5_S5_PT6_21rocsparse_index_base_b, .Lfunc_end151-_ZN9rocsparseL18bsrxmvn_4x4_kernelILj128ELj8EdiifddEEvT3_20rocsparse_direction_NS_24const_host_device_scalarIT1_EES1_PKS1_PKT2_SA_S7_PKT4_PKT5_S5_PT6_21rocsparse_index_base_b
                                        ; -- End function
	.set _ZN9rocsparseL18bsrxmvn_4x4_kernelILj128ELj8EdiifddEEvT3_20rocsparse_direction_NS_24const_host_device_scalarIT1_EES1_PKS1_PKT2_SA_S7_PKT4_PKT5_S5_PT6_21rocsparse_index_base_b.num_vgpr, 122
	.set _ZN9rocsparseL18bsrxmvn_4x4_kernelILj128ELj8EdiifddEEvT3_20rocsparse_direction_NS_24const_host_device_scalarIT1_EES1_PKS1_PKT2_SA_S7_PKT4_PKT5_S5_PT6_21rocsparse_index_base_b.num_agpr, 0
	.set _ZN9rocsparseL18bsrxmvn_4x4_kernelILj128ELj8EdiifddEEvT3_20rocsparse_direction_NS_24const_host_device_scalarIT1_EES1_PKS1_PKT2_SA_S7_PKT4_PKT5_S5_PT6_21rocsparse_index_base_b.numbered_sgpr, 18
	.set _ZN9rocsparseL18bsrxmvn_4x4_kernelILj128ELj8EdiifddEEvT3_20rocsparse_direction_NS_24const_host_device_scalarIT1_EES1_PKS1_PKT2_SA_S7_PKT4_PKT5_S5_PT6_21rocsparse_index_base_b.num_named_barrier, 0
	.set _ZN9rocsparseL18bsrxmvn_4x4_kernelILj128ELj8EdiifddEEvT3_20rocsparse_direction_NS_24const_host_device_scalarIT1_EES1_PKS1_PKT2_SA_S7_PKT4_PKT5_S5_PT6_21rocsparse_index_base_b.private_seg_size, 0
	.set _ZN9rocsparseL18bsrxmvn_4x4_kernelILj128ELj8EdiifddEEvT3_20rocsparse_direction_NS_24const_host_device_scalarIT1_EES1_PKS1_PKT2_SA_S7_PKT4_PKT5_S5_PT6_21rocsparse_index_base_b.uses_vcc, 1
	.set _ZN9rocsparseL18bsrxmvn_4x4_kernelILj128ELj8EdiifddEEvT3_20rocsparse_direction_NS_24const_host_device_scalarIT1_EES1_PKS1_PKT2_SA_S7_PKT4_PKT5_S5_PT6_21rocsparse_index_base_b.uses_flat_scratch, 0
	.set _ZN9rocsparseL18bsrxmvn_4x4_kernelILj128ELj8EdiifddEEvT3_20rocsparse_direction_NS_24const_host_device_scalarIT1_EES1_PKS1_PKT2_SA_S7_PKT4_PKT5_S5_PT6_21rocsparse_index_base_b.has_dyn_sized_stack, 0
	.set _ZN9rocsparseL18bsrxmvn_4x4_kernelILj128ELj8EdiifddEEvT3_20rocsparse_direction_NS_24const_host_device_scalarIT1_EES1_PKS1_PKT2_SA_S7_PKT4_PKT5_S5_PT6_21rocsparse_index_base_b.has_recursion, 0
	.set _ZN9rocsparseL18bsrxmvn_4x4_kernelILj128ELj8EdiifddEEvT3_20rocsparse_direction_NS_24const_host_device_scalarIT1_EES1_PKS1_PKT2_SA_S7_PKT4_PKT5_S5_PT6_21rocsparse_index_base_b.has_indirect_call, 0
	.section	.AMDGPU.csdata,"",@progbits
; Kernel info:
; codeLenInByte = 3700
; TotalNumSgprs: 24
; NumVgprs: 122
; NumAgprs: 0
; TotalNumVgprs: 122
; ScratchSize: 0
; MemoryBound: 0
; FloatMode: 240
; IeeeMode: 1
; LDSByteSize: 0 bytes/workgroup (compile time only)
; SGPRBlocks: 2
; VGPRBlocks: 15
; NumSGPRsForWavesPerEU: 24
; NumVGPRsForWavesPerEU: 122
; AccumOffset: 124
; Occupancy: 4
; WaveLimiterHint : 1
; COMPUTE_PGM_RSRC2:SCRATCH_EN: 0
; COMPUTE_PGM_RSRC2:USER_SGPR: 2
; COMPUTE_PGM_RSRC2:TRAP_HANDLER: 0
; COMPUTE_PGM_RSRC2:TGID_X_EN: 1
; COMPUTE_PGM_RSRC2:TGID_Y_EN: 0
; COMPUTE_PGM_RSRC2:TGID_Z_EN: 0
; COMPUTE_PGM_RSRC2:TIDIG_COMP_CNT: 0
; COMPUTE_PGM_RSRC3_GFX90A:ACCUM_OFFSET: 30
; COMPUTE_PGM_RSRC3_GFX90A:TG_SPLIT: 0
	.section	.text._ZN9rocsparseL18bsrxmvn_4x4_kernelILj128ELj16EdiifddEEvT3_20rocsparse_direction_NS_24const_host_device_scalarIT1_EES1_PKS1_PKT2_SA_S7_PKT4_PKT5_S5_PT6_21rocsparse_index_base_b,"axG",@progbits,_ZN9rocsparseL18bsrxmvn_4x4_kernelILj128ELj16EdiifddEEvT3_20rocsparse_direction_NS_24const_host_device_scalarIT1_EES1_PKS1_PKT2_SA_S7_PKT4_PKT5_S5_PT6_21rocsparse_index_base_b,comdat
	.globl	_ZN9rocsparseL18bsrxmvn_4x4_kernelILj128ELj16EdiifddEEvT3_20rocsparse_direction_NS_24const_host_device_scalarIT1_EES1_PKS1_PKT2_SA_S7_PKT4_PKT5_S5_PT6_21rocsparse_index_base_b ; -- Begin function _ZN9rocsparseL18bsrxmvn_4x4_kernelILj128ELj16EdiifddEEvT3_20rocsparse_direction_NS_24const_host_device_scalarIT1_EES1_PKS1_PKT2_SA_S7_PKT4_PKT5_S5_PT6_21rocsparse_index_base_b
	.p2align	8
	.type	_ZN9rocsparseL18bsrxmvn_4x4_kernelILj128ELj16EdiifddEEvT3_20rocsparse_direction_NS_24const_host_device_scalarIT1_EES1_PKS1_PKT2_SA_S7_PKT4_PKT5_S5_PT6_21rocsparse_index_base_b,@function
_ZN9rocsparseL18bsrxmvn_4x4_kernelILj128ELj16EdiifddEEvT3_20rocsparse_direction_NS_24const_host_device_scalarIT1_EES1_PKS1_PKT2_SA_S7_PKT4_PKT5_S5_PT6_21rocsparse_index_base_b: ; @_ZN9rocsparseL18bsrxmvn_4x4_kernelILj128ELj16EdiifddEEvT3_20rocsparse_direction_NS_24const_host_device_scalarIT1_EES1_PKS1_PKT2_SA_S7_PKT4_PKT5_S5_PT6_21rocsparse_index_base_b
; %bb.0:
	s_load_dwordx2 s[12:13], s[0:1], 0x58
	s_load_dwordx2 s[8:9], s[0:1], 0x8
	;; [unrolled: 1-line block ×3, first 2 shown]
	s_waitcnt lgkmcnt(0)
	s_bitcmp1_b32 s13, 0
	s_cselect_b64 s[10:11], -1, 0
	s_xor_b64 s[6:7], s[10:11], -1
	s_and_b64 vcc, exec, s[10:11]
	v_mov_b64_e32 v[2:3], s[8:9]
	s_cbranch_vccnz .LBB152_2
; %bb.1:
	v_mov_b64_e32 v[2:3], s[8:9]
	flat_load_dwordx2 v[2:3], v[2:3]
.LBB152_2:
	s_andn2_b64 vcc, exec, s[6:7]
	v_mov_b64_e32 v[8:9], s[4:5]
	s_cbranch_vccnz .LBB152_4
; %bb.3:
	v_mov_b64_e32 v[4:5], s[4:5]
	flat_load_dwordx2 v[8:9], v[4:5]
.LBB152_4:
	s_waitcnt vmcnt(0) lgkmcnt(0)
	v_cmp_neq_f64_e32 vcc, 0, v[2:3]
	v_cmp_neq_f64_e64 s[4:5], 1.0, v[8:9]
	s_mov_b64 s[6:7], 0
	s_or_b64 s[4:5], vcc, s[4:5]
	s_and_saveexec_b64 s[8:9], s[4:5]
	s_cbranch_execz .LBB152_10
; %bb.5:
	s_load_dwordx2 s[4:5], s[0:1], 0x18
	s_load_dwordx2 s[14:15], s[0:1], 0x0
	v_lshrrev_b32_e32 v1, 4, v0
	v_lshl_or_b32 v10, s2, 3, v1
	s_mov_b64 s[2:3], 0
	s_waitcnt lgkmcnt(0)
	s_cmp_lg_u64 s[4:5], 0
	s_cbranch_scc0 .LBB152_11
; %bb.6:
	s_load_dword s6, s[0:1], 0x10
                                        ; implicit-def: $vgpr1
	s_waitcnt lgkmcnt(0)
	v_cmp_gt_i32_e32 vcc, s6, v10
	s_and_saveexec_b64 s[6:7], vcc
	s_xor_b64 s[6:7], exec, s[6:7]
	s_cbranch_execz .LBB152_8
; %bb.7:
	v_ashrrev_i32_e32 v11, 31, v10
	v_lshl_add_u64 v[4:5], v[10:11], 2, s[4:5]
	global_load_dword v1, v[4:5], off
	s_mov_b64 s[2:3], exec
	s_waitcnt vmcnt(0)
	v_subrev_u32_e32 v1, s12, v1
.LBB152_8:
	s_or_b64 exec, exec, s[6:7]
	s_mov_b64 s[6:7], s[2:3]
	s_branch .LBB152_12
.LBB152_9:
	v_cmp_gt_i32_e32 vcc, s14, v10
	s_andn2_b64 s[2:3], s[6:7], exec
	s_and_b64 s[4:5], vcc, exec
	s_or_b64 s[6:7], s[2:3], s[4:5]
	s_and_b64 exec, exec, s[6:7]
	s_cbranch_execnz .LBB152_13
.LBB152_10:
	s_endpgm
.LBB152_11:
                                        ; implicit-def: $vgpr1
	s_cbranch_execnz .LBB152_9
.LBB152_12:
	v_mov_b32_e32 v10, v1
	s_and_b64 exec, exec, s[6:7]
	s_cbranch_execz .LBB152_10
.LBB152_13:
	s_load_dwordx8 s[4:11], s[0:1], 0x20
	v_ashrrev_i32_e32 v11, 31, v10
	v_lshlrev_b64 v[4:5], 2, v[10:11]
	v_and_b32_e32 v11, 15, v0
	s_waitcnt lgkmcnt(0)
	v_lshl_add_u64 v[6:7], s[4:5], 0, v[4:5]
	s_cmp_eq_u64 s[6:7], 0
	global_load_dword v85, v[6:7], off
	v_lshl_add_u64 v[6:7], v[6:7], 0, 4
	v_lshl_add_u64 v[4:5], s[6:7], 0, v[4:5]
	s_cselect_b64 vcc, -1, 0
	v_cndmask_b32_e32 v5, v5, v7, vcc
	v_cndmask_b32_e32 v4, v4, v6, vcc
	global_load_dword v1, v[4:5], off
	s_load_dwordx2 s[4:5], s[0:1], 0x40
	s_cmp_eq_u32 s15, 1
	s_waitcnt vmcnt(1)
	v_subrev_u32_e32 v0, s12, v85
	v_add_u32_e32 v4, v0, v11
	v_ashrrev_i32_e32 v5, 31, v4
	s_waitcnt vmcnt(0)
	v_subrev_u32_e32 v84, s12, v1
	v_lshlrev_b64 v[0:1], 6, v[4:5]
	v_lshl_add_u64 v[6:7], s[10:11], 0, v[0:1]
	v_cmp_lt_i32_e64 s[2:3], v4, v84
	s_cbranch_scc1 .LBB152_25
; %bb.14:
	v_mov_b64_e32 v[0:1], 0
	v_mov_b64_e32 v[12:13], 0
	;; [unrolled: 1-line block ×4, first 2 shown]
	s_and_saveexec_b64 s[6:7], s[2:3]
	s_cbranch_execz .LBB152_24
; %bb.15:
	v_add_u32_e32 v0, v85, v11
	v_subrev_u32_e32 v0, s12, v0
	v_add_u32_e32 v0, 16, v0
	v_max_i32_e32 v0, v0, v84
	v_not_b32_e32 v1, v85
	v_add3_u32 v0, s12, v0, v1
	v_sub_u32_e32 v5, v0, v11
	v_and_b32_e32 v0, 48, v5
	v_cmp_ne_u32_e32 vcc, 48, v0
	v_mov_b64_e32 v[16:17], 0
	v_mov_b64_e32 v[14:15], 0
	;; [unrolled: 1-line block ×4, first 2 shown]
	v_mov_b32_e32 v18, v4
	v_mov_b64_e32 v[20:21], v[6:7]
	s_and_saveexec_b64 s[10:11], vcc
	s_cbranch_execz .LBB152_19
; %bb.16:
	v_lshrrev_b32_e32 v0, 4, v5
	v_add_u32_e32 v0, 1, v0
	v_and_b32_e32 v0, 3, v0
	v_sub_u32_e32 v22, 0, v0
	v_mov_b64_e32 v[0:1], 0
	s_mov_b64 s[14:15], 0
	s_mov_b64 s[16:17], 0x400
	v_mov_b64_e32 v[20:21], v[6:7]
	v_mov_b32_e32 v18, v4
	v_mov_b64_e32 v[12:13], 0
	v_mov_b64_e32 v[14:15], 0
	;; [unrolled: 1-line block ×3, first 2 shown]
.LBB152_17:                             ; =>This Inner Loop Header: Depth=1
	v_ashrrev_i32_e32 v19, 31, v18
	v_lshl_add_u64 v[40:41], v[18:19], 2, s[8:9]
	global_load_dword v19, v[40:41], off
	global_load_dwordx4 v[24:27], v[20:21], off
	global_load_dwordx4 v[28:31], v[20:21], off offset:16
	global_load_dwordx4 v[32:35], v[20:21], off offset:32
	;; [unrolled: 1-line block ×3, first 2 shown]
	v_add_co_u32_e32 v22, vcc, 1, v22
	v_lshl_add_u64 v[20:21], v[20:21], 0, s[16:17]
	v_add_u32_e32 v18, 16, v18
	s_or_b64 s[14:15], vcc, s[14:15]
	s_waitcnt vmcnt(4)
	v_subrev_u32_e32 v19, s12, v19
	v_lshlrev_b32_e32 v40, 2, v19
	v_ashrrev_i32_e32 v41, 31, v40
	s_waitcnt lgkmcnt(0)
	v_lshl_add_u64 v[48:49], v[40:41], 3, s[4:5]
	global_load_dwordx4 v[40:43], v[48:49], off
	global_load_dwordx4 v[44:47], v[48:49], off offset:16
	s_waitcnt vmcnt(5)
	v_cvt_f64_f32_e32 v[48:49], v24
	s_waitcnt vmcnt(4)
	v_cvt_f64_f32_e32 v[52:53], v28
	s_waitcnt vmcnt(3)
	v_cvt_f64_f32_e32 v[56:57], v32
	s_waitcnt vmcnt(2)
	v_cvt_f64_f32_e32 v[60:61], v36
	v_cvt_f64_f32_e32 v[24:25], v25
	v_cvt_f64_f32_e32 v[28:29], v29
	;; [unrolled: 1-line block ×12, first 2 shown]
	s_waitcnt vmcnt(1)
	v_fmac_f64_e32 v[16:17], v[48:49], v[40:41]
	v_fmac_f64_e32 v[14:15], v[52:53], v[40:41]
	;; [unrolled: 1-line block ×8, first 2 shown]
	s_waitcnt vmcnt(0)
	v_fmac_f64_e32 v[16:17], v[50:51], v[44:45]
	v_fmac_f64_e32 v[14:15], v[54:55], v[44:45]
	;; [unrolled: 1-line block ×8, first 2 shown]
	s_andn2_b64 exec, exec, s[14:15]
	s_cbranch_execnz .LBB152_17
; %bb.18:
	s_or_b64 exec, exec, s[14:15]
.LBB152_19:
	s_or_b64 exec, exec, s[10:11]
	v_cmp_lt_u32_e32 vcc, 47, v5
	s_and_saveexec_b64 s[10:11], vcc
	s_cbranch_execz .LBB152_23
; %bb.20:
	s_mov_b64 s[14:15], 0
	s_mov_b64 s[16:17], 0x1000
.LBB152_21:                             ; =>This Inner Loop Header: Depth=1
	global_load_dwordx4 v[22:25], v[20:21], off
	global_load_dwordx4 v[26:29], v[20:21], off offset:16
	global_load_dwordx4 v[30:33], v[20:21], off offset:32
	;; [unrolled: 1-line block ×8, first 2 shown]
	v_ashrrev_i32_e32 v19, 31, v18
	s_waitcnt vmcnt(8)
	v_cvt_f64_f32_e32 v[58:59], v22
	s_waitcnt vmcnt(7)
	v_cvt_f64_f32_e32 v[86:87], v26
	;; [unrolled: 2-line block ×3, first 2 shown]
	v_cvt_f64_f32_e32 v[100:101], v33
	v_lshl_add_u64 v[32:33], v[18:19], 2, s[8:9]
	global_load_dword v5, v[32:33], off
	s_waitcnt vmcnt(6)
	v_cvt_f64_f32_e32 v[102:103], v34
	v_cvt_f64_f32_e32 v[104:105], v35
	s_waitcnt vmcnt(2)
	v_cvt_f64_f32_e32 v[120:121], v50
	v_cvt_f64_f32_e32 v[82:83], v51
	;; [unrolled: 1-line block ×14, first 2 shown]
	s_waitcnt vmcnt(1)
	v_cvt_f64_f32_e32 v[28:29], v54
	v_cvt_f64_f32_e32 v[26:27], v55
	;; [unrolled: 1-line block ×4, first 2 shown]
	global_load_dwordx4 v[54:57], v[20:21], off offset:2096
	v_cvt_f64_f32_e32 v[110:111], v38
	v_cvt_f64_f32_e32 v[112:113], v39
	;; [unrolled: 1-line block ×8, first 2 shown]
	global_load_dwordx4 v[38:41], v[20:21], off offset:2064
	global_load_dwordx4 v[44:47], v[20:21], off offset:2080
	v_cvt_f64_f32_e32 v[114:115], v42
	v_cvt_f64_f32_e32 v[116:117], v43
	;; [unrolled: 1-line block ×4, first 2 shown]
	v_add_u32_e32 v18, 64, v18
	v_cmp_ge_i32_e32 vcc, v18, v84
	s_or_b64 s[14:15], vcc, s[14:15]
	s_waitcnt vmcnt(3)
	v_subrev_u32_e32 v5, s12, v5
	v_lshlrev_b32_e32 v34, 2, v5
	v_ashrrev_i32_e32 v35, 31, v34
	s_waitcnt lgkmcnt(0)
	v_lshl_add_u64 v[50:51], v[34:35], 3, s[4:5]
	global_load_dwordx4 v[34:37], v[50:51], off
	global_load_dword v5, v[32:33], off offset:64
	s_waitcnt vmcnt(3)
	v_cvt_f64_f32_e32 v[48:49], v38
	global_load_dwordx4 v[50:53], v[50:51], off offset:16
	s_waitcnt vmcnt(3)
	v_cvt_f64_f32_e32 v[42:43], v46
	v_cvt_f64_f32_e32 v[38:39], v39
	s_waitcnt vmcnt(2)
	v_fmac_f64_e32 v[14:15], v[86:87], v[34:35]
	v_fmac_f64_e32 v[14:15], v[88:89], v[36:37]
	global_load_dwordx4 v[86:89], v[20:21], off offset:3072
	v_fmac_f64_e32 v[16:17], v[58:59], v[34:35]
	v_fmac_f64_e32 v[12:13], v[94:95], v[34:35]
	;; [unrolled: 1-line block ×6, first 2 shown]
	s_waitcnt vmcnt(2)
	v_subrev_u32_e32 v5, s12, v5
	v_cvt_f64_f32_e32 v[58:59], v56
	v_cvt_f64_f32_e32 v[36:37], v40
	;; [unrolled: 1-line block ×6, first 2 shown]
	s_waitcnt vmcnt(1)
	v_fmac_f64_e32 v[16:17], v[62:63], v[50:51]
	v_fmac_f64_e32 v[14:15], v[90:91], v[50:51]
	;; [unrolled: 1-line block ×5, first 2 shown]
	v_cvt_f64_f32_e32 v[76:77], v54
	v_cvt_f64_f32_e32 v[62:63], v55
	;; [unrolled: 1-line block ×3, first 2 shown]
	v_fmac_f64_e32 v[14:15], v[92:93], v[52:53]
	v_fmac_f64_e32 v[12:13], v[100:101], v[52:53]
	v_fmac_f64_e32 v[0:1], v[108:109], v[52:53]
	global_load_dwordx4 v[90:93], v[20:21], off offset:3088
	s_waitcnt vmcnt(1)
	v_cvt_f64_f32_e32 v[56:57], v86
	v_lshlrev_b32_e32 v86, 2, v5
	v_cvt_f64_f32_e32 v[52:53], v87
	v_ashrrev_i32_e32 v87, 31, v86
	v_lshl_add_u64 v[94:95], v[86:87], 3, s[4:5]
	v_cvt_f64_f32_e32 v[50:51], v88
	v_cvt_f64_f32_e32 v[46:47], v89
	global_load_dwordx4 v[86:89], v[94:95], off
	s_waitcnt vmcnt(0)
	v_fmac_f64_e32 v[12:13], v[118:119], v[86:87]
	v_fmac_f64_e32 v[0:1], v[120:121], v[86:87]
	;; [unrolled: 1-line block ×4, first 2 shown]
	global_load_dwordx4 v[80:83], v[20:21], off offset:3104
	v_fmac_f64_e32 v[16:17], v[110:111], v[86:87]
	v_fmac_f64_e32 v[16:17], v[112:113], v[88:89]
	;; [unrolled: 1-line block ×4, first 2 shown]
	v_cvt_f64_f32_e32 v[86:87], v90
	v_cvt_f64_f32_e32 v[88:89], v91
	;; [unrolled: 1-line block ×4, first 2 shown]
	s_waitcnt vmcnt(0)
	v_cvt_f64_f32_e32 v[96:97], v80
	v_cvt_f64_f32_e32 v[98:99], v81
	;; [unrolled: 1-line block ×4, first 2 shown]
	global_load_dwordx4 v[80:83], v[20:21], off offset:3120
	v_lshl_add_u64 v[20:21], v[20:21], 0, s[16:17]
	s_waitcnt vmcnt(0)
	v_cvt_f64_f32_e32 v[104:105], v80
	v_cvt_f64_f32_e32 v[106:107], v81
	;; [unrolled: 1-line block ×4, first 2 shown]
	global_load_dwordx4 v[80:83], v[94:95], off offset:16
	global_load_dword v5, v[32:33], off offset:128
	global_load_dword v19, v[32:33], off offset:192
	s_waitcnt vmcnt(1)
	v_subrev_u32_e32 v5, s12, v5
	v_fmac_f64_e32 v[0:1], v[78:79], v[80:81]
	s_waitcnt vmcnt(0)
	v_subrev_u32_e32 v19, s12, v19
	v_fmac_f64_e32 v[0:1], v[30:31], v[82:83]
	v_lshlrev_b32_e32 v30, 2, v5
	v_fmac_f64_e32 v[16:17], v[66:67], v[80:81]
	v_lshlrev_b32_e32 v32, 2, v19
	v_ashrrev_i32_e32 v31, 31, v30
	v_fmac_f64_e32 v[12:13], v[74:75], v[80:81]
	v_fmac_f64_e32 v[16:17], v[64:65], v[82:83]
	v_ashrrev_i32_e32 v33, 31, v32
	v_lshl_add_u64 v[64:65], v[30:31], 3, s[4:5]
	v_fmac_f64_e32 v[12:13], v[72:73], v[82:83]
	v_lshl_add_u64 v[72:73], v[32:33], 3, s[4:5]
	global_load_dwordx4 v[30:33], v[64:65], off
	v_fmac_f64_e32 v[14:15], v[70:71], v[80:81]
	v_fmac_f64_e32 v[14:15], v[68:69], v[82:83]
	global_load_dwordx4 v[68:71], v[72:73], off
	s_waitcnt vmcnt(1)
	v_fmac_f64_e32 v[16:17], v[28:29], v[30:31]
	global_load_dwordx4 v[64:67], v[64:65], off offset:16
	v_fmac_f64_e32 v[14:15], v[48:49], v[30:31]
	v_fmac_f64_e32 v[12:13], v[60:61], v[30:31]
	;; [unrolled: 1-line block ×3, first 2 shown]
	global_load_dwordx4 v[28:31], v[72:73], off offset:16
	v_fmac_f64_e32 v[16:17], v[26:27], v[32:33]
	v_fmac_f64_e32 v[14:15], v[38:39], v[32:33]
	;; [unrolled: 1-line block ×4, first 2 shown]
	s_waitcnt vmcnt(1)
	v_fmac_f64_e32 v[16:17], v[24:25], v[64:65]
	v_fmac_f64_e32 v[14:15], v[36:37], v[64:65]
	;; [unrolled: 1-line block ×16, first 2 shown]
	s_waitcnt vmcnt(0)
	v_fmac_f64_e32 v[16:17], v[50:51], v[28:29]
	v_fmac_f64_e32 v[14:15], v[90:91], v[28:29]
	;; [unrolled: 1-line block ×8, first 2 shown]
	s_andn2_b64 exec, exec, s[14:15]
	s_cbranch_execnz .LBB152_21
; %bb.22:
	s_or_b64 exec, exec, s[14:15]
.LBB152_23:
	s_or_b64 exec, exec, s[10:11]
.LBB152_24:
	s_or_b64 exec, exec, s[6:7]
	s_cbranch_execz .LBB152_26
	s_branch .LBB152_37
.LBB152_25:
                                        ; implicit-def: $vgpr0_vgpr1
                                        ; implicit-def: $vgpr12_vgpr13
                                        ; implicit-def: $vgpr14_vgpr15
                                        ; implicit-def: $vgpr16_vgpr17
.LBB152_26:
	v_mov_b64_e32 v[0:1], 0
	v_mov_b64_e32 v[12:13], 0
	;; [unrolled: 1-line block ×4, first 2 shown]
	s_and_saveexec_b64 s[6:7], s[2:3]
	s_cbranch_execz .LBB152_36
; %bb.27:
	v_add_u32_e32 v0, v85, v11
	v_subrev_u32_e32 v0, s12, v0
	v_add_u32_e32 v0, 16, v0
	v_max_i32_e32 v0, v0, v84
	v_not_b32_e32 v1, v85
	v_add3_u32 v0, s12, v0, v1
	v_sub_u32_e32 v18, v0, v11
	v_and_b32_e32 v0, 48, v18
	v_cmp_ne_u32_e32 vcc, 48, v0
	v_mov_b64_e32 v[16:17], 0
	v_mov_b64_e32 v[14:15], 0
	;; [unrolled: 1-line block ×4, first 2 shown]
	s_and_saveexec_b64 s[2:3], vcc
	s_cbranch_execz .LBB152_31
; %bb.28:
	v_lshrrev_b32_e32 v0, 4, v18
	v_add_u32_e32 v0, 1, v0
	v_and_b32_e32 v0, 3, v0
	v_sub_u32_e32 v19, 0, v0
	v_mov_b64_e32 v[0:1], 0
	s_mov_b64 s[10:11], 0
	s_mov_b64 s[14:15], 0x400
	v_mov_b64_e32 v[12:13], 0
	v_mov_b64_e32 v[14:15], 0
	;; [unrolled: 1-line block ×3, first 2 shown]
.LBB152_29:                             ; =>This Inner Loop Header: Depth=1
	v_ashrrev_i32_e32 v5, 31, v4
	v_lshl_add_u64 v[32:33], v[4:5], 2, s[8:9]
	global_load_dword v5, v[32:33], off
	global_load_dwordx4 v[20:23], v[6:7], off
	global_load_dwordx4 v[24:27], v[6:7], off offset:16
	global_load_dwordx4 v[28:31], v[6:7], off offset:32
	v_add_co_u32_e32 v19, vcc, 1, v19
	v_add_u32_e32 v4, 16, v4
	s_or_b64 s[10:11], vcc, s[10:11]
	s_waitcnt vmcnt(3)
	v_subrev_u32_e32 v5, s12, v5
	v_lshlrev_b32_e32 v32, 2, v5
	v_ashrrev_i32_e32 v33, 31, v32
	s_waitcnt lgkmcnt(0)
	v_lshl_add_u64 v[44:45], v[32:33], 3, s[4:5]
	global_load_dwordx4 v[32:35], v[44:45], off offset:16
	global_load_dwordx4 v[36:39], v[44:45], off
	global_load_dwordx4 v[40:43], v[6:7], off offset:48
	s_waitcnt vmcnt(5)
	v_cvt_f64_f32_e32 v[44:45], v20
	v_cvt_f64_f32_e32 v[20:21], v21
	v_cvt_f64_f32_e32 v[46:47], v22
	v_cvt_f64_f32_e32 v[22:23], v23
	s_waitcnt vmcnt(4)
	v_cvt_f64_f32_e32 v[48:49], v24
	v_cvt_f64_f32_e32 v[24:25], v25
	v_cvt_f64_f32_e32 v[50:51], v26
	v_cvt_f64_f32_e32 v[26:27], v27
	;; [unrolled: 5-line block ×3, first 2 shown]
	v_lshl_add_u64 v[6:7], v[6:7], 0, s[14:15]
	s_waitcnt vmcnt(1)
	v_fmac_f64_e32 v[16:17], v[44:45], v[36:37]
	v_fmac_f64_e32 v[14:15], v[20:21], v[36:37]
	;; [unrolled: 1-line block ×8, first 2 shown]
	s_waitcnt vmcnt(0)
	v_cvt_f64_f32_e32 v[56:57], v40
	v_cvt_f64_f32_e32 v[40:41], v41
	;; [unrolled: 1-line block ×4, first 2 shown]
	v_fmac_f64_e32 v[16:17], v[52:53], v[32:33]
	v_fmac_f64_e32 v[14:15], v[28:29], v[32:33]
	;; [unrolled: 1-line block ×8, first 2 shown]
	s_andn2_b64 exec, exec, s[10:11]
	s_cbranch_execnz .LBB152_29
; %bb.30:
	s_or_b64 exec, exec, s[10:11]
.LBB152_31:
	s_or_b64 exec, exec, s[2:3]
	v_cmp_lt_u32_e32 vcc, 47, v18
	s_and_saveexec_b64 s[2:3], vcc
	s_cbranch_execz .LBB152_35
; %bb.32:
	s_mov_b64 s[10:11], 0
	s_mov_b64 s[14:15], 0x1000
.LBB152_33:                             ; =>This Inner Loop Header: Depth=1
	global_load_dwordx4 v[18:21], v[6:7], off
	global_load_dwordx4 v[22:25], v[6:7], off offset:16
	global_load_dwordx4 v[26:29], v[6:7], off offset:32
	;; [unrolled: 1-line block ×6, first 2 shown]
	v_ashrrev_i32_e32 v5, 31, v4
	s_waitcnt vmcnt(6)
	v_cvt_f64_f32_e32 v[48:49], v20
	v_cvt_f64_f32_e32 v[50:51], v21
	;; [unrolled: 1-line block ×3, first 2 shown]
	s_waitcnt vmcnt(3)
	v_cvt_f64_f32_e32 v[68:69], v30
	v_cvt_f64_f32_e32 v[70:71], v31
	v_lshl_add_u64 v[30:31], v[4:5], 2, s[8:9]
	s_waitcnt vmcnt(0)
	v_cvt_f64_f32_e32 v[20:21], v42
	global_load_dword v5, v[30:31], off
	global_load_dword v42, v[30:31], off offset:64
	global_load_dword v85, v[30:31], off offset:128
	;; [unrolled: 1-line block ×3, first 2 shown]
	v_cvt_f64_f32_e32 v[86:87], v38
	v_cvt_f64_f32_e32 v[88:89], v39
	;; [unrolled: 1-line block ×13, first 2 shown]
	global_load_dwordx4 v[34:37], v[6:7], off offset:1072
	v_cvt_f64_f32_e32 v[60:61], v26
	v_cvt_f64_f32_e32 v[62:63], v27
	;; [unrolled: 1-line block ×9, first 2 shown]
	v_add_u32_e32 v4, 64, v4
	v_cmp_ge_i32_e32 vcc, v4, v84
	s_or_b64 s[10:11], vcc, s[10:11]
	s_waitcnt vmcnt(4)
	v_subrev_u32_e32 v5, s12, v5
	v_lshlrev_b32_e32 v30, 2, v5
	v_ashrrev_i32_e32 v31, 31, v30
	s_waitcnt lgkmcnt(0)
	v_lshl_add_u64 v[38:39], v[30:31], 3, s[4:5]
	global_load_dwordx4 v[30:33], v[38:39], off
	s_waitcnt vmcnt(4)
	v_subrev_u32_e32 v5, s12, v42
	global_load_dwordx4 v[42:45], v[6:7], off offset:2096
	s_waitcnt vmcnt(1)
	v_fmac_f64_e32 v[16:17], v[46:47], v[30:31]
	v_fmac_f64_e32 v[14:15], v[18:19], v[30:31]
	;; [unrolled: 1-line block ×8, first 2 shown]
	global_load_dwordx4 v[30:33], v[6:7], off offset:2048
	v_cvt_f64_f32_e32 v[54:55], v34
	v_cvt_f64_f32_e32 v[56:57], v35
	;; [unrolled: 1-line block ×4, first 2 shown]
	global_load_dwordx4 v[34:37], v[6:7], off offset:2064
	global_load_dwordx4 v[46:49], v[6:7], off offset:3072
	s_waitcnt vmcnt(2)
	v_cvt_f64_f32_e32 v[94:95], v30
	v_cvt_f64_f32_e32 v[96:97], v31
	;; [unrolled: 1-line block ×4, first 2 shown]
	global_load_dwordx4 v[30:33], v[38:39], off offset:16
	s_waitcnt vmcnt(0)
	v_fmac_f64_e32 v[16:17], v[60:61], v[30:31]
	v_fmac_f64_e32 v[14:15], v[62:63], v[30:31]
	;; [unrolled: 1-line block ×8, first 2 shown]
	global_load_dwordx4 v[30:33], v[6:7], off offset:2080
	v_cvt_f64_f32_e32 v[64:65], v36
	v_cvt_f64_f32_e32 v[66:67], v37
	;; [unrolled: 1-line block ×5, first 2 shown]
	s_waitcnt vmcnt(0)
	v_cvt_f64_f32_e32 v[38:39], v30
	v_lshlrev_b32_e32 v30, 2, v5
	v_cvt_f64_f32_e32 v[40:41], v31
	v_ashrrev_i32_e32 v31, 31, v30
	v_lshl_add_u64 v[50:51], v[30:31], 3, s[4:5]
	v_cvt_f64_f32_e32 v[36:37], v32
	v_cvt_f64_f32_e32 v[18:19], v33
	global_load_dwordx4 v[30:33], v[50:51], off
	v_subrev_u32_e32 v5, s12, v85
	global_load_dwordx4 v[50:53], v[50:51], off offset:16
	s_waitcnt vmcnt(1)
	v_fmac_f64_e32 v[16:17], v[76:77], v[30:31]
	v_fmac_f64_e32 v[14:15], v[78:79], v[30:31]
	;; [unrolled: 1-line block ×4, first 2 shown]
	s_waitcnt vmcnt(0)
	v_fmac_f64_e32 v[16:17], v[20:21], v[50:51]
	v_fmac_f64_e32 v[14:15], v[22:23], v[50:51]
	global_load_dwordx4 v[20:23], v[6:7], off offset:3088
	v_fmac_f64_e32 v[12:13], v[80:81], v[30:31]
	v_fmac_f64_e32 v[0:1], v[82:83], v[30:31]
	;; [unrolled: 1-line block ×10, first 2 shown]
	global_load_dwordx4 v[24:27], v[6:7], off offset:3120
	v_cvt_f64_f32_e32 v[28:29], v42
	v_cvt_f64_f32_e32 v[30:31], v43
	;; [unrolled: 1-line block ×7, first 2 shown]
	s_waitcnt vmcnt(1)
	v_cvt_f64_f32_e32 v[50:51], v20
	v_cvt_f64_f32_e32 v[52:53], v21
	;; [unrolled: 1-line block ×4, first 2 shown]
	global_load_dwordx4 v[20:23], v[6:7], off offset:3104
	v_lshl_add_u64 v[6:7], v[6:7], 0, s[14:15]
	s_waitcnt vmcnt(0)
	v_cvt_f64_f32_e32 v[58:59], v20
	v_lshlrev_b32_e32 v20, 2, v5
	v_cvt_f64_f32_e32 v[68:69], v21
	v_ashrrev_i32_e32 v21, 31, v20
	v_lshl_add_u64 v[74:75], v[20:21], 3, s[4:5]
	v_cvt_f64_f32_e32 v[70:71], v22
	v_cvt_f64_f32_e32 v[72:73], v23
	global_load_dwordx4 v[20:23], v[74:75], off
	v_subrev_u32_e32 v5, s12, v102
	s_waitcnt vmcnt(0)
	v_fmac_f64_e32 v[16:17], v[94:95], v[20:21]
	v_fmac_f64_e32 v[14:15], v[96:97], v[20:21]
	;; [unrolled: 1-line block ×4, first 2 shown]
	v_lshlrev_b32_e32 v20, 2, v5
	v_ashrrev_i32_e32 v21, 31, v20
	v_fmac_f64_e32 v[16:17], v[60:61], v[22:23]
	v_fmac_f64_e32 v[14:15], v[62:63], v[22:23]
	;; [unrolled: 1-line block ×4, first 2 shown]
	v_lshl_add_u64 v[76:77], v[20:21], 3, s[4:5]
	global_load_dwordx4 v[20:23], v[74:75], off offset:16
	v_cvt_f64_f32_e32 v[60:61], v24
	v_cvt_f64_f32_e32 v[62:63], v25
	;; [unrolled: 1-line block ×4, first 2 shown]
	global_load_dwordx4 v[24:27], v[76:77], off
	s_waitcnt vmcnt(1)
	v_fmac_f64_e32 v[16:17], v[38:39], v[20:21]
	v_fmac_f64_e32 v[12:13], v[36:37], v[20:21]
	global_load_dwordx4 v[36:39], v[76:77], off offset:16
	v_fmac_f64_e32 v[14:15], v[40:41], v[20:21]
	v_fmac_f64_e32 v[0:1], v[18:19], v[20:21]
	;; [unrolled: 1-line block ×6, first 2 shown]
	s_waitcnt vmcnt(1)
	v_fmac_f64_e32 v[16:17], v[42:43], v[24:25]
	v_fmac_f64_e32 v[14:15], v[44:45], v[24:25]
	;; [unrolled: 1-line block ×8, first 2 shown]
	s_waitcnt vmcnt(0)
	v_fmac_f64_e32 v[16:17], v[58:59], v[36:37]
	v_fmac_f64_e32 v[14:15], v[68:69], v[36:37]
	;; [unrolled: 1-line block ×8, first 2 shown]
	s_andn2_b64 exec, exec, s[10:11]
	s_cbranch_execnz .LBB152_33
; %bb.34:
	s_or_b64 exec, exec, s[10:11]
.LBB152_35:
	s_or_b64 exec, exec, s[2:3]
.LBB152_36:
	s_or_b64 exec, exec, s[6:7]
.LBB152_37:
	v_mov_b32_dpp v4, v16 row_shr:1 row_mask:0xf bank_mask:0xf
	v_mov_b32_dpp v5, v17 row_shr:1 row_mask:0xf bank_mask:0xf
	v_add_f64 v[4:5], v[16:17], v[4:5]
	v_mov_b32_dpp v16, v14 row_shr:1 row_mask:0xf bank_mask:0xf
	v_mov_b32_dpp v17, v15 row_shr:1 row_mask:0xf bank_mask:0xf
	;; [unrolled: 1-line block ×6, first 2 shown]
	v_add_f64 v[14:15], v[14:15], v[16:17]
	v_add_f64 v[12:13], v[12:13], v[18:19]
	;; [unrolled: 1-line block ×3, first 2 shown]
	v_mov_b32_dpp v6, v4 row_shr:2 row_mask:0xf bank_mask:0xf
	v_mov_b32_dpp v7, v5 row_shr:2 row_mask:0xf bank_mask:0xf
	;; [unrolled: 1-line block ×8, first 2 shown]
	v_add_f64 v[4:5], v[4:5], v[6:7]
	v_add_f64 v[14:15], v[14:15], v[16:17]
	;; [unrolled: 1-line block ×4, first 2 shown]
	v_mov_b32_dpp v6, v4 row_shr:4 row_mask:0xf bank_mask:0xe
	v_mov_b32_dpp v7, v5 row_shr:4 row_mask:0xf bank_mask:0xe
	;; [unrolled: 1-line block ×8, first 2 shown]
	v_add_f64 v[4:5], v[4:5], v[6:7]
	v_add_f64 v[14:15], v[14:15], v[16:17]
	;; [unrolled: 1-line block ×4, first 2 shown]
	v_mov_b32_dpp v6, v4 row_shr:8 row_mask:0xf bank_mask:0xc
	v_mov_b32_dpp v7, v5 row_shr:8 row_mask:0xf bank_mask:0xc
	;; [unrolled: 1-line block ×8, first 2 shown]
	v_cmp_eq_u32_e32 vcc, 15, v11
	s_and_b64 exec, exec, vcc
	s_cbranch_execz .LBB152_10
; %bb.38:
	s_load_dwordx2 s[0:1], s[0:1], 0x50
	v_add_f64 v[4:5], v[4:5], v[6:7]
	v_add_f64 v[6:7], v[14:15], v[16:17]
	;; [unrolled: 1-line block ×4, first 2 shown]
	v_cmp_eq_f64_e32 vcc, 0, v[8:9]
	v_mul_f64 v[4:5], v[2:3], v[4:5]
	v_mul_f64 v[6:7], v[2:3], v[6:7]
	;; [unrolled: 1-line block ×4, first 2 shown]
	v_lshlrev_b32_e32 v10, 2, v10
	s_and_saveexec_b64 s[2:3], vcc
	s_xor_b64 s[2:3], exec, s[2:3]
	s_cbranch_execz .LBB152_40
; %bb.39:
	v_ashrrev_i32_e32 v11, 31, v10
	s_waitcnt lgkmcnt(0)
	v_lshl_add_u64 v[8:9], v[10:11], 3, s[0:1]
	global_store_dwordx4 v[8:9], v[4:7], off
	global_store_dwordx4 v[8:9], v[0:3], off offset:16
                                        ; implicit-def: $vgpr10
                                        ; implicit-def: $vgpr8_vgpr9
                                        ; implicit-def: $vgpr4_vgpr5
                                        ; implicit-def: $vgpr0_vgpr1
.LBB152_40:
	s_andn2_saveexec_b64 s[2:3], s[2:3]
	s_cbranch_execz .LBB152_10
; %bb.41:
	v_ashrrev_i32_e32 v11, 31, v10
	s_waitcnt lgkmcnt(0)
	v_lshl_add_u64 v[18:19], v[10:11], 3, s[0:1]
	global_load_dwordx4 v[10:13], v[18:19], off
	global_load_dwordx4 v[14:17], v[18:19], off offset:16
	s_waitcnt vmcnt(1)
	v_fmac_f64_e32 v[4:5], v[8:9], v[10:11]
	v_fmac_f64_e32 v[6:7], v[8:9], v[12:13]
	s_waitcnt vmcnt(0)
	v_fmac_f64_e32 v[0:1], v[8:9], v[14:15]
	v_fmac_f64_e32 v[2:3], v[8:9], v[16:17]
	global_store_dwordx4 v[18:19], v[4:7], off
	global_store_dwordx4 v[18:19], v[0:3], off offset:16
	s_endpgm
	.section	.rodata,"a",@progbits
	.p2align	6, 0x0
	.amdhsa_kernel _ZN9rocsparseL18bsrxmvn_4x4_kernelILj128ELj16EdiifddEEvT3_20rocsparse_direction_NS_24const_host_device_scalarIT1_EES1_PKS1_PKT2_SA_S7_PKT4_PKT5_S5_PT6_21rocsparse_index_base_b
		.amdhsa_group_segment_fixed_size 0
		.amdhsa_private_segment_fixed_size 0
		.amdhsa_kernarg_size 96
		.amdhsa_user_sgpr_count 2
		.amdhsa_user_sgpr_dispatch_ptr 0
		.amdhsa_user_sgpr_queue_ptr 0
		.amdhsa_user_sgpr_kernarg_segment_ptr 1
		.amdhsa_user_sgpr_dispatch_id 0
		.amdhsa_user_sgpr_kernarg_preload_length 0
		.amdhsa_user_sgpr_kernarg_preload_offset 0
		.amdhsa_user_sgpr_private_segment_size 0
		.amdhsa_uses_dynamic_stack 0
		.amdhsa_enable_private_segment 0
		.amdhsa_system_sgpr_workgroup_id_x 1
		.amdhsa_system_sgpr_workgroup_id_y 0
		.amdhsa_system_sgpr_workgroup_id_z 0
		.amdhsa_system_sgpr_workgroup_info 0
		.amdhsa_system_vgpr_workitem_id 0
		.amdhsa_next_free_vgpr 122
		.amdhsa_next_free_sgpr 18
		.amdhsa_accum_offset 124
		.amdhsa_reserve_vcc 1
		.amdhsa_float_round_mode_32 0
		.amdhsa_float_round_mode_16_64 0
		.amdhsa_float_denorm_mode_32 3
		.amdhsa_float_denorm_mode_16_64 3
		.amdhsa_dx10_clamp 1
		.amdhsa_ieee_mode 1
		.amdhsa_fp16_overflow 0
		.amdhsa_tg_split 0
		.amdhsa_exception_fp_ieee_invalid_op 0
		.amdhsa_exception_fp_denorm_src 0
		.amdhsa_exception_fp_ieee_div_zero 0
		.amdhsa_exception_fp_ieee_overflow 0
		.amdhsa_exception_fp_ieee_underflow 0
		.amdhsa_exception_fp_ieee_inexact 0
		.amdhsa_exception_int_div_zero 0
	.end_amdhsa_kernel
	.section	.text._ZN9rocsparseL18bsrxmvn_4x4_kernelILj128ELj16EdiifddEEvT3_20rocsparse_direction_NS_24const_host_device_scalarIT1_EES1_PKS1_PKT2_SA_S7_PKT4_PKT5_S5_PT6_21rocsparse_index_base_b,"axG",@progbits,_ZN9rocsparseL18bsrxmvn_4x4_kernelILj128ELj16EdiifddEEvT3_20rocsparse_direction_NS_24const_host_device_scalarIT1_EES1_PKS1_PKT2_SA_S7_PKT4_PKT5_S5_PT6_21rocsparse_index_base_b,comdat
.Lfunc_end152:
	.size	_ZN9rocsparseL18bsrxmvn_4x4_kernelILj128ELj16EdiifddEEvT3_20rocsparse_direction_NS_24const_host_device_scalarIT1_EES1_PKS1_PKT2_SA_S7_PKT4_PKT5_S5_PT6_21rocsparse_index_base_b, .Lfunc_end152-_ZN9rocsparseL18bsrxmvn_4x4_kernelILj128ELj16EdiifddEEvT3_20rocsparse_direction_NS_24const_host_device_scalarIT1_EES1_PKS1_PKT2_SA_S7_PKT4_PKT5_S5_PT6_21rocsparse_index_base_b
                                        ; -- End function
	.set _ZN9rocsparseL18bsrxmvn_4x4_kernelILj128ELj16EdiifddEEvT3_20rocsparse_direction_NS_24const_host_device_scalarIT1_EES1_PKS1_PKT2_SA_S7_PKT4_PKT5_S5_PT6_21rocsparse_index_base_b.num_vgpr, 122
	.set _ZN9rocsparseL18bsrxmvn_4x4_kernelILj128ELj16EdiifddEEvT3_20rocsparse_direction_NS_24const_host_device_scalarIT1_EES1_PKS1_PKT2_SA_S7_PKT4_PKT5_S5_PT6_21rocsparse_index_base_b.num_agpr, 0
	.set _ZN9rocsparseL18bsrxmvn_4x4_kernelILj128ELj16EdiifddEEvT3_20rocsparse_direction_NS_24const_host_device_scalarIT1_EES1_PKS1_PKT2_SA_S7_PKT4_PKT5_S5_PT6_21rocsparse_index_base_b.numbered_sgpr, 18
	.set _ZN9rocsparseL18bsrxmvn_4x4_kernelILj128ELj16EdiifddEEvT3_20rocsparse_direction_NS_24const_host_device_scalarIT1_EES1_PKS1_PKT2_SA_S7_PKT4_PKT5_S5_PT6_21rocsparse_index_base_b.num_named_barrier, 0
	.set _ZN9rocsparseL18bsrxmvn_4x4_kernelILj128ELj16EdiifddEEvT3_20rocsparse_direction_NS_24const_host_device_scalarIT1_EES1_PKS1_PKT2_SA_S7_PKT4_PKT5_S5_PT6_21rocsparse_index_base_b.private_seg_size, 0
	.set _ZN9rocsparseL18bsrxmvn_4x4_kernelILj128ELj16EdiifddEEvT3_20rocsparse_direction_NS_24const_host_device_scalarIT1_EES1_PKS1_PKT2_SA_S7_PKT4_PKT5_S5_PT6_21rocsparse_index_base_b.uses_vcc, 1
	.set _ZN9rocsparseL18bsrxmvn_4x4_kernelILj128ELj16EdiifddEEvT3_20rocsparse_direction_NS_24const_host_device_scalarIT1_EES1_PKS1_PKT2_SA_S7_PKT4_PKT5_S5_PT6_21rocsparse_index_base_b.uses_flat_scratch, 0
	.set _ZN9rocsparseL18bsrxmvn_4x4_kernelILj128ELj16EdiifddEEvT3_20rocsparse_direction_NS_24const_host_device_scalarIT1_EES1_PKS1_PKT2_SA_S7_PKT4_PKT5_S5_PT6_21rocsparse_index_base_b.has_dyn_sized_stack, 0
	.set _ZN9rocsparseL18bsrxmvn_4x4_kernelILj128ELj16EdiifddEEvT3_20rocsparse_direction_NS_24const_host_device_scalarIT1_EES1_PKS1_PKT2_SA_S7_PKT4_PKT5_S5_PT6_21rocsparse_index_base_b.has_recursion, 0
	.set _ZN9rocsparseL18bsrxmvn_4x4_kernelILj128ELj16EdiifddEEvT3_20rocsparse_direction_NS_24const_host_device_scalarIT1_EES1_PKS1_PKT2_SA_S7_PKT4_PKT5_S5_PT6_21rocsparse_index_base_b.has_indirect_call, 0
	.section	.AMDGPU.csdata,"",@progbits
; Kernel info:
; codeLenInByte = 3796
; TotalNumSgprs: 24
; NumVgprs: 122
; NumAgprs: 0
; TotalNumVgprs: 122
; ScratchSize: 0
; MemoryBound: 0
; FloatMode: 240
; IeeeMode: 1
; LDSByteSize: 0 bytes/workgroup (compile time only)
; SGPRBlocks: 2
; VGPRBlocks: 15
; NumSGPRsForWavesPerEU: 24
; NumVGPRsForWavesPerEU: 122
; AccumOffset: 124
; Occupancy: 4
; WaveLimiterHint : 1
; COMPUTE_PGM_RSRC2:SCRATCH_EN: 0
; COMPUTE_PGM_RSRC2:USER_SGPR: 2
; COMPUTE_PGM_RSRC2:TRAP_HANDLER: 0
; COMPUTE_PGM_RSRC2:TGID_X_EN: 1
; COMPUTE_PGM_RSRC2:TGID_Y_EN: 0
; COMPUTE_PGM_RSRC2:TGID_Z_EN: 0
; COMPUTE_PGM_RSRC2:TIDIG_COMP_CNT: 0
; COMPUTE_PGM_RSRC3_GFX90A:ACCUM_OFFSET: 30
; COMPUTE_PGM_RSRC3_GFX90A:TG_SPLIT: 0
	.section	.text._ZN9rocsparseL18bsrxmvn_4x4_kernelILj128ELj32EdiifddEEvT3_20rocsparse_direction_NS_24const_host_device_scalarIT1_EES1_PKS1_PKT2_SA_S7_PKT4_PKT5_S5_PT6_21rocsparse_index_base_b,"axG",@progbits,_ZN9rocsparseL18bsrxmvn_4x4_kernelILj128ELj32EdiifddEEvT3_20rocsparse_direction_NS_24const_host_device_scalarIT1_EES1_PKS1_PKT2_SA_S7_PKT4_PKT5_S5_PT6_21rocsparse_index_base_b,comdat
	.globl	_ZN9rocsparseL18bsrxmvn_4x4_kernelILj128ELj32EdiifddEEvT3_20rocsparse_direction_NS_24const_host_device_scalarIT1_EES1_PKS1_PKT2_SA_S7_PKT4_PKT5_S5_PT6_21rocsparse_index_base_b ; -- Begin function _ZN9rocsparseL18bsrxmvn_4x4_kernelILj128ELj32EdiifddEEvT3_20rocsparse_direction_NS_24const_host_device_scalarIT1_EES1_PKS1_PKT2_SA_S7_PKT4_PKT5_S5_PT6_21rocsparse_index_base_b
	.p2align	8
	.type	_ZN9rocsparseL18bsrxmvn_4x4_kernelILj128ELj32EdiifddEEvT3_20rocsparse_direction_NS_24const_host_device_scalarIT1_EES1_PKS1_PKT2_SA_S7_PKT4_PKT5_S5_PT6_21rocsparse_index_base_b,@function
_ZN9rocsparseL18bsrxmvn_4x4_kernelILj128ELj32EdiifddEEvT3_20rocsparse_direction_NS_24const_host_device_scalarIT1_EES1_PKS1_PKT2_SA_S7_PKT4_PKT5_S5_PT6_21rocsparse_index_base_b: ; @_ZN9rocsparseL18bsrxmvn_4x4_kernelILj128ELj32EdiifddEEvT3_20rocsparse_direction_NS_24const_host_device_scalarIT1_EES1_PKS1_PKT2_SA_S7_PKT4_PKT5_S5_PT6_21rocsparse_index_base_b
; %bb.0:
	s_load_dwordx2 s[12:13], s[0:1], 0x58
	s_load_dwordx2 s[8:9], s[0:1], 0x8
	;; [unrolled: 1-line block ×3, first 2 shown]
	s_waitcnt lgkmcnt(0)
	s_bitcmp1_b32 s13, 0
	s_cselect_b64 s[10:11], -1, 0
	s_xor_b64 s[6:7], s[10:11], -1
	s_and_b64 vcc, exec, s[10:11]
	v_mov_b64_e32 v[18:19], s[8:9]
	s_cbranch_vccnz .LBB153_2
; %bb.1:
	v_mov_b64_e32 v[2:3], s[8:9]
	flat_load_dwordx2 v[18:19], v[2:3]
.LBB153_2:
	s_andn2_b64 vcc, exec, s[6:7]
	v_mov_b64_e32 v[16:17], s[4:5]
	s_cbranch_vccnz .LBB153_4
; %bb.3:
	v_mov_b64_e32 v[2:3], s[4:5]
	flat_load_dwordx2 v[16:17], v[2:3]
.LBB153_4:
	s_waitcnt vmcnt(0) lgkmcnt(0)
	v_cmp_neq_f64_e32 vcc, 0, v[18:19]
	v_cmp_neq_f64_e64 s[4:5], 1.0, v[16:17]
	s_mov_b64 s[6:7], 0
	s_or_b64 s[4:5], vcc, s[4:5]
	s_and_saveexec_b64 s[8:9], s[4:5]
	s_cbranch_execz .LBB153_10
; %bb.5:
	s_load_dwordx2 s[4:5], s[0:1], 0x18
	s_load_dwordx2 s[14:15], s[0:1], 0x0
	v_lshrrev_b32_e32 v1, 5, v0
	v_lshl_or_b32 v20, s2, 2, v1
	s_mov_b64 s[2:3], 0
	s_waitcnt lgkmcnt(0)
	s_cmp_lg_u64 s[4:5], 0
	s_cbranch_scc0 .LBB153_11
; %bb.6:
	s_load_dword s6, s[0:1], 0x10
                                        ; implicit-def: $vgpr1
	s_waitcnt lgkmcnt(0)
	v_cmp_gt_i32_e32 vcc, s6, v20
	s_and_saveexec_b64 s[6:7], vcc
	s_xor_b64 s[6:7], exec, s[6:7]
	s_cbranch_execz .LBB153_8
; %bb.7:
	v_ashrrev_i32_e32 v21, 31, v20
	v_lshl_add_u64 v[2:3], v[20:21], 2, s[4:5]
	global_load_dword v1, v[2:3], off
	s_mov_b64 s[2:3], exec
	s_waitcnt vmcnt(0)
	v_subrev_u32_e32 v1, s12, v1
.LBB153_8:
	s_or_b64 exec, exec, s[6:7]
	s_mov_b64 s[6:7], s[2:3]
	s_branch .LBB153_12
.LBB153_9:
	v_cmp_gt_i32_e32 vcc, s14, v20
	s_andn2_b64 s[2:3], s[6:7], exec
	s_and_b64 s[4:5], vcc, exec
	s_or_b64 s[6:7], s[2:3], s[4:5]
	s_and_b64 exec, exec, s[6:7]
	s_cbranch_execnz .LBB153_13
.LBB153_10:
	s_endpgm
.LBB153_11:
                                        ; implicit-def: $vgpr1
	s_cbranch_execnz .LBB153_9
.LBB153_12:
	v_mov_b32_e32 v20, v1
	s_and_b64 exec, exec, s[6:7]
	s_cbranch_execz .LBB153_10
.LBB153_13:
	s_load_dwordx8 s[4:11], s[0:1], 0x20
	v_ashrrev_i32_e32 v21, 31, v20
	v_lshlrev_b64 v[2:3], 2, v[20:21]
	v_and_b32_e32 v21, 31, v0
	s_waitcnt lgkmcnt(0)
	v_lshl_add_u64 v[4:5], s[4:5], 0, v[2:3]
	s_cmp_eq_u64 s[6:7], 0
	global_load_dword v71, v[4:5], off
	v_lshl_add_u64 v[4:5], v[4:5], 0, 4
	v_lshl_add_u64 v[2:3], s[6:7], 0, v[2:3]
	s_cselect_b64 vcc, -1, 0
	v_cndmask_b32_e32 v3, v3, v5, vcc
	v_cndmask_b32_e32 v2, v2, v4, vcc
	global_load_dword v1, v[2:3], off
	s_load_dwordx2 s[4:5], s[0:1], 0x40
	s_cmp_eq_u32 s15, 1
	s_waitcnt vmcnt(1)
	v_subrev_u32_e32 v0, s12, v71
	v_add_u32_e32 v26, v0, v21
	v_ashrrev_i32_e32 v27, 31, v26
	s_waitcnt vmcnt(0)
	v_subrev_u32_e32 v70, s12, v1
	v_lshlrev_b64 v[0:1], 6, v[26:27]
	v_lshl_add_u64 v[28:29], s[10:11], 0, v[0:1]
	v_cmp_lt_i32_e64 s[2:3], v26, v70
	s_cbranch_scc1 .LBB153_25
; %bb.14:
	v_mov_b64_e32 v[22:23], 0
	v_mov_b64_e32 v[24:25], 0
	;; [unrolled: 1-line block ×4, first 2 shown]
	s_and_saveexec_b64 s[6:7], s[2:3]
	s_cbranch_execz .LBB153_24
; %bb.15:
	v_add_u32_e32 v0, v71, v21
	v_subrev_u32_e32 v0, s12, v0
	v_add_u32_e32 v0, 32, v0
	v_max_i32_e32 v0, v0, v70
	v_not_b32_e32 v1, v71
	v_add3_u32 v0, s12, v0, v1
	v_sub_u32_e32 v0, v0, v21
	s_movk_i32 s10, 0x60
	v_and_b32_e32 v1, 0x60, v0
	v_cmp_ne_u32_e32 vcc, s10, v1
	v_mov_b64_e32 v[32:33], 0
	v_mov_b64_e32 v[30:31], 0
	;; [unrolled: 1-line block ×4, first 2 shown]
	v_mov_b32_e32 v34, v26
	v_mov_b64_e32 v[36:37], v[28:29]
	s_and_saveexec_b64 s[10:11], vcc
	s_cbranch_execz .LBB153_19
; %bb.16:
	v_lshrrev_b32_e32 v1, 5, v0
	v_add_u32_e32 v1, 1, v1
	v_and_b32_e32 v1, 3, v1
	v_sub_u32_e32 v1, 0, v1
	v_mov_b64_e32 v[22:23], 0
	s_mov_b64 s[14:15], 0
	s_mov_b64 s[16:17], 0x800
	v_mov_b64_e32 v[36:37], v[28:29]
	v_mov_b32_e32 v34, v26
	v_mov_b64_e32 v[24:25], 0
	v_mov_b64_e32 v[30:31], 0
	;; [unrolled: 1-line block ×3, first 2 shown]
.LBB153_17:                             ; =>This Inner Loop Header: Depth=1
	v_ashrrev_i32_e32 v35, 31, v34
	v_lshl_add_u64 v[14:15], v[34:35], 2, s[8:9]
	global_load_dword v27, v[14:15], off
	global_load_dwordx4 v[2:5], v[36:37], off
	global_load_dwordx4 v[6:9], v[36:37], off offset:16
	global_load_dwordx4 v[10:13], v[36:37], off offset:32
	global_load_dwordx4 v[38:41], v[36:37], off offset:48
	v_add_co_u32_e32 v1, vcc, 1, v1
	v_lshl_add_u64 v[36:37], v[36:37], 0, s[16:17]
	v_add_u32_e32 v34, 32, v34
	s_or_b64 s[14:15], vcc, s[14:15]
	s_waitcnt vmcnt(4)
	v_subrev_u32_e32 v14, s12, v27
	v_lshlrev_b32_e32 v14, 2, v14
	v_ashrrev_i32_e32 v15, 31, v14
	s_waitcnt lgkmcnt(0)
	v_lshl_add_u64 v[14:15], v[14:15], 3, s[4:5]
	global_load_dwordx4 v[42:45], v[14:15], off
	global_load_dwordx4 v[46:49], v[14:15], off offset:16
	s_waitcnt vmcnt(5)
	v_cvt_f64_f32_e32 v[14:15], v2
	s_waitcnt vmcnt(4)
	v_cvt_f64_f32_e32 v[52:53], v6
	;; [unrolled: 2-line block ×4, first 2 shown]
	v_cvt_f64_f32_e32 v[2:3], v3
	v_cvt_f64_f32_e32 v[6:7], v7
	;; [unrolled: 1-line block ×12, first 2 shown]
	s_waitcnt vmcnt(1)
	v_fmac_f64_e32 v[32:33], v[14:15], v[42:43]
	v_fmac_f64_e32 v[30:31], v[52:53], v[42:43]
	;; [unrolled: 1-line block ×8, first 2 shown]
	s_waitcnt vmcnt(0)
	v_fmac_f64_e32 v[32:33], v[50:51], v[46:47]
	v_fmac_f64_e32 v[30:31], v[54:55], v[46:47]
	v_fmac_f64_e32 v[24:25], v[58:59], v[46:47]
	v_fmac_f64_e32 v[22:23], v[62:63], v[46:47]
	v_fmac_f64_e32 v[32:33], v[4:5], v[48:49]
	v_fmac_f64_e32 v[30:31], v[8:9], v[48:49]
	v_fmac_f64_e32 v[24:25], v[12:13], v[48:49]
	v_fmac_f64_e32 v[22:23], v[40:41], v[48:49]
	s_andn2_b64 exec, exec, s[14:15]
	s_cbranch_execnz .LBB153_17
; %bb.18:
	s_or_b64 exec, exec, s[14:15]
.LBB153_19:
	s_or_b64 exec, exec, s[10:11]
	s_movk_i32 s10, 0x5f
	v_cmp_lt_u32_e32 vcc, s10, v0
	s_and_saveexec_b64 s[10:11], vcc
	s_cbranch_execz .LBB153_23
; %bb.20:
	s_mov_b64 s[14:15], 0
	s_mov_b64 s[16:17], 0x1000
	s_movk_i32 s13, 0x1000
	s_mov_b64 s[18:19], 0x2000
.LBB153_21:                             ; =>This Inner Loop Header: Depth=1
	global_load_dwordx4 v[12:15], v[36:37], off
	global_load_dwordx4 v[8:11], v[36:37], off offset:16
	global_load_dwordx4 v[4:7], v[36:37], off offset:32
	;; [unrolled: 1-line block ×7, first 2 shown]
	v_ashrrev_i32_e32 v35, 31, v34
	v_lshl_add_u64 v[38:39], v[36:37], 0, s[16:17]
	global_load_dwordx4 v[56:59], v[38:39], off offset:16
	s_waitcnt vmcnt(8)
	v_cvt_f64_f32_e32 v[60:61], v12
	s_waitcnt vmcnt(7)
	v_cvt_f64_f32_e32 v[72:73], v10
	v_cvt_f64_f32_e32 v[74:75], v11
	;; [unrolled: 1-line block ×3, first 2 shown]
	s_waitcnt vmcnt(4)
	v_cvt_f64_f32_e32 v[92:93], v40
	v_cvt_f64_f32_e32 v[94:95], v41
	s_waitcnt vmcnt(2)
	v_cvt_f64_f32_e32 v[108:109], v48
	s_waitcnt vmcnt(1)
	v_cvt_f64_f32_e32 v[116:117], v52
	v_cvt_f64_f32_e32 v[118:119], v53
	v_lshl_add_u64 v[52:53], v[34:35], 2, s[8:9]
	global_load_dword v10, v[52:53], off
	global_load_dword v27, v[52:53], off offset:128
	v_cvt_f64_f32_e32 v[110:111], v49
	v_cvt_f64_f32_e32 v[96:97], v42
	v_cvt_f64_f32_e32 v[98:99], v43
	v_cvt_f64_f32_e32 v[100:101], v44
	v_cvt_f64_f32_e32 v[102:103], v45
	v_cvt_f64_f32_e32 v[104:105], v46
	v_cvt_f64_f32_e32 v[106:107], v47
	global_load_dwordx4 v[40:43], v[38:39], off offset:32
	global_load_dwordx4 v[44:47], v[38:39], off offset:48
	v_cvt_f64_f32_e32 v[64:65], v14
	v_cvt_f64_f32_e32 v[66:67], v15
	;; [unrolled: 1-line block ×10, first 2 shown]
	s_waitcnt vmcnt(4)
	v_cvt_f64_f32_e32 v[6:7], v56
	v_cvt_f64_f32_e32 v[4:5], v57
	;; [unrolled: 1-line block ×10, first 2 shown]
	v_add_u32_e32 v34, 0x80, v34
	s_waitcnt vmcnt(3)
	v_subrev_u32_e32 v10, s12, v10
	v_lshlrev_b32_e32 v10, 2, v10
	v_ashrrev_i32_e32 v11, 31, v10
	s_waitcnt lgkmcnt(0)
	v_lshl_add_u64 v[48:49], v[10:11], 3, s[4:5]
	global_load_dwordx4 v[10:13], v[48:49], off
	s_waitcnt vmcnt(3)
	v_subrev_u32_e32 v27, s12, v27
	s_waitcnt vmcnt(2)
	v_cvt_f64_f32_e32 v[56:57], v40
	s_waitcnt vmcnt(0)
	v_fmac_f64_e32 v[32:33], v[60:61], v[10:11]
	v_fmac_f64_e32 v[30:31], v[14:15], v[10:11]
	;; [unrolled: 1-line block ×8, first 2 shown]
	v_cvt_f64_f32_e32 v[14:15], v41
	v_cvt_f64_f32_e32 v[12:13], v42
	v_cvt_f64_f32_e32 v[10:11], v43
	global_load_dwordx4 v[60:63], v[38:39], off offset:2048
	v_cvt_f64_f32_e32 v[42:43], v46
	v_cvt_f64_f32_e32 v[40:41], v47
	global_load_dwordx4 v[46:49], v[48:49], off offset:16
	v_lshlrev_b32_e32 v68, 2, v27
	v_ashrrev_i32_e32 v69, 31, v68
	v_cvt_f64_f32_e32 v[58:59], v44
	v_cvt_f64_f32_e32 v[44:45], v45
	global_load_dwordx4 v[76:79], v[38:39], off offset:2080
	s_waitcnt vmcnt(2)
	v_cvt_f64_f32_e32 v[54:55], v60
	v_cvt_f64_f32_e32 v[50:51], v61
	s_waitcnt vmcnt(1)
	v_fmac_f64_e32 v[30:31], v[72:73], v[46:47]
	v_fmac_f64_e32 v[30:31], v[74:75], v[48:49]
	global_load_dwordx4 v[72:75], v[38:39], off offset:2064
	v_fmac_f64_e32 v[32:33], v[64:65], v[46:47]
	v_fmac_f64_e32 v[24:25], v[80:81], v[46:47]
	;; [unrolled: 1-line block ×3, first 2 shown]
	v_lshl_add_u64 v[80:81], v[68:69], 3, s[4:5]
	v_fmac_f64_e32 v[32:33], v[66:67], v[48:49]
	v_fmac_f64_e32 v[24:25], v[82:83], v[48:49]
	;; [unrolled: 1-line block ×3, first 2 shown]
	v_cvt_f64_f32_e32 v[48:49], v62
	v_cvt_f64_f32_e32 v[46:47], v63
	s_waitcnt vmcnt(1)
	v_cvt_f64_f32_e32 v[82:83], v76
	v_cvt_f64_f32_e32 v[84:85], v77
	;; [unrolled: 1-line block ×4, first 2 shown]
	s_waitcnt vmcnt(0)
	v_cvt_f64_f32_e32 v[66:67], v72
	v_cvt_f64_f32_e32 v[64:65], v73
	;; [unrolled: 1-line block ×4, first 2 shown]
	global_load_dwordx4 v[72:75], v[80:81], off
	s_waitcnt vmcnt(0)
	v_fmac_f64_e32 v[32:33], v[92:93], v[72:73]
	v_fmac_f64_e32 v[30:31], v[100:101], v[72:73]
	v_fmac_f64_e32 v[24:25], v[108:109], v[72:73]
	v_fmac_f64_e32 v[22:23], v[116:117], v[72:73]
	v_fmac_f64_e32 v[32:33], v[94:95], v[74:75]
	v_fmac_f64_e32 v[30:31], v[102:103], v[74:75]
	v_fmac_f64_e32 v[24:25], v[110:111], v[74:75]
	v_fmac_f64_e32 v[22:23], v[118:119], v[74:75]
	global_load_dwordx4 v[72:75], v[38:39], off offset:2096
	s_waitcnt vmcnt(0)
	v_cvt_f64_f32_e32 v[38:39], v72
	v_add_co_u32_e32 v72, vcc, s13, v36
	v_cvt_f64_f32_e32 v[88:89], v73
	s_nop 0
	v_addc_co_u32_e32 v73, vcc, 0, v37, vcc
	v_cvt_f64_f32_e32 v[90:91], v74
	v_cvt_f64_f32_e32 v[92:93], v75
	global_load_dwordx4 v[72:75], v[72:73], off
	v_cmp_ge_i32_e32 vcc, v34, v70
	v_lshl_add_u64 v[36:37], v[36:37], 0, s[18:19]
	s_or_b64 s[14:15], vcc, s[14:15]
	s_waitcnt vmcnt(0)
	v_cvt_f64_f32_e32 v[76:77], v72
	v_cvt_f64_f32_e32 v[94:95], v73
	;; [unrolled: 1-line block ×4, first 2 shown]
	global_load_dwordx4 v[72:75], v[80:81], off offset:16
	global_load_dword v27, v[52:53], off offset:256
	global_load_dword v35, v[52:53], off offset:384
	s_waitcnt vmcnt(1)
	v_subrev_u32_e32 v27, s12, v27
	v_fmac_f64_e32 v[22:23], v[120:121], v[72:73]
	v_fmac_f64_e32 v[22:23], v[8:9], v[74:75]
	v_lshlrev_b32_e32 v8, 2, v27
	v_ashrrev_i32_e32 v9, 31, v8
	v_fmac_f64_e32 v[32:33], v[96:97], v[72:73]
	v_fmac_f64_e32 v[30:31], v[104:105], v[72:73]
	v_fmac_f64_e32 v[24:25], v[112:113], v[72:73]
	v_lshl_add_u64 v[8:9], v[8:9], 3, s[4:5]
	v_fmac_f64_e32 v[32:33], v[98:99], v[74:75]
	v_fmac_f64_e32 v[30:31], v[106:107], v[74:75]
	;; [unrolled: 1-line block ×3, first 2 shown]
	global_load_dwordx4 v[72:75], v[8:9], off
	s_waitcnt vmcnt(1)
	v_subrev_u32_e32 v35, s12, v35
	v_lshlrev_b32_e32 v52, 2, v35
	v_ashrrev_i32_e32 v53, 31, v52
	v_lshl_add_u64 v[52:53], v[52:53], 3, s[4:5]
	s_waitcnt vmcnt(0)
	v_fmac_f64_e32 v[32:33], v[76:77], v[72:73]
	global_load_dwordx4 v[76:79], v[8:9], off offset:16
	v_fmac_f64_e32 v[30:31], v[6:7], v[72:73]
	v_fmac_f64_e32 v[24:25], v[56:57], v[72:73]
	v_fmac_f64_e32 v[22:23], v[58:59], v[72:73]
	global_load_dwordx4 v[56:59], v[52:53], off offset:16
	global_load_dwordx4 v[6:9], v[52:53], off
	v_fmac_f64_e32 v[32:33], v[94:95], v[74:75]
	v_fmac_f64_e32 v[30:31], v[4:5], v[74:75]
	;; [unrolled: 1-line block ×4, first 2 shown]
	s_waitcnt vmcnt(2)
	v_fmac_f64_e32 v[32:33], v[100:101], v[76:77]
	v_fmac_f64_e32 v[30:31], v[2:3], v[76:77]
	;; [unrolled: 1-line block ×8, first 2 shown]
	s_waitcnt vmcnt(0)
	v_fmac_f64_e32 v[32:33], v[54:55], v[6:7]
	v_fmac_f64_e32 v[30:31], v[66:67], v[6:7]
	;; [unrolled: 1-line block ×16, first 2 shown]
	s_andn2_b64 exec, exec, s[14:15]
	s_cbranch_execnz .LBB153_21
; %bb.22:
	s_or_b64 exec, exec, s[14:15]
.LBB153_23:
	s_or_b64 exec, exec, s[10:11]
.LBB153_24:
	s_or_b64 exec, exec, s[6:7]
	s_cbranch_execz .LBB153_26
	s_branch .LBB153_37
.LBB153_25:
                                        ; implicit-def: $vgpr22_vgpr23
                                        ; implicit-def: $vgpr24_vgpr25
                                        ; implicit-def: $vgpr30_vgpr31
                                        ; implicit-def: $vgpr32_vgpr33
.LBB153_26:
	v_mov_b64_e32 v[22:23], 0
	v_mov_b64_e32 v[24:25], 0
	;; [unrolled: 1-line block ×4, first 2 shown]
	s_and_saveexec_b64 s[6:7], s[2:3]
	s_cbranch_execz .LBB153_36
; %bb.27:
	v_add_u32_e32 v0, v71, v21
	v_subrev_u32_e32 v0, s12, v0
	v_add_u32_e32 v0, 32, v0
	v_max_i32_e32 v0, v0, v70
	v_not_b32_e32 v1, v71
	v_add3_u32 v0, s12, v0, v1
	v_sub_u32_e32 v0, v0, v21
	s_movk_i32 s2, 0x60
	v_and_b32_e32 v1, 0x60, v0
	v_cmp_ne_u32_e32 vcc, s2, v1
	v_mov_b64_e32 v[32:33], 0
	v_mov_b64_e32 v[30:31], 0
	;; [unrolled: 1-line block ×4, first 2 shown]
	s_and_saveexec_b64 s[2:3], vcc
	s_cbranch_execz .LBB153_31
; %bb.28:
	v_lshrrev_b32_e32 v1, 5, v0
	v_add_u32_e32 v1, 1, v1
	v_and_b32_e32 v1, 3, v1
	v_sub_u32_e32 v1, 0, v1
	v_mov_b64_e32 v[22:23], 0
	s_mov_b64 s[10:11], 0
	s_mov_b64 s[14:15], 0x800
	v_mov_b64_e32 v[24:25], 0
	v_mov_b64_e32 v[30:31], 0
	;; [unrolled: 1-line block ×3, first 2 shown]
.LBB153_29:                             ; =>This Inner Loop Header: Depth=1
	v_ashrrev_i32_e32 v27, 31, v26
	v_lshl_add_u64 v[14:15], v[26:27], 2, s[8:9]
	global_load_dword v27, v[14:15], off
	global_load_dwordx4 v[2:5], v[28:29], off
	global_load_dwordx4 v[6:9], v[28:29], off offset:16
	global_load_dwordx4 v[10:13], v[28:29], off offset:32
	v_add_co_u32_e32 v1, vcc, 1, v1
	v_add_u32_e32 v26, 32, v26
	s_or_b64 s[10:11], vcc, s[10:11]
	s_waitcnt vmcnt(3)
	v_subrev_u32_e32 v14, s12, v27
	v_lshlrev_b32_e32 v14, 2, v14
	v_ashrrev_i32_e32 v15, 31, v14
	s_waitcnt lgkmcnt(0)
	v_lshl_add_u64 v[14:15], v[14:15], 3, s[4:5]
	global_load_dwordx4 v[34:37], v[14:15], off offset:16
	global_load_dwordx4 v[38:41], v[14:15], off
	global_load_dwordx4 v[42:45], v[28:29], off offset:48
	s_waitcnt vmcnt(5)
	v_cvt_f64_f32_e32 v[14:15], v2
	v_cvt_f64_f32_e32 v[2:3], v3
	v_cvt_f64_f32_e32 v[46:47], v4
	v_cvt_f64_f32_e32 v[4:5], v5
	s_waitcnt vmcnt(4)
	v_cvt_f64_f32_e32 v[48:49], v6
	v_cvt_f64_f32_e32 v[6:7], v7
	v_cvt_f64_f32_e32 v[50:51], v8
	v_cvt_f64_f32_e32 v[8:9], v9
	;; [unrolled: 5-line block ×3, first 2 shown]
	v_lshl_add_u64 v[28:29], v[28:29], 0, s[14:15]
	s_waitcnt vmcnt(1)
	v_fmac_f64_e32 v[32:33], v[14:15], v[38:39]
	v_fmac_f64_e32 v[30:31], v[2:3], v[38:39]
	;; [unrolled: 1-line block ×8, first 2 shown]
	s_waitcnt vmcnt(0)
	v_cvt_f64_f32_e32 v[56:57], v42
	v_cvt_f64_f32_e32 v[42:43], v43
	;; [unrolled: 1-line block ×4, first 2 shown]
	v_fmac_f64_e32 v[32:33], v[52:53], v[34:35]
	v_fmac_f64_e32 v[30:31], v[10:11], v[34:35]
	;; [unrolled: 1-line block ×8, first 2 shown]
	s_andn2_b64 exec, exec, s[10:11]
	s_cbranch_execnz .LBB153_29
; %bb.30:
	s_or_b64 exec, exec, s[10:11]
.LBB153_31:
	s_or_b64 exec, exec, s[2:3]
	s_movk_i32 s2, 0x5f
	v_cmp_lt_u32_e32 vcc, s2, v0
	s_and_saveexec_b64 s[2:3], vcc
	s_cbranch_execz .LBB153_35
; %bb.32:
	s_mov_b64 s[10:11], 0
	s_mov_b64 s[14:15], 0x1000
	s_movk_i32 s13, 0x1000
	s_mov_b64 s[16:17], 0x2000
.LBB153_33:                             ; =>This Inner Loop Header: Depth=1
	global_load_dwordx4 v[0:3], v[28:29], off
	global_load_dwordx4 v[4:7], v[28:29], off offset:16
	global_load_dwordx4 v[8:11], v[28:29], off offset:32
	;; [unrolled: 1-line block ×6, first 2 shown]
	v_ashrrev_i32_e32 v27, 31, v26
	s_waitcnt vmcnt(6)
	v_cvt_f64_f32_e32 v[46:47], v0
	v_cvt_f64_f32_e32 v[48:49], v1
	;; [unrolled: 1-line block ×3, first 2 shown]
	s_waitcnt vmcnt(3)
	v_cvt_f64_f32_e32 v[72:73], v12
	v_cvt_f64_f32_e32 v[74:75], v13
	v_lshl_add_u64 v[12:13], v[26:27], 2, s[8:9]
	v_cvt_f64_f32_e32 v[76:77], v14
	global_load_dword v14, v[12:13], off
	global_load_dword v27, v[12:13], off offset:128
	global_load_dword v71, v[12:13], off offset:256
	;; [unrolled: 1-line block ×3, first 2 shown]
	s_waitcnt vmcnt(5)
	v_cvt_f64_f32_e32 v[88:89], v38
	v_cvt_f64_f32_e32 v[90:91], v39
	;; [unrolled: 1-line block ×7, first 2 shown]
	global_load_dwordx4 v[34:37], v[28:29], off offset:2096
	v_cvt_f64_f32_e32 v[52:53], v3
	v_cvt_f64_f32_e32 v[54:55], v4
	;; [unrolled: 1-line block ×11, first 2 shown]
	s_waitcnt vmcnt(5)
	v_cvt_f64_f32_e32 v[0:1], v42
	v_cvt_f64_f32_e32 v[2:3], v43
	;; [unrolled: 1-line block ×4, first 2 shown]
	v_add_u32_e32 v26, 0x80, v26
	s_waitcnt vmcnt(4)
	v_subrev_u32_e32 v12, s12, v14
	v_lshlrev_b32_e32 v12, 2, v12
	v_ashrrev_i32_e32 v13, 31, v12
	s_waitcnt lgkmcnt(0)
	v_lshl_add_u64 v[38:39], v[12:13], 3, s[4:5]
	global_load_dwordx4 v[12:15], v[38:39], off
	s_waitcnt vmcnt(0)
	v_fmac_f64_e32 v[32:33], v[46:47], v[12:13]
	v_fmac_f64_e32 v[30:31], v[48:49], v[12:13]
	v_fmac_f64_e32 v[24:25], v[50:51], v[12:13]
	v_fmac_f64_e32 v[22:23], v[52:53], v[12:13]
	v_fmac_f64_e32 v[32:33], v[54:55], v[14:15]
	v_fmac_f64_e32 v[30:31], v[56:57], v[14:15]
	v_fmac_f64_e32 v[24:25], v[58:59], v[14:15]
	v_fmac_f64_e32 v[22:23], v[60:61], v[14:15]
	global_load_dwordx4 v[12:15], v[38:39], off offset:16
	v_cvt_f64_f32_e32 v[46:47], v34
	v_add_co_u32_e32 v34, vcc, s13, v28
	v_cvt_f64_f32_e32 v[48:49], v35
	s_nop 0
	v_addc_co_u32_e32 v35, vcc, 0, v29, vcc
	v_cvt_f64_f32_e32 v[50:51], v36
	v_cvt_f64_f32_e32 v[52:53], v37
	global_load_dwordx4 v[34:37], v[34:35], off
	v_lshl_add_u64 v[54:55], v[28:29], 0, s[14:15]
	global_load_dwordx4 v[38:41], v[54:55], off offset:16
	global_load_dwordx4 v[42:45], v[54:55], off offset:2096
	v_cmp_ge_i32_e32 vcc, v26, v70
	v_lshl_add_u64 v[28:29], v[28:29], 0, s[16:17]
	s_or_b64 s[10:11], vcc, s[10:11]
	s_waitcnt vmcnt(3)
	v_fmac_f64_e32 v[32:33], v[62:63], v[12:13]
	v_fmac_f64_e32 v[30:31], v[64:65], v[12:13]
	v_fmac_f64_e32 v[24:25], v[66:67], v[12:13]
	v_fmac_f64_e32 v[22:23], v[68:69], v[12:13]
	v_subrev_u32_e32 v12, s12, v27
	v_lshlrev_b32_e32 v12, 2, v12
	v_ashrrev_i32_e32 v13, 31, v12
	v_lshl_add_u64 v[68:69], v[12:13], 3, s[4:5]
	v_fmac_f64_e32 v[32:33], v[72:73], v[14:15]
	v_fmac_f64_e32 v[30:31], v[74:75], v[14:15]
	;; [unrolled: 1-line block ×4, first 2 shown]
	global_load_dwordx4 v[12:15], v[68:69], off
	s_waitcnt vmcnt(3)
	v_cvt_f64_f32_e32 v[56:57], v34
	v_cvt_f64_f32_e32 v[58:59], v35
	v_cvt_f64_f32_e32 v[60:61], v36
	v_cvt_f64_f32_e32 v[62:63], v37
	global_load_dwordx4 v[34:37], v[54:55], off offset:32
	s_waitcnt vmcnt(3)
	v_cvt_f64_f32_e32 v[64:65], v38
	v_cvt_f64_f32_e32 v[38:39], v39
	;; [unrolled: 1-line block ×4, first 2 shown]
	s_waitcnt vmcnt(1)
	v_fmac_f64_e32 v[32:33], v[80:81], v[12:13]
	v_fmac_f64_e32 v[30:31], v[82:83], v[12:13]
	;; [unrolled: 1-line block ×7, first 2 shown]
	s_waitcnt vmcnt(0)
	v_cvt_f64_f32_e32 v[72:73], v34
	v_fmac_f64_e32 v[22:23], v[8:9], v[14:15]
	v_cvt_f64_f32_e32 v[14:15], v35
	v_cvt_f64_f32_e32 v[74:75], v36
	;; [unrolled: 1-line block ×3, first 2 shown]
	global_load_dwordx4 v[10:13], v[54:55], off offset:48
	global_load_dwordx4 v[34:37], v[54:55], off offset:2048
	s_waitcnt vmcnt(1)
	v_cvt_f64_f32_e32 v[76:77], v10
	v_cvt_f64_f32_e32 v[78:79], v11
	;; [unrolled: 1-line block ×4, first 2 shown]
	global_load_dwordx4 v[10:13], v[68:69], off offset:16
	s_waitcnt vmcnt(0)
	v_fmac_f64_e32 v[32:33], v[0:1], v[10:11]
	v_fmac_f64_e32 v[30:31], v[2:3], v[10:11]
	global_load_dwordx4 v[0:3], v[54:55], off offset:2064
	v_fmac_f64_e32 v[24:25], v[4:5], v[10:11]
	v_fmac_f64_e32 v[22:23], v[6:7], v[10:11]
	;; [unrolled: 1-line block ×6, first 2 shown]
	v_cvt_f64_f32_e32 v[46:47], v34
	v_cvt_f64_f32_e32 v[34:35], v35
	;; [unrolled: 1-line block ×4, first 2 shown]
	s_waitcnt vmcnt(0)
	v_cvt_f64_f32_e32 v[50:51], v0
	v_cvt_f64_f32_e32 v[52:53], v1
	;; [unrolled: 1-line block ×4, first 2 shown]
	global_load_dwordx4 v[0:3], v[54:55], off offset:2080
	s_waitcnt vmcnt(0)
	v_cvt_f64_f32_e32 v[54:55], v0
	v_subrev_u32_e32 v0, s12, v71
	v_lshlrev_b32_e32 v0, 2, v0
	v_cvt_f64_f32_e32 v[86:87], v1
	v_ashrrev_i32_e32 v1, 31, v0
	v_lshl_add_u64 v[4:5], v[0:1], 3, s[4:5]
	v_cvt_f64_f32_e32 v[88:89], v2
	v_cvt_f64_f32_e32 v[90:91], v3
	global_load_dwordx4 v[0:3], v[4:5], off
	s_waitcnt vmcnt(0)
	v_fmac_f64_e32 v[32:33], v[56:57], v[0:1]
	v_fmac_f64_e32 v[30:31], v[58:59], v[0:1]
	v_fmac_f64_e32 v[24:25], v[60:61], v[0:1]
	v_fmac_f64_e32 v[22:23], v[62:63], v[0:1]
	v_subrev_u32_e32 v0, s12, v92
	v_lshlrev_b32_e32 v0, 2, v0
	v_ashrrev_i32_e32 v1, 31, v0
	v_fmac_f64_e32 v[32:33], v[64:65], v[2:3]
	v_fmac_f64_e32 v[30:31], v[38:39], v[2:3]
	;; [unrolled: 1-line block ×4, first 2 shown]
	v_lshl_add_u64 v[10:11], v[0:1], 3, s[4:5]
	global_load_dwordx4 v[0:3], v[4:5], off offset:16
	v_cvt_f64_f32_e32 v[38:39], v42
	global_load_dwordx4 v[4:7], v[10:11], off
	v_cvt_f64_f32_e32 v[40:41], v43
	global_load_dwordx4 v[10:13], v[10:11], off offset:16
	v_cvt_f64_f32_e32 v[42:43], v44
	v_cvt_f64_f32_e32 v[44:45], v45
	s_waitcnt vmcnt(2)
	v_fmac_f64_e32 v[32:33], v[72:73], v[0:1]
	v_fmac_f64_e32 v[30:31], v[14:15], v[0:1]
	v_fmac_f64_e32 v[24:25], v[74:75], v[0:1]
	v_fmac_f64_e32 v[22:23], v[8:9], v[0:1]
	v_fmac_f64_e32 v[32:33], v[76:77], v[2:3]
	v_fmac_f64_e32 v[30:31], v[78:79], v[2:3]
	v_fmac_f64_e32 v[24:25], v[80:81], v[2:3]
	v_fmac_f64_e32 v[22:23], v[82:83], v[2:3]
	s_waitcnt vmcnt(1)
	v_fmac_f64_e32 v[32:33], v[46:47], v[4:5]
	v_fmac_f64_e32 v[30:31], v[34:35], v[4:5]
	v_fmac_f64_e32 v[24:25], v[48:49], v[4:5]
	v_fmac_f64_e32 v[22:23], v[36:37], v[4:5]
	v_fmac_f64_e32 v[32:33], v[50:51], v[6:7]
	v_fmac_f64_e32 v[30:31], v[52:53], v[6:7]
	v_fmac_f64_e32 v[24:25], v[68:69], v[6:7]
	v_fmac_f64_e32 v[22:23], v[84:85], v[6:7]
	;; [unrolled: 9-line block ×3, first 2 shown]
	s_andn2_b64 exec, exec, s[10:11]
	s_cbranch_execnz .LBB153_33
; %bb.34:
	s_or_b64 exec, exec, s[10:11]
.LBB153_35:
	s_or_b64 exec, exec, s[2:3]
.LBB153_36:
	s_or_b64 exec, exec, s[6:7]
.LBB153_37:
	v_mov_b32_dpp v0, v32 row_shr:1 row_mask:0xf bank_mask:0xf
	v_mov_b32_dpp v1, v33 row_shr:1 row_mask:0xf bank_mask:0xf
	v_mov_b32_dpp v4, v30 row_shr:1 row_mask:0xf bank_mask:0xf
	v_mov_b32_dpp v5, v31 row_shr:1 row_mask:0xf bank_mask:0xf
	v_mov_b32_dpp v8, v24 row_shr:1 row_mask:0xf bank_mask:0xf
	v_mov_b32_dpp v9, v25 row_shr:1 row_mask:0xf bank_mask:0xf
	v_mov_b32_dpp v12, v22 row_shr:1 row_mask:0xf bank_mask:0xf
	v_mov_b32_dpp v13, v23 row_shr:1 row_mask:0xf bank_mask:0xf
	v_add_f64 v[0:1], v[32:33], v[0:1]
	v_add_f64 v[4:5], v[30:31], v[4:5]
	v_add_f64 v[8:9], v[24:25], v[8:9]
	v_add_f64 v[12:13], v[22:23], v[12:13]
	v_mov_b32_dpp v2, v0 row_shr:2 row_mask:0xf bank_mask:0xf
	v_mov_b32_dpp v3, v1 row_shr:2 row_mask:0xf bank_mask:0xf
	v_mov_b32_dpp v6, v4 row_shr:2 row_mask:0xf bank_mask:0xf
	v_mov_b32_dpp v7, v5 row_shr:2 row_mask:0xf bank_mask:0xf
	v_mov_b32_dpp v10, v8 row_shr:2 row_mask:0xf bank_mask:0xf
	v_mov_b32_dpp v11, v9 row_shr:2 row_mask:0xf bank_mask:0xf
	v_mov_b32_dpp v14, v12 row_shr:2 row_mask:0xf bank_mask:0xf
	v_mov_b32_dpp v15, v13 row_shr:2 row_mask:0xf bank_mask:0xf
	v_add_f64 v[0:1], v[0:1], v[2:3]
	v_add_f64 v[4:5], v[4:5], v[6:7]
	v_add_f64 v[8:9], v[8:9], v[10:11]
	v_add_f64 v[12:13], v[12:13], v[14:15]
	;; [unrolled: 12-line block ×4, first 2 shown]
	v_mov_b32_dpp v2, v0 row_bcast:15 row_mask:0xa bank_mask:0xf
	v_mov_b32_dpp v3, v1 row_bcast:15 row_mask:0xa bank_mask:0xf
	;; [unrolled: 1-line block ×8, first 2 shown]
	v_cmp_eq_u32_e32 vcc, 31, v21
	s_and_b64 exec, exec, vcc
	s_cbranch_execz .LBB153_10
; %bb.38:
	s_load_dwordx2 s[0:1], s[0:1], 0x50
	v_add_f64 v[0:1], v[0:1], v[2:3]
	v_add_f64 v[2:3], v[4:5], v[6:7]
	;; [unrolled: 1-line block ×4, first 2 shown]
	v_cmp_eq_f64_e32 vcc, 0, v[16:17]
	v_mul_f64 v[4:5], v[18:19], v[0:1]
	v_mul_f64 v[6:7], v[18:19], v[2:3]
	v_mul_f64 v[0:1], v[18:19], v[8:9]
	v_mul_f64 v[2:3], v[18:19], v[10:11]
	v_lshlrev_b32_e32 v8, 2, v20
	s_and_saveexec_b64 s[2:3], vcc
	s_xor_b64 s[2:3], exec, s[2:3]
	s_cbranch_execz .LBB153_40
; %bb.39:
	v_ashrrev_i32_e32 v9, 31, v8
	s_waitcnt lgkmcnt(0)
	v_lshl_add_u64 v[8:9], v[8:9], 3, s[0:1]
	global_store_dwordx4 v[8:9], v[4:7], off
	global_store_dwordx4 v[8:9], v[0:3], off offset:16
                                        ; implicit-def: $vgpr8
                                        ; implicit-def: $vgpr16_vgpr17
                                        ; implicit-def: $vgpr4_vgpr5
                                        ; implicit-def: $vgpr0_vgpr1
.LBB153_40:
	s_andn2_saveexec_b64 s[2:3], s[2:3]
	s_cbranch_execz .LBB153_10
; %bb.41:
	v_ashrrev_i32_e32 v9, 31, v8
	s_waitcnt lgkmcnt(0)
	v_lshl_add_u64 v[18:19], v[8:9], 3, s[0:1]
	global_load_dwordx4 v[8:11], v[18:19], off
	global_load_dwordx4 v[12:15], v[18:19], off offset:16
	s_waitcnt vmcnt(1)
	v_fmac_f64_e32 v[4:5], v[16:17], v[8:9]
	v_fmac_f64_e32 v[6:7], v[16:17], v[10:11]
	s_waitcnt vmcnt(0)
	v_fmac_f64_e32 v[0:1], v[16:17], v[12:13]
	v_fmac_f64_e32 v[2:3], v[16:17], v[14:15]
	global_store_dwordx4 v[18:19], v[4:7], off
	global_store_dwordx4 v[18:19], v[0:3], off offset:16
	s_endpgm
	.section	.rodata,"a",@progbits
	.p2align	6, 0x0
	.amdhsa_kernel _ZN9rocsparseL18bsrxmvn_4x4_kernelILj128ELj32EdiifddEEvT3_20rocsparse_direction_NS_24const_host_device_scalarIT1_EES1_PKS1_PKT2_SA_S7_PKT4_PKT5_S5_PT6_21rocsparse_index_base_b
		.amdhsa_group_segment_fixed_size 0
		.amdhsa_private_segment_fixed_size 0
		.amdhsa_kernarg_size 96
		.amdhsa_user_sgpr_count 2
		.amdhsa_user_sgpr_dispatch_ptr 0
		.amdhsa_user_sgpr_queue_ptr 0
		.amdhsa_user_sgpr_kernarg_segment_ptr 1
		.amdhsa_user_sgpr_dispatch_id 0
		.amdhsa_user_sgpr_kernarg_preload_length 0
		.amdhsa_user_sgpr_kernarg_preload_offset 0
		.amdhsa_user_sgpr_private_segment_size 0
		.amdhsa_uses_dynamic_stack 0
		.amdhsa_enable_private_segment 0
		.amdhsa_system_sgpr_workgroup_id_x 1
		.amdhsa_system_sgpr_workgroup_id_y 0
		.amdhsa_system_sgpr_workgroup_id_z 0
		.amdhsa_system_sgpr_workgroup_info 0
		.amdhsa_system_vgpr_workitem_id 0
		.amdhsa_next_free_vgpr 122
		.amdhsa_next_free_sgpr 20
		.amdhsa_accum_offset 124
		.amdhsa_reserve_vcc 1
		.amdhsa_float_round_mode_32 0
		.amdhsa_float_round_mode_16_64 0
		.amdhsa_float_denorm_mode_32 3
		.amdhsa_float_denorm_mode_16_64 3
		.amdhsa_dx10_clamp 1
		.amdhsa_ieee_mode 1
		.amdhsa_fp16_overflow 0
		.amdhsa_tg_split 0
		.amdhsa_exception_fp_ieee_invalid_op 0
		.amdhsa_exception_fp_denorm_src 0
		.amdhsa_exception_fp_ieee_div_zero 0
		.amdhsa_exception_fp_ieee_overflow 0
		.amdhsa_exception_fp_ieee_underflow 0
		.amdhsa_exception_fp_ieee_inexact 0
		.amdhsa_exception_int_div_zero 0
	.end_amdhsa_kernel
	.section	.text._ZN9rocsparseL18bsrxmvn_4x4_kernelILj128ELj32EdiifddEEvT3_20rocsparse_direction_NS_24const_host_device_scalarIT1_EES1_PKS1_PKT2_SA_S7_PKT4_PKT5_S5_PT6_21rocsparse_index_base_b,"axG",@progbits,_ZN9rocsparseL18bsrxmvn_4x4_kernelILj128ELj32EdiifddEEvT3_20rocsparse_direction_NS_24const_host_device_scalarIT1_EES1_PKS1_PKT2_SA_S7_PKT4_PKT5_S5_PT6_21rocsparse_index_base_b,comdat
.Lfunc_end153:
	.size	_ZN9rocsparseL18bsrxmvn_4x4_kernelILj128ELj32EdiifddEEvT3_20rocsparse_direction_NS_24const_host_device_scalarIT1_EES1_PKS1_PKT2_SA_S7_PKT4_PKT5_S5_PT6_21rocsparse_index_base_b, .Lfunc_end153-_ZN9rocsparseL18bsrxmvn_4x4_kernelILj128ELj32EdiifddEEvT3_20rocsparse_direction_NS_24const_host_device_scalarIT1_EES1_PKS1_PKT2_SA_S7_PKT4_PKT5_S5_PT6_21rocsparse_index_base_b
                                        ; -- End function
	.set _ZN9rocsparseL18bsrxmvn_4x4_kernelILj128ELj32EdiifddEEvT3_20rocsparse_direction_NS_24const_host_device_scalarIT1_EES1_PKS1_PKT2_SA_S7_PKT4_PKT5_S5_PT6_21rocsparse_index_base_b.num_vgpr, 122
	.set _ZN9rocsparseL18bsrxmvn_4x4_kernelILj128ELj32EdiifddEEvT3_20rocsparse_direction_NS_24const_host_device_scalarIT1_EES1_PKS1_PKT2_SA_S7_PKT4_PKT5_S5_PT6_21rocsparse_index_base_b.num_agpr, 0
	.set _ZN9rocsparseL18bsrxmvn_4x4_kernelILj128ELj32EdiifddEEvT3_20rocsparse_direction_NS_24const_host_device_scalarIT1_EES1_PKS1_PKT2_SA_S7_PKT4_PKT5_S5_PT6_21rocsparse_index_base_b.numbered_sgpr, 20
	.set _ZN9rocsparseL18bsrxmvn_4x4_kernelILj128ELj32EdiifddEEvT3_20rocsparse_direction_NS_24const_host_device_scalarIT1_EES1_PKS1_PKT2_SA_S7_PKT4_PKT5_S5_PT6_21rocsparse_index_base_b.num_named_barrier, 0
	.set _ZN9rocsparseL18bsrxmvn_4x4_kernelILj128ELj32EdiifddEEvT3_20rocsparse_direction_NS_24const_host_device_scalarIT1_EES1_PKS1_PKT2_SA_S7_PKT4_PKT5_S5_PT6_21rocsparse_index_base_b.private_seg_size, 0
	.set _ZN9rocsparseL18bsrxmvn_4x4_kernelILj128ELj32EdiifddEEvT3_20rocsparse_direction_NS_24const_host_device_scalarIT1_EES1_PKS1_PKT2_SA_S7_PKT4_PKT5_S5_PT6_21rocsparse_index_base_b.uses_vcc, 1
	.set _ZN9rocsparseL18bsrxmvn_4x4_kernelILj128ELj32EdiifddEEvT3_20rocsparse_direction_NS_24const_host_device_scalarIT1_EES1_PKS1_PKT2_SA_S7_PKT4_PKT5_S5_PT6_21rocsparse_index_base_b.uses_flat_scratch, 0
	.set _ZN9rocsparseL18bsrxmvn_4x4_kernelILj128ELj32EdiifddEEvT3_20rocsparse_direction_NS_24const_host_device_scalarIT1_EES1_PKS1_PKT2_SA_S7_PKT4_PKT5_S5_PT6_21rocsparse_index_base_b.has_dyn_sized_stack, 0
	.set _ZN9rocsparseL18bsrxmvn_4x4_kernelILj128ELj32EdiifddEEvT3_20rocsparse_direction_NS_24const_host_device_scalarIT1_EES1_PKS1_PKT2_SA_S7_PKT4_PKT5_S5_PT6_21rocsparse_index_base_b.has_recursion, 0
	.set _ZN9rocsparseL18bsrxmvn_4x4_kernelILj128ELj32EdiifddEEvT3_20rocsparse_direction_NS_24const_host_device_scalarIT1_EES1_PKS1_PKT2_SA_S7_PKT4_PKT5_S5_PT6_21rocsparse_index_base_b.has_indirect_call, 0
	.section	.AMDGPU.csdata,"",@progbits
; Kernel info:
; codeLenInByte = 4000
; TotalNumSgprs: 26
; NumVgprs: 122
; NumAgprs: 0
; TotalNumVgprs: 122
; ScratchSize: 0
; MemoryBound: 0
; FloatMode: 240
; IeeeMode: 1
; LDSByteSize: 0 bytes/workgroup (compile time only)
; SGPRBlocks: 3
; VGPRBlocks: 15
; NumSGPRsForWavesPerEU: 26
; NumVGPRsForWavesPerEU: 122
; AccumOffset: 124
; Occupancy: 4
; WaveLimiterHint : 1
; COMPUTE_PGM_RSRC2:SCRATCH_EN: 0
; COMPUTE_PGM_RSRC2:USER_SGPR: 2
; COMPUTE_PGM_RSRC2:TRAP_HANDLER: 0
; COMPUTE_PGM_RSRC2:TGID_X_EN: 1
; COMPUTE_PGM_RSRC2:TGID_Y_EN: 0
; COMPUTE_PGM_RSRC2:TGID_Z_EN: 0
; COMPUTE_PGM_RSRC2:TIDIG_COMP_CNT: 0
; COMPUTE_PGM_RSRC3_GFX90A:ACCUM_OFFSET: 30
; COMPUTE_PGM_RSRC3_GFX90A:TG_SPLIT: 0
	.section	.text._ZN9rocsparseL18bsrxmvn_4x4_kernelILj128ELj64EdiifddEEvT3_20rocsparse_direction_NS_24const_host_device_scalarIT1_EES1_PKS1_PKT2_SA_S7_PKT4_PKT5_S5_PT6_21rocsparse_index_base_b,"axG",@progbits,_ZN9rocsparseL18bsrxmvn_4x4_kernelILj128ELj64EdiifddEEvT3_20rocsparse_direction_NS_24const_host_device_scalarIT1_EES1_PKS1_PKT2_SA_S7_PKT4_PKT5_S5_PT6_21rocsparse_index_base_b,comdat
	.globl	_ZN9rocsparseL18bsrxmvn_4x4_kernelILj128ELj64EdiifddEEvT3_20rocsparse_direction_NS_24const_host_device_scalarIT1_EES1_PKS1_PKT2_SA_S7_PKT4_PKT5_S5_PT6_21rocsparse_index_base_b ; -- Begin function _ZN9rocsparseL18bsrxmvn_4x4_kernelILj128ELj64EdiifddEEvT3_20rocsparse_direction_NS_24const_host_device_scalarIT1_EES1_PKS1_PKT2_SA_S7_PKT4_PKT5_S5_PT6_21rocsparse_index_base_b
	.p2align	8
	.type	_ZN9rocsparseL18bsrxmvn_4x4_kernelILj128ELj64EdiifddEEvT3_20rocsparse_direction_NS_24const_host_device_scalarIT1_EES1_PKS1_PKT2_SA_S7_PKT4_PKT5_S5_PT6_21rocsparse_index_base_b,@function
_ZN9rocsparseL18bsrxmvn_4x4_kernelILj128ELj64EdiifddEEvT3_20rocsparse_direction_NS_24const_host_device_scalarIT1_EES1_PKS1_PKT2_SA_S7_PKT4_PKT5_S5_PT6_21rocsparse_index_base_b: ; @_ZN9rocsparseL18bsrxmvn_4x4_kernelILj128ELj64EdiifddEEvT3_20rocsparse_direction_NS_24const_host_device_scalarIT1_EES1_PKS1_PKT2_SA_S7_PKT4_PKT5_S5_PT6_21rocsparse_index_base_b
; %bb.0:
	s_load_dwordx2 s[12:13], s[0:1], 0x58
	s_load_dwordx2 s[8:9], s[0:1], 0x8
	s_load_dwordx2 s[4:5], s[0:1], 0x48
	s_waitcnt lgkmcnt(0)
	s_bitcmp1_b32 s13, 0
	s_cselect_b64 s[10:11], -1, 0
	s_xor_b64 s[6:7], s[10:11], -1
	s_and_b64 vcc, exec, s[10:11]
	v_mov_b64_e32 v[18:19], s[8:9]
	s_cbranch_vccnz .LBB154_2
; %bb.1:
	v_mov_b64_e32 v[2:3], s[8:9]
	flat_load_dwordx2 v[18:19], v[2:3]
.LBB154_2:
	s_andn2_b64 vcc, exec, s[6:7]
	v_mov_b64_e32 v[16:17], s[4:5]
	s_cbranch_vccnz .LBB154_4
; %bb.3:
	v_mov_b64_e32 v[2:3], s[4:5]
	flat_load_dwordx2 v[16:17], v[2:3]
.LBB154_4:
	s_waitcnt vmcnt(0) lgkmcnt(0)
	v_cmp_neq_f64_e32 vcc, 0, v[18:19]
	v_cmp_neq_f64_e64 s[4:5], 1.0, v[16:17]
	s_mov_b64 s[6:7], 0
	s_or_b64 s[4:5], vcc, s[4:5]
	s_and_saveexec_b64 s[8:9], s[4:5]
	s_cbranch_execz .LBB154_10
; %bb.5:
	s_load_dwordx2 s[4:5], s[0:1], 0x18
	s_load_dwordx2 s[14:15], s[0:1], 0x0
	v_lshrrev_b32_e32 v1, 6, v0
	v_lshl_or_b32 v20, s2, 1, v1
	s_mov_b64 s[2:3], 0
	s_waitcnt lgkmcnt(0)
	s_cmp_lg_u64 s[4:5], 0
	s_cbranch_scc0 .LBB154_11
; %bb.6:
	s_load_dword s6, s[0:1], 0x10
                                        ; implicit-def: $vgpr1
	s_waitcnt lgkmcnt(0)
	v_cmp_gt_i32_e32 vcc, s6, v20
	s_and_saveexec_b64 s[6:7], vcc
	s_xor_b64 s[6:7], exec, s[6:7]
	s_cbranch_execz .LBB154_8
; %bb.7:
	v_ashrrev_i32_e32 v21, 31, v20
	v_lshl_add_u64 v[2:3], v[20:21], 2, s[4:5]
	global_load_dword v1, v[2:3], off
	s_mov_b64 s[2:3], exec
	s_waitcnt vmcnt(0)
	v_subrev_u32_e32 v1, s12, v1
.LBB154_8:
	s_or_b64 exec, exec, s[6:7]
	s_mov_b64 s[6:7], s[2:3]
	s_branch .LBB154_12
.LBB154_9:
	v_cmp_gt_i32_e32 vcc, s14, v20
	s_andn2_b64 s[2:3], s[6:7], exec
	s_and_b64 s[4:5], vcc, exec
	s_or_b64 s[6:7], s[2:3], s[4:5]
	s_and_b64 exec, exec, s[6:7]
	s_cbranch_execnz .LBB154_13
.LBB154_10:
	s_endpgm
.LBB154_11:
                                        ; implicit-def: $vgpr1
	s_cbranch_execnz .LBB154_9
.LBB154_12:
	v_mov_b32_e32 v20, v1
	s_and_b64 exec, exec, s[6:7]
	s_cbranch_execz .LBB154_10
.LBB154_13:
	s_load_dwordx8 s[4:11], s[0:1], 0x20
	v_ashrrev_i32_e32 v21, 31, v20
	v_lshlrev_b64 v[2:3], 2, v[20:21]
	v_and_b32_e32 v21, 63, v0
	s_waitcnt lgkmcnt(0)
	v_lshl_add_u64 v[4:5], s[4:5], 0, v[2:3]
	s_cmp_eq_u64 s[6:7], 0
	global_load_dword v85, v[4:5], off
	v_lshl_add_u64 v[4:5], v[4:5], 0, 4
	v_lshl_add_u64 v[2:3], s[6:7], 0, v[2:3]
	s_cselect_b64 vcc, -1, 0
	v_cndmask_b32_e32 v3, v3, v5, vcc
	v_cndmask_b32_e32 v2, v2, v4, vcc
	global_load_dword v1, v[2:3], off
	s_load_dwordx2 s[4:5], s[0:1], 0x40
	s_cmp_eq_u32 s15, 1
	s_waitcnt vmcnt(1)
	v_subrev_u32_e32 v0, s12, v85
	v_add_u32_e32 v26, v0, v21
	v_ashrrev_i32_e32 v27, 31, v26
	s_waitcnt vmcnt(0)
	v_subrev_u32_e32 v84, s12, v1
	v_lshlrev_b64 v[0:1], 6, v[26:27]
	v_lshl_add_u64 v[28:29], s[10:11], 0, v[0:1]
	v_cmp_lt_i32_e64 s[2:3], v26, v84
	s_cbranch_scc1 .LBB154_25
; %bb.14:
	v_mov_b64_e32 v[22:23], 0
	v_mov_b64_e32 v[24:25], 0
	;; [unrolled: 1-line block ×4, first 2 shown]
	s_and_saveexec_b64 s[6:7], s[2:3]
	s_cbranch_execz .LBB154_24
; %bb.15:
	v_add_u32_e32 v0, v85, v21
	v_subrev_u32_e32 v0, s12, v0
	v_add_u32_e32 v0, 64, v0
	v_max_i32_e32 v0, v0, v84
	v_not_b32_e32 v1, v85
	v_add3_u32 v0, s12, v0, v1
	v_sub_u32_e32 v0, v0, v21
	s_movk_i32 s10, 0xc0
	v_and_b32_e32 v1, 0xc0, v0
	v_cmp_ne_u32_e32 vcc, s10, v1
	v_mov_b64_e32 v[32:33], 0
	v_mov_b64_e32 v[30:31], 0
	;; [unrolled: 1-line block ×4, first 2 shown]
	v_mov_b32_e32 v34, v26
	v_mov_b64_e32 v[36:37], v[28:29]
	s_and_saveexec_b64 s[10:11], vcc
	s_cbranch_execz .LBB154_19
; %bb.16:
	v_lshrrev_b32_e32 v1, 6, v0
	v_add_u32_e32 v1, 1, v1
	v_and_b32_e32 v1, 3, v1
	v_sub_u32_e32 v1, 0, v1
	v_mov_b64_e32 v[22:23], 0
	s_mov_b64 s[14:15], 0
	s_mov_b64 s[16:17], 0x1000
	v_mov_b64_e32 v[36:37], v[28:29]
	v_mov_b32_e32 v34, v26
	v_mov_b64_e32 v[24:25], 0
	v_mov_b64_e32 v[30:31], 0
	;; [unrolled: 1-line block ×3, first 2 shown]
.LBB154_17:                             ; =>This Inner Loop Header: Depth=1
	v_ashrrev_i32_e32 v35, 31, v34
	v_lshl_add_u64 v[14:15], v[34:35], 2, s[8:9]
	global_load_dword v27, v[14:15], off
	global_load_dwordx4 v[2:5], v[36:37], off
	global_load_dwordx4 v[6:9], v[36:37], off offset:16
	global_load_dwordx4 v[10:13], v[36:37], off offset:32
	;; [unrolled: 1-line block ×3, first 2 shown]
	v_add_co_u32_e32 v1, vcc, 1, v1
	v_lshl_add_u64 v[36:37], v[36:37], 0, s[16:17]
	v_add_u32_e32 v34, 64, v34
	s_or_b64 s[14:15], vcc, s[14:15]
	s_waitcnt vmcnt(4)
	v_subrev_u32_e32 v14, s12, v27
	v_lshlrev_b32_e32 v14, 2, v14
	v_ashrrev_i32_e32 v15, 31, v14
	s_waitcnt lgkmcnt(0)
	v_lshl_add_u64 v[14:15], v[14:15], 3, s[4:5]
	global_load_dwordx4 v[42:45], v[14:15], off
	global_load_dwordx4 v[46:49], v[14:15], off offset:16
	s_waitcnt vmcnt(5)
	v_cvt_f64_f32_e32 v[14:15], v2
	s_waitcnt vmcnt(4)
	v_cvt_f64_f32_e32 v[52:53], v6
	;; [unrolled: 2-line block ×4, first 2 shown]
	v_cvt_f64_f32_e32 v[2:3], v3
	v_cvt_f64_f32_e32 v[6:7], v7
	;; [unrolled: 1-line block ×12, first 2 shown]
	s_waitcnt vmcnt(1)
	v_fmac_f64_e32 v[32:33], v[14:15], v[42:43]
	v_fmac_f64_e32 v[30:31], v[52:53], v[42:43]
	;; [unrolled: 1-line block ×8, first 2 shown]
	s_waitcnt vmcnt(0)
	v_fmac_f64_e32 v[32:33], v[50:51], v[46:47]
	v_fmac_f64_e32 v[30:31], v[54:55], v[46:47]
	;; [unrolled: 1-line block ×8, first 2 shown]
	s_andn2_b64 exec, exec, s[14:15]
	s_cbranch_execnz .LBB154_17
; %bb.18:
	s_or_b64 exec, exec, s[14:15]
.LBB154_19:
	s_or_b64 exec, exec, s[10:11]
	s_movk_i32 s10, 0xbf
	v_cmp_lt_u32_e32 vcc, s10, v0
	s_and_saveexec_b64 s[10:11], vcc
	s_cbranch_execz .LBB154_23
; %bb.20:
	s_mov_b64 s[14:15], 0
	s_mov_b64 s[16:17], 0x1000
	;; [unrolled: 1-line block ×3, first 2 shown]
	s_movk_i32 s13, 0x2000
	s_mov_b64 s[20:21], 0x3000
	s_movk_i32 s24, 0x3000
	s_mov_b64 s[22:23], 0x4000
.LBB154_21:                             ; =>This Inner Loop Header: Depth=1
	v_ashrrev_i32_e32 v35, 31, v34
	v_lshl_add_u64 v[58:59], v[36:37], 0, s[16:17]
	v_lshl_add_u64 v[66:67], v[34:35], 2, s[8:9]
	global_load_dwordx4 v[12:15], v[36:37], off
	global_load_dwordx4 v[8:11], v[36:37], off offset:16
	global_load_dwordx4 v[4:7], v[36:37], off offset:32
	;; [unrolled: 1-line block ×3, first 2 shown]
	v_lshl_add_u64 v[60:61], v[36:37], 0, s[18:19]
	global_load_dwordx4 v[38:41], v[58:59], off offset:16
	global_load_dwordx4 v[42:45], v[58:59], off offset:32
	;; [unrolled: 1-line block ×5, first 2 shown]
	global_load_dword v27, v[66:67], off
	v_add_u32_e32 v34, 0x100, v34
	s_waitcnt vmcnt(9)
	v_cvt_f64_f32_e32 v[58:59], v12
	s_waitcnt vmcnt(5)
	v_cvt_f64_f32_e32 v[68:69], v40
	v_cvt_f64_f32_e32 v[64:65], v41
	s_waitcnt vmcnt(4)
	v_cvt_f64_f32_e32 v[110:111], v42
	v_cvt_f64_f32_e32 v[112:113], v43
	;; [unrolled: 1-line block ×3, first 2 shown]
	s_waitcnt vmcnt(0)
	v_subrev_u32_e32 v27, s12, v27
	v_lshlrev_b32_e32 v40, 2, v27
	v_ashrrev_i32_e32 v41, 31, v40
	s_waitcnt lgkmcnt(0)
	v_lshl_add_u64 v[118:119], v[40:41], 3, s[4:5]
	global_load_dwordx4 v[40:43], v[118:119], off
	v_cvt_f64_f32_e32 v[80:81], v8
	v_cvt_f64_f32_e32 v[82:83], v9
	;; [unrolled: 1-line block ×9, first 2 shown]
	global_load_dwordx4 v[44:47], v[60:61], off offset:48
	v_cvt_f64_f32_e32 v[98:99], v0
	v_cvt_f64_f32_e32 v[62:63], v13
	;; [unrolled: 1-line block ×3, first 2 shown]
	global_load_dword v27, v[66:67], off offset:256
	v_cvt_f64_f32_e32 v[72:73], v14
	v_cvt_f64_f32_e32 v[76:77], v15
	;; [unrolled: 1-line block ×18, first 2 shown]
	s_waitcnt vmcnt(2)
	v_fmac_f64_e32 v[24:25], v[90:91], v[40:41]
	v_lshl_add_u64 v[90:91], v[36:37], 0, s[20:21]
	v_fmac_f64_e32 v[32:33], v[58:59], v[40:41]
	global_load_dwordx4 v[56:59], v[90:91], off offset:16
	v_fmac_f64_e32 v[30:31], v[80:81], v[40:41]
	v_fmac_f64_e32 v[22:23], v[98:99], v[40:41]
	;; [unrolled: 1-line block ×6, first 2 shown]
	s_waitcnt vmcnt(2)
	v_cvt_f64_f32_e32 v[54:55], v44
	v_cvt_f64_f32_e32 v[52:53], v45
	global_load_dwordx4 v[80:83], v[90:91], off offset:32
	v_cvt_f64_f32_e32 v[50:51], v46
	s_waitcnt vmcnt(2)
	v_subrev_u32_e32 v27, s12, v27
	v_cvt_f64_f32_e32 v[46:47], v47
	global_load_dwordx4 v[90:93], v[90:91], off offset:48
	s_waitcnt vmcnt(2)
	v_cvt_f64_f32_e32 v[48:49], v56
	v_cvt_f64_f32_e32 v[44:45], v57
	;; [unrolled: 1-line block ×4, first 2 shown]
	global_load_dwordx4 v[56:59], v[118:119], off offset:16
	s_waitcnt vmcnt(2)
	v_cvt_f64_f32_e32 v[62:63], v80
	v_cvt_f64_f32_e32 v[60:61], v81
	s_waitcnt vmcnt(0)
	v_fmac_f64_e32 v[32:33], v[72:73], v[56:57]
	v_fmac_f64_e32 v[24:25], v[94:95], v[56:57]
	v_add_co_u32_e32 v94, vcc, s13, v36
	v_lshlrev_b32_e32 v72, 2, v27
	v_fmac_f64_e32 v[30:31], v[86:87], v[56:57]
	v_addc_co_u32_e32 v95, vcc, 0, v37, vcc
	v_ashrrev_i32_e32 v73, 31, v72
	v_fmac_f64_e32 v[22:23], v[102:103], v[56:57]
	v_fmac_f64_e32 v[30:31], v[88:89], v[58:59]
	;; [unrolled: 1-line block ×3, first 2 shown]
	v_lshl_add_u64 v[96:97], v[72:73], 3, s[4:5]
	global_load_dwordx4 v[86:89], v[94:95], off offset:-4096
	v_fmac_f64_e32 v[32:33], v[76:77], v[58:59]
	v_fmac_f64_e32 v[22:23], v[104:105], v[58:59]
	v_cvt_f64_f32_e32 v[58:59], v82
	v_cvt_f64_f32_e32 v[56:57], v83
	global_load_dwordx4 v[80:83], v[96:97], off
	v_cvt_f64_f32_e32 v[76:77], v92
	s_waitcnt vmcnt(1)
	v_cvt_f64_f32_e32 v[72:73], v86
	s_waitcnt vmcnt(0)
	v_fmac_f64_e32 v[32:33], v[72:73], v[80:81]
	v_fmac_f64_e32 v[30:31], v[106:107], v[80:81]
	;; [unrolled: 1-line block ×4, first 2 shown]
	v_cvt_f64_f32_e32 v[72:73], v87
	v_fmac_f64_e32 v[32:33], v[72:73], v[82:83]
	v_fmac_f64_e32 v[30:31], v[108:109], v[82:83]
	;; [unrolled: 1-line block ×4, first 2 shown]
	v_cvt_f64_f32_e32 v[82:83], v90
	v_cvt_f64_f32_e32 v[80:81], v91
	;; [unrolled: 1-line block ×5, first 2 shown]
	global_load_dwordx4 v[86:89], v[94:95], off
	s_waitcnt vmcnt(0)
	v_cvt_f64_f32_e32 v[94:95], v86
	v_add_co_u32_e32 v86, vcc, s24, v36
	v_cvt_f64_f32_e32 v[98:99], v87
	s_nop 0
	v_addc_co_u32_e32 v87, vcc, 0, v37, vcc
	v_cvt_f64_f32_e32 v[100:101], v88
	v_cvt_f64_f32_e32 v[102:103], v89
	global_load_dwordx4 v[86:89], v[86:87], off
	v_cmp_ge_i32_e32 vcc, v34, v84
	v_lshl_add_u64 v[36:37], v[36:37], 0, s[22:23]
	s_or_b64 s[14:15], vcc, s[14:15]
	s_waitcnt vmcnt(0)
	v_cvt_f64_f32_e32 v[104:105], v86
	v_cvt_f64_f32_e32 v[106:107], v87
	;; [unrolled: 1-line block ×4, first 2 shown]
	global_load_dwordx4 v[86:89], v[96:97], off offset:16
	global_load_dword v27, v[66:67], off offset:512
	global_load_dword v35, v[66:67], off offset:768
	s_waitcnt vmcnt(1)
	v_subrev_u32_e32 v27, s12, v27
	v_fmac_f64_e32 v[22:23], v[78:79], v[86:87]
	v_fmac_f64_e32 v[30:31], v[68:69], v[86:87]
	s_waitcnt vmcnt(0)
	v_subrev_u32_e32 v35, s12, v35
	v_fmac_f64_e32 v[22:23], v[38:39], v[88:89]
	v_lshlrev_b32_e32 v38, 2, v27
	v_fmac_f64_e32 v[30:31], v[64:65], v[88:89]
	v_lshlrev_b32_e32 v64, 2, v35
	v_ashrrev_i32_e32 v39, 31, v38
	v_ashrrev_i32_e32 v65, 31, v64
	v_lshl_add_u64 v[38:39], v[38:39], 3, s[4:5]
	v_fmac_f64_e32 v[24:25], v[74:75], v[86:87]
	v_lshl_add_u64 v[74:75], v[64:65], 3, s[4:5]
	global_load_dwordx4 v[64:67], v[38:39], off
	v_fmac_f64_e32 v[24:25], v[70:71], v[88:89]
	global_load_dwordx4 v[68:71], v[38:39], off offset:16
	v_fmac_f64_e32 v[32:33], v[90:91], v[86:87]
	v_fmac_f64_e32 v[32:33], v[92:93], v[88:89]
	global_load_dwordx4 v[86:89], v[74:75], off offset:16
	s_waitcnt vmcnt(2)
	v_fmac_f64_e32 v[30:31], v[12:13], v[64:65]
	v_fmac_f64_e32 v[24:25], v[14:15], v[64:65]
	global_load_dwordx4 v[12:15], v[74:75], off
	v_fmac_f64_e32 v[32:33], v[94:95], v[64:65]
	v_fmac_f64_e32 v[22:23], v[54:55], v[64:65]
	;; [unrolled: 1-line block ×6, first 2 shown]
	s_waitcnt vmcnt(2)
	v_fmac_f64_e32 v[32:33], v[100:101], v[68:69]
	v_fmac_f64_e32 v[30:31], v[2:3], v[68:69]
	;; [unrolled: 1-line block ×8, first 2 shown]
	s_waitcnt vmcnt(0)
	v_fmac_f64_e32 v[32:33], v[104:105], v[12:13]
	v_fmac_f64_e32 v[30:31], v[48:49], v[12:13]
	;; [unrolled: 1-line block ×16, first 2 shown]
	s_andn2_b64 exec, exec, s[14:15]
	s_cbranch_execnz .LBB154_21
; %bb.22:
	s_or_b64 exec, exec, s[14:15]
.LBB154_23:
	s_or_b64 exec, exec, s[10:11]
.LBB154_24:
	s_or_b64 exec, exec, s[6:7]
	s_cbranch_execz .LBB154_26
	s_branch .LBB154_37
.LBB154_25:
                                        ; implicit-def: $vgpr22_vgpr23
                                        ; implicit-def: $vgpr24_vgpr25
                                        ; implicit-def: $vgpr30_vgpr31
                                        ; implicit-def: $vgpr32_vgpr33
.LBB154_26:
	v_mov_b64_e32 v[22:23], 0
	v_mov_b64_e32 v[24:25], 0
	v_mov_b64_e32 v[30:31], 0
	v_mov_b64_e32 v[32:33], 0
	s_and_saveexec_b64 s[6:7], s[2:3]
	s_cbranch_execz .LBB154_36
; %bb.27:
	v_add_u32_e32 v0, v85, v21
	v_subrev_u32_e32 v0, s12, v0
	v_add_u32_e32 v0, 64, v0
	v_max_i32_e32 v0, v0, v84
	v_not_b32_e32 v1, v85
	v_add3_u32 v0, s12, v0, v1
	v_sub_u32_e32 v0, v0, v21
	s_movk_i32 s2, 0xc0
	v_and_b32_e32 v1, 0xc0, v0
	v_cmp_ne_u32_e32 vcc, s2, v1
	v_mov_b64_e32 v[32:33], 0
	v_mov_b64_e32 v[30:31], 0
	;; [unrolled: 1-line block ×4, first 2 shown]
	s_and_saveexec_b64 s[2:3], vcc
	s_cbranch_execz .LBB154_31
; %bb.28:
	v_lshrrev_b32_e32 v1, 6, v0
	v_add_u32_e32 v1, 1, v1
	v_and_b32_e32 v1, 3, v1
	v_sub_u32_e32 v1, 0, v1
	v_mov_b64_e32 v[22:23], 0
	s_mov_b64 s[10:11], 0
	s_mov_b64 s[14:15], 0x1000
	v_mov_b64_e32 v[24:25], 0
	v_mov_b64_e32 v[30:31], 0
	;; [unrolled: 1-line block ×3, first 2 shown]
.LBB154_29:                             ; =>This Inner Loop Header: Depth=1
	v_ashrrev_i32_e32 v27, 31, v26
	v_lshl_add_u64 v[14:15], v[26:27], 2, s[8:9]
	global_load_dword v27, v[14:15], off
	global_load_dwordx4 v[2:5], v[28:29], off
	global_load_dwordx4 v[6:9], v[28:29], off offset:16
	global_load_dwordx4 v[10:13], v[28:29], off offset:32
	v_add_co_u32_e32 v1, vcc, 1, v1
	v_add_u32_e32 v26, 64, v26
	s_or_b64 s[10:11], vcc, s[10:11]
	s_waitcnt vmcnt(3)
	v_subrev_u32_e32 v14, s12, v27
	v_lshlrev_b32_e32 v14, 2, v14
	v_ashrrev_i32_e32 v15, 31, v14
	s_waitcnt lgkmcnt(0)
	v_lshl_add_u64 v[14:15], v[14:15], 3, s[4:5]
	global_load_dwordx4 v[34:37], v[14:15], off offset:16
	global_load_dwordx4 v[38:41], v[14:15], off
	global_load_dwordx4 v[42:45], v[28:29], off offset:48
	s_waitcnt vmcnt(5)
	v_cvt_f64_f32_e32 v[14:15], v2
	v_cvt_f64_f32_e32 v[2:3], v3
	v_cvt_f64_f32_e32 v[46:47], v4
	v_cvt_f64_f32_e32 v[4:5], v5
	s_waitcnt vmcnt(4)
	v_cvt_f64_f32_e32 v[48:49], v6
	v_cvt_f64_f32_e32 v[6:7], v7
	v_cvt_f64_f32_e32 v[50:51], v8
	v_cvt_f64_f32_e32 v[8:9], v9
	;; [unrolled: 5-line block ×3, first 2 shown]
	v_lshl_add_u64 v[28:29], v[28:29], 0, s[14:15]
	s_waitcnt vmcnt(1)
	v_fmac_f64_e32 v[32:33], v[14:15], v[38:39]
	v_fmac_f64_e32 v[30:31], v[2:3], v[38:39]
	;; [unrolled: 1-line block ×8, first 2 shown]
	s_waitcnt vmcnt(0)
	v_cvt_f64_f32_e32 v[56:57], v42
	v_cvt_f64_f32_e32 v[42:43], v43
	v_cvt_f64_f32_e32 v[58:59], v44
	v_cvt_f64_f32_e32 v[44:45], v45
	v_fmac_f64_e32 v[32:33], v[52:53], v[34:35]
	v_fmac_f64_e32 v[30:31], v[10:11], v[34:35]
	;; [unrolled: 1-line block ×8, first 2 shown]
	s_andn2_b64 exec, exec, s[10:11]
	s_cbranch_execnz .LBB154_29
; %bb.30:
	s_or_b64 exec, exec, s[10:11]
.LBB154_31:
	s_or_b64 exec, exec, s[2:3]
	s_movk_i32 s2, 0xbf
	v_cmp_lt_u32_e32 vcc, s2, v0
	s_and_saveexec_b64 s[2:3], vcc
	s_cbranch_execz .LBB154_35
; %bb.32:
	s_mov_b64 s[10:11], 0
	s_mov_b64 s[14:15], 0x1000
	;; [unrolled: 1-line block ×3, first 2 shown]
	s_movk_i32 s13, 0x2000
	s_mov_b64 s[18:19], 0x3000
	s_movk_i32 s22, 0x3000
	s_mov_b64 s[20:21], 0x4000
.LBB154_33:                             ; =>This Inner Loop Header: Depth=1
	global_load_dwordx4 v[0:3], v[28:29], off
	global_load_dwordx4 v[4:7], v[28:29], off offset:16
	global_load_dwordx4 v[8:11], v[28:29], off offset:32
	;; [unrolled: 1-line block ×3, first 2 shown]
	v_add_co_u32_e32 v44, vcc, s13, v28
	v_ashrrev_i32_e32 v27, 31, v26
	s_nop 0
	v_addc_co_u32_e32 v45, vcc, 0, v29, vcc
	v_lshl_add_u64 v[42:43], v[28:29], 0, s[14:15]
	global_load_dwordx4 v[34:37], v[44:45], off offset:-4096
	global_load_dwordx4 v[38:41], v[42:43], off offset:16
	global_load_dwordx4 v[60:63], v[44:45], off
	s_waitcnt vmcnt(6)
	v_cvt_f64_f32_e32 v[44:45], v0
	v_cvt_f64_f32_e32 v[46:47], v1
	v_lshl_add_u64 v[0:1], v[26:27], 2, s[8:9]
	v_cvt_f64_f32_e32 v[56:57], v2
	global_load_dword v2, v[0:1], off
	global_load_dword v27, v[0:1], off offset:256
	global_load_dword v85, v[0:1], off offset:512
	;; [unrolled: 1-line block ×3, first 2 shown]
	s_waitcnt vmcnt(8)
	v_cvt_f64_f32_e32 v[72:73], v10
	v_cvt_f64_f32_e32 v[74:75], v11
	;; [unrolled: 1-line block ×4, first 2 shown]
	s_waitcnt vmcnt(5)
	v_cvt_f64_f32_e32 v[54:55], v40
	v_cvt_f64_f32_e32 v[10:11], v41
	;; [unrolled: 1-line block ×17, first 2 shown]
	v_add_u32_e32 v26, 0x100, v26
	global_load_dwordx4 v[36:39], v[42:43], off offset:48
	s_waitcnt vmcnt(4)
	v_subrev_u32_e32 v0, s12, v2
	v_lshlrev_b32_e32 v0, 2, v0
	v_ashrrev_i32_e32 v1, 31, v0
	s_waitcnt lgkmcnt(0)
	v_lshl_add_u64 v[40:41], v[0:1], 3, s[4:5]
	global_load_dwordx4 v[0:3], v[40:41], off
	s_waitcnt vmcnt(4)
	v_subrev_u32_e32 v27, s12, v27
	s_waitcnt vmcnt(0)
	v_fmac_f64_e32 v[30:31], v[46:47], v[0:1]
	v_fmac_f64_e32 v[30:31], v[4:5], v[2:3]
	global_load_dwordx4 v[4:7], v[42:43], off offset:32
	v_fmac_f64_e32 v[32:33], v[44:45], v[0:1]
	v_fmac_f64_e32 v[22:23], v[58:59], v[0:1]
	;; [unrolled: 1-line block ×6, first 2 shown]
	v_cvt_f64_f32_e32 v[0:1], v60
	v_cvt_f64_f32_e32 v[2:3], v61
	;; [unrolled: 1-line block ×6, first 2 shown]
	global_load_dwordx4 v[36:39], v[40:41], off offset:16
	s_waitcnt vmcnt(1)
	v_cvt_f64_f32_e32 v[64:65], v4
	v_cvt_f64_f32_e32 v[66:67], v5
	;; [unrolled: 1-line block ×6, first 2 shown]
	s_waitcnt vmcnt(0)
	v_fmac_f64_e32 v[32:33], v[70:71], v[36:37]
	v_lshl_add_u64 v[70:71], v[28:29], 0, s[16:17]
	v_fmac_f64_e32 v[30:31], v[8:9], v[36:37]
	v_fmac_f64_e32 v[24:25], v[72:73], v[36:37]
	;; [unrolled: 1-line block ×3, first 2 shown]
	global_load_dwordx4 v[60:63], v[70:71], off offset:16
	v_fmac_f64_e32 v[32:33], v[76:77], v[38:39]
	v_fmac_f64_e32 v[30:31], v[78:79], v[38:39]
	;; [unrolled: 1-line block ×4, first 2 shown]
	s_waitcnt vmcnt(0)
	v_cvt_f64_f32_e32 v[72:73], v60
	v_cvt_f64_f32_e32 v[74:75], v61
	;; [unrolled: 1-line block ×4, first 2 shown]
	global_load_dwordx4 v[60:63], v[70:71], off offset:32
	s_waitcnt vmcnt(0)
	v_cvt_f64_f32_e32 v[38:39], v60
	v_lshlrev_b32_e32 v60, 2, v27
	v_cvt_f64_f32_e32 v[40:41], v61
	v_cvt_f64_f32_e32 v[36:37], v62
	;; [unrolled: 1-line block ×3, first 2 shown]
	v_subrev_u32_e32 v27, s12, v85
	v_ashrrev_i32_e32 v61, 31, v60
	v_lshl_add_u64 v[80:81], v[60:61], 3, s[4:5]
	global_load_dwordx4 v[60:63], v[80:81], off
	s_waitcnt vmcnt(0)
	v_fmac_f64_e32 v[32:33], v[12:13], v[60:61]
	v_fmac_f64_e32 v[22:23], v[48:49], v[60:61]
	;; [unrolled: 1-line block ×4, first 2 shown]
	v_lshl_add_u64 v[60:61], v[28:29], 0, s[18:19]
	v_fmac_f64_e32 v[32:33], v[50:51], v[62:63]
	global_load_dwordx4 v[48:51], v[70:71], off offset:48
	v_fmac_f64_e32 v[22:23], v[10:11], v[62:63]
	v_fmac_f64_e32 v[30:31], v[52:53], v[62:63]
	;; [unrolled: 1-line block ×3, first 2 shown]
	v_add_co_u32_e32 v52, vcc, s22, v28
	s_waitcnt vmcnt(0)
	v_cvt_f64_f32_e32 v[10:11], v48
	v_cvt_f64_f32_e32 v[12:13], v49
	;; [unrolled: 1-line block ×4, first 2 shown]
	global_load_dwordx4 v[48:51], v[80:81], off offset:16
	v_addc_co_u32_e32 v53, vcc, 0, v29, vcc
	global_load_dwordx4 v[52:55], v[52:53], off
	v_cmp_ge_i32_e32 vcc, v26, v84
	v_lshl_add_u64 v[28:29], v[28:29], 0, s[20:21]
	s_or_b64 s[10:11], vcc, s[10:11]
	s_waitcnt vmcnt(1)
	v_fmac_f64_e32 v[32:33], v[64:65], v[48:49]
	v_fmac_f64_e32 v[30:31], v[66:67], v[48:49]
	;; [unrolled: 1-line block ×7, first 2 shown]
	global_load_dwordx4 v[44:47], v[60:61], off offset:48
	v_fmac_f64_e32 v[22:23], v[42:43], v[50:51]
	global_load_dwordx4 v[48:51], v[60:61], off offset:32
	global_load_dwordx4 v[56:59], v[60:61], off offset:16
	s_waitcnt vmcnt(3)
	v_cvt_f64_f32_e32 v[42:43], v52
	v_cvt_f64_f32_e32 v[52:53], v53
	;; [unrolled: 1-line block ×4, first 2 shown]
	s_waitcnt vmcnt(1)
	v_cvt_f64_f32_e32 v[60:61], v48
	v_lshlrev_b32_e32 v48, 2, v27
	v_cvt_f64_f32_e32 v[68:69], v49
	v_cvt_f64_f32_e32 v[70:71], v50
	;; [unrolled: 1-line block ×3, first 2 shown]
	s_waitcnt vmcnt(0)
	v_cvt_f64_f32_e32 v[64:65], v56
	v_cvt_f64_f32_e32 v[56:57], v57
	;; [unrolled: 1-line block ×4, first 2 shown]
	v_ashrrev_i32_e32 v49, 31, v48
	v_lshl_add_u64 v[82:83], v[48:49], 3, s[4:5]
	global_load_dwordx4 v[48:51], v[82:83], off
	s_waitcnt vmcnt(0)
	v_fmac_f64_e32 v[32:33], v[0:1], v[48:49]
	v_subrev_u32_e32 v0, s12, v86
	v_fmac_f64_e32 v[30:31], v[2:3], v[48:49]
	v_fmac_f64_e32 v[24:25], v[4:5], v[48:49]
	;; [unrolled: 1-line block ×3, first 2 shown]
	v_cvt_f64_f32_e32 v[48:49], v44
	v_cvt_f64_f32_e32 v[44:45], v45
	v_lshlrev_b32_e32 v0, 2, v0
	v_fmac_f64_e32 v[32:33], v[72:73], v[50:51]
	v_fmac_f64_e32 v[24:25], v[76:77], v[50:51]
	;; [unrolled: 1-line block ×4, first 2 shown]
	v_cvt_f64_f32_e32 v[50:51], v46
	v_cvt_f64_f32_e32 v[46:47], v47
	v_ashrrev_i32_e32 v1, 31, v0
	v_lshl_add_u64 v[72:73], v[0:1], 3, s[4:5]
	global_load_dwordx4 v[0:3], v[82:83], off offset:16
	global_load_dwordx4 v[4:7], v[72:73], off
	s_waitcnt vmcnt(1)
	v_fmac_f64_e32 v[32:33], v[38:39], v[0:1]
	v_fmac_f64_e32 v[24:25], v[36:37], v[0:1]
	global_load_dwordx4 v[36:39], v[72:73], off offset:16
	v_fmac_f64_e32 v[30:31], v[40:41], v[0:1]
	v_fmac_f64_e32 v[22:23], v[8:9], v[0:1]
	;; [unrolled: 1-line block ×6, first 2 shown]
	s_waitcnt vmcnt(1)
	v_fmac_f64_e32 v[32:33], v[42:43], v[4:5]
	v_fmac_f64_e32 v[30:31], v[52:53], v[4:5]
	;; [unrolled: 1-line block ×8, first 2 shown]
	s_waitcnt vmcnt(0)
	v_fmac_f64_e32 v[32:33], v[60:61], v[36:37]
	v_fmac_f64_e32 v[30:31], v[68:69], v[36:37]
	;; [unrolled: 1-line block ×8, first 2 shown]
	s_andn2_b64 exec, exec, s[10:11]
	s_cbranch_execnz .LBB154_33
; %bb.34:
	s_or_b64 exec, exec, s[10:11]
.LBB154_35:
	s_or_b64 exec, exec, s[2:3]
.LBB154_36:
	s_or_b64 exec, exec, s[6:7]
.LBB154_37:
	v_mov_b32_dpp v0, v32 row_shr:1 row_mask:0xf bank_mask:0xf
	v_mov_b32_dpp v1, v33 row_shr:1 row_mask:0xf bank_mask:0xf
	v_mov_b32_dpp v4, v30 row_shr:1 row_mask:0xf bank_mask:0xf
	v_mov_b32_dpp v5, v31 row_shr:1 row_mask:0xf bank_mask:0xf
	v_mov_b32_dpp v8, v24 row_shr:1 row_mask:0xf bank_mask:0xf
	v_mov_b32_dpp v9, v25 row_shr:1 row_mask:0xf bank_mask:0xf
	v_mov_b32_dpp v12, v22 row_shr:1 row_mask:0xf bank_mask:0xf
	v_mov_b32_dpp v13, v23 row_shr:1 row_mask:0xf bank_mask:0xf
	v_add_f64 v[0:1], v[32:33], v[0:1]
	v_add_f64 v[4:5], v[30:31], v[4:5]
	v_add_f64 v[8:9], v[24:25], v[8:9]
	v_add_f64 v[12:13], v[22:23], v[12:13]
	v_mov_b32_dpp v2, v0 row_shr:2 row_mask:0xf bank_mask:0xf
	v_mov_b32_dpp v3, v1 row_shr:2 row_mask:0xf bank_mask:0xf
	v_mov_b32_dpp v6, v4 row_shr:2 row_mask:0xf bank_mask:0xf
	v_mov_b32_dpp v7, v5 row_shr:2 row_mask:0xf bank_mask:0xf
	v_mov_b32_dpp v10, v8 row_shr:2 row_mask:0xf bank_mask:0xf
	v_mov_b32_dpp v11, v9 row_shr:2 row_mask:0xf bank_mask:0xf
	v_mov_b32_dpp v14, v12 row_shr:2 row_mask:0xf bank_mask:0xf
	v_mov_b32_dpp v15, v13 row_shr:2 row_mask:0xf bank_mask:0xf
	v_add_f64 v[0:1], v[0:1], v[2:3]
	v_add_f64 v[4:5], v[4:5], v[6:7]
	v_add_f64 v[8:9], v[8:9], v[10:11]
	v_add_f64 v[12:13], v[12:13], v[14:15]
	;; [unrolled: 12-line block ×4, first 2 shown]
	v_mov_b32_dpp v2, v0 row_bcast:15 row_mask:0xa bank_mask:0xf
	v_mov_b32_dpp v3, v1 row_bcast:15 row_mask:0xa bank_mask:0xf
	;; [unrolled: 1-line block ×8, first 2 shown]
	v_add_f64 v[0:1], v[0:1], v[2:3]
	v_add_f64 v[4:5], v[4:5], v[6:7]
	;; [unrolled: 1-line block ×4, first 2 shown]
	v_mov_b32_dpp v2, v0 row_bcast:31 row_mask:0xc bank_mask:0xf
	v_mov_b32_dpp v3, v1 row_bcast:31 row_mask:0xc bank_mask:0xf
	;; [unrolled: 1-line block ×8, first 2 shown]
	v_cmp_eq_u32_e32 vcc, 63, v21
	s_and_b64 exec, exec, vcc
	s_cbranch_execz .LBB154_10
; %bb.38:
	s_load_dwordx2 s[0:1], s[0:1], 0x50
	v_add_f64 v[0:1], v[0:1], v[2:3]
	v_add_f64 v[2:3], v[4:5], v[6:7]
	;; [unrolled: 1-line block ×4, first 2 shown]
	v_cmp_eq_f64_e32 vcc, 0, v[16:17]
	v_mul_f64 v[4:5], v[18:19], v[0:1]
	v_mul_f64 v[6:7], v[18:19], v[2:3]
	;; [unrolled: 1-line block ×4, first 2 shown]
	v_lshlrev_b32_e32 v8, 2, v20
	s_and_saveexec_b64 s[2:3], vcc
	s_xor_b64 s[2:3], exec, s[2:3]
	s_cbranch_execz .LBB154_40
; %bb.39:
	v_ashrrev_i32_e32 v9, 31, v8
	s_waitcnt lgkmcnt(0)
	v_lshl_add_u64 v[8:9], v[8:9], 3, s[0:1]
	global_store_dwordx4 v[8:9], v[4:7], off
	global_store_dwordx4 v[8:9], v[0:3], off offset:16
                                        ; implicit-def: $vgpr8
                                        ; implicit-def: $vgpr16_vgpr17
                                        ; implicit-def: $vgpr4_vgpr5
                                        ; implicit-def: $vgpr0_vgpr1
.LBB154_40:
	s_andn2_saveexec_b64 s[2:3], s[2:3]
	s_cbranch_execz .LBB154_10
; %bb.41:
	v_ashrrev_i32_e32 v9, 31, v8
	s_waitcnt lgkmcnt(0)
	v_lshl_add_u64 v[18:19], v[8:9], 3, s[0:1]
	global_load_dwordx4 v[8:11], v[18:19], off
	global_load_dwordx4 v[12:15], v[18:19], off offset:16
	s_waitcnt vmcnt(1)
	v_fmac_f64_e32 v[4:5], v[16:17], v[8:9]
	v_fmac_f64_e32 v[6:7], v[16:17], v[10:11]
	s_waitcnt vmcnt(0)
	v_fmac_f64_e32 v[0:1], v[16:17], v[12:13]
	v_fmac_f64_e32 v[2:3], v[16:17], v[14:15]
	global_store_dwordx4 v[18:19], v[4:7], off
	global_store_dwordx4 v[18:19], v[0:3], off offset:16
	s_endpgm
	.section	.rodata,"a",@progbits
	.p2align	6, 0x0
	.amdhsa_kernel _ZN9rocsparseL18bsrxmvn_4x4_kernelILj128ELj64EdiifddEEvT3_20rocsparse_direction_NS_24const_host_device_scalarIT1_EES1_PKS1_PKT2_SA_S7_PKT4_PKT5_S5_PT6_21rocsparse_index_base_b
		.amdhsa_group_segment_fixed_size 0
		.amdhsa_private_segment_fixed_size 0
		.amdhsa_kernarg_size 96
		.amdhsa_user_sgpr_count 2
		.amdhsa_user_sgpr_dispatch_ptr 0
		.amdhsa_user_sgpr_queue_ptr 0
		.amdhsa_user_sgpr_kernarg_segment_ptr 1
		.amdhsa_user_sgpr_dispatch_id 0
		.amdhsa_user_sgpr_kernarg_preload_length 0
		.amdhsa_user_sgpr_kernarg_preload_offset 0
		.amdhsa_user_sgpr_private_segment_size 0
		.amdhsa_uses_dynamic_stack 0
		.amdhsa_enable_private_segment 0
		.amdhsa_system_sgpr_workgroup_id_x 1
		.amdhsa_system_sgpr_workgroup_id_y 0
		.amdhsa_system_sgpr_workgroup_id_z 0
		.amdhsa_system_sgpr_workgroup_info 0
		.amdhsa_system_vgpr_workitem_id 0
		.amdhsa_next_free_vgpr 120
		.amdhsa_next_free_sgpr 25
		.amdhsa_accum_offset 120
		.amdhsa_reserve_vcc 1
		.amdhsa_float_round_mode_32 0
		.amdhsa_float_round_mode_16_64 0
		.amdhsa_float_denorm_mode_32 3
		.amdhsa_float_denorm_mode_16_64 3
		.amdhsa_dx10_clamp 1
		.amdhsa_ieee_mode 1
		.amdhsa_fp16_overflow 0
		.amdhsa_tg_split 0
		.amdhsa_exception_fp_ieee_invalid_op 0
		.amdhsa_exception_fp_denorm_src 0
		.amdhsa_exception_fp_ieee_div_zero 0
		.amdhsa_exception_fp_ieee_overflow 0
		.amdhsa_exception_fp_ieee_underflow 0
		.amdhsa_exception_fp_ieee_inexact 0
		.amdhsa_exception_int_div_zero 0
	.end_amdhsa_kernel
	.section	.text._ZN9rocsparseL18bsrxmvn_4x4_kernelILj128ELj64EdiifddEEvT3_20rocsparse_direction_NS_24const_host_device_scalarIT1_EES1_PKS1_PKT2_SA_S7_PKT4_PKT5_S5_PT6_21rocsparse_index_base_b,"axG",@progbits,_ZN9rocsparseL18bsrxmvn_4x4_kernelILj128ELj64EdiifddEEvT3_20rocsparse_direction_NS_24const_host_device_scalarIT1_EES1_PKS1_PKT2_SA_S7_PKT4_PKT5_S5_PT6_21rocsparse_index_base_b,comdat
.Lfunc_end154:
	.size	_ZN9rocsparseL18bsrxmvn_4x4_kernelILj128ELj64EdiifddEEvT3_20rocsparse_direction_NS_24const_host_device_scalarIT1_EES1_PKS1_PKT2_SA_S7_PKT4_PKT5_S5_PT6_21rocsparse_index_base_b, .Lfunc_end154-_ZN9rocsparseL18bsrxmvn_4x4_kernelILj128ELj64EdiifddEEvT3_20rocsparse_direction_NS_24const_host_device_scalarIT1_EES1_PKS1_PKT2_SA_S7_PKT4_PKT5_S5_PT6_21rocsparse_index_base_b
                                        ; -- End function
	.set _ZN9rocsparseL18bsrxmvn_4x4_kernelILj128ELj64EdiifddEEvT3_20rocsparse_direction_NS_24const_host_device_scalarIT1_EES1_PKS1_PKT2_SA_S7_PKT4_PKT5_S5_PT6_21rocsparse_index_base_b.num_vgpr, 120
	.set _ZN9rocsparseL18bsrxmvn_4x4_kernelILj128ELj64EdiifddEEvT3_20rocsparse_direction_NS_24const_host_device_scalarIT1_EES1_PKS1_PKT2_SA_S7_PKT4_PKT5_S5_PT6_21rocsparse_index_base_b.num_agpr, 0
	.set _ZN9rocsparseL18bsrxmvn_4x4_kernelILj128ELj64EdiifddEEvT3_20rocsparse_direction_NS_24const_host_device_scalarIT1_EES1_PKS1_PKT2_SA_S7_PKT4_PKT5_S5_PT6_21rocsparse_index_base_b.numbered_sgpr, 25
	.set _ZN9rocsparseL18bsrxmvn_4x4_kernelILj128ELj64EdiifddEEvT3_20rocsparse_direction_NS_24const_host_device_scalarIT1_EES1_PKS1_PKT2_SA_S7_PKT4_PKT5_S5_PT6_21rocsparse_index_base_b.num_named_barrier, 0
	.set _ZN9rocsparseL18bsrxmvn_4x4_kernelILj128ELj64EdiifddEEvT3_20rocsparse_direction_NS_24const_host_device_scalarIT1_EES1_PKS1_PKT2_SA_S7_PKT4_PKT5_S5_PT6_21rocsparse_index_base_b.private_seg_size, 0
	.set _ZN9rocsparseL18bsrxmvn_4x4_kernelILj128ELj64EdiifddEEvT3_20rocsparse_direction_NS_24const_host_device_scalarIT1_EES1_PKS1_PKT2_SA_S7_PKT4_PKT5_S5_PT6_21rocsparse_index_base_b.uses_vcc, 1
	.set _ZN9rocsparseL18bsrxmvn_4x4_kernelILj128ELj64EdiifddEEvT3_20rocsparse_direction_NS_24const_host_device_scalarIT1_EES1_PKS1_PKT2_SA_S7_PKT4_PKT5_S5_PT6_21rocsparse_index_base_b.uses_flat_scratch, 0
	.set _ZN9rocsparseL18bsrxmvn_4x4_kernelILj128ELj64EdiifddEEvT3_20rocsparse_direction_NS_24const_host_device_scalarIT1_EES1_PKS1_PKT2_SA_S7_PKT4_PKT5_S5_PT6_21rocsparse_index_base_b.has_dyn_sized_stack, 0
	.set _ZN9rocsparseL18bsrxmvn_4x4_kernelILj128ELj64EdiifddEEvT3_20rocsparse_direction_NS_24const_host_device_scalarIT1_EES1_PKS1_PKT2_SA_S7_PKT4_PKT5_S5_PT6_21rocsparse_index_base_b.has_recursion, 0
	.set _ZN9rocsparseL18bsrxmvn_4x4_kernelILj128ELj64EdiifddEEvT3_20rocsparse_direction_NS_24const_host_device_scalarIT1_EES1_PKS1_PKT2_SA_S7_PKT4_PKT5_S5_PT6_21rocsparse_index_base_b.has_indirect_call, 0
	.section	.AMDGPU.csdata,"",@progbits
; Kernel info:
; codeLenInByte = 4176
; TotalNumSgprs: 31
; NumVgprs: 120
; NumAgprs: 0
; TotalNumVgprs: 120
; ScratchSize: 0
; MemoryBound: 0
; FloatMode: 240
; IeeeMode: 1
; LDSByteSize: 0 bytes/workgroup (compile time only)
; SGPRBlocks: 3
; VGPRBlocks: 14
; NumSGPRsForWavesPerEU: 31
; NumVGPRsForWavesPerEU: 120
; AccumOffset: 120
; Occupancy: 4
; WaveLimiterHint : 1
; COMPUTE_PGM_RSRC2:SCRATCH_EN: 0
; COMPUTE_PGM_RSRC2:USER_SGPR: 2
; COMPUTE_PGM_RSRC2:TRAP_HANDLER: 0
; COMPUTE_PGM_RSRC2:TGID_X_EN: 1
; COMPUTE_PGM_RSRC2:TGID_Y_EN: 0
; COMPUTE_PGM_RSRC2:TGID_Z_EN: 0
; COMPUTE_PGM_RSRC2:TIDIG_COMP_CNT: 0
; COMPUTE_PGM_RSRC3_GFX90A:ACCUM_OFFSET: 29
; COMPUTE_PGM_RSRC3_GFX90A:TG_SPLIT: 0
	.section	.text._ZN9rocsparseL18bsrxmvn_4x4_kernelILj128ELj4EdlifddEEvT3_20rocsparse_direction_NS_24const_host_device_scalarIT1_EES1_PKS1_PKT2_SA_S7_PKT4_PKT5_S5_PT6_21rocsparse_index_base_b,"axG",@progbits,_ZN9rocsparseL18bsrxmvn_4x4_kernelILj128ELj4EdlifddEEvT3_20rocsparse_direction_NS_24const_host_device_scalarIT1_EES1_PKS1_PKT2_SA_S7_PKT4_PKT5_S5_PT6_21rocsparse_index_base_b,comdat
	.globl	_ZN9rocsparseL18bsrxmvn_4x4_kernelILj128ELj4EdlifddEEvT3_20rocsparse_direction_NS_24const_host_device_scalarIT1_EES1_PKS1_PKT2_SA_S7_PKT4_PKT5_S5_PT6_21rocsparse_index_base_b ; -- Begin function _ZN9rocsparseL18bsrxmvn_4x4_kernelILj128ELj4EdlifddEEvT3_20rocsparse_direction_NS_24const_host_device_scalarIT1_EES1_PKS1_PKT2_SA_S7_PKT4_PKT5_S5_PT6_21rocsparse_index_base_b
	.p2align	8
	.type	_ZN9rocsparseL18bsrxmvn_4x4_kernelILj128ELj4EdlifddEEvT3_20rocsparse_direction_NS_24const_host_device_scalarIT1_EES1_PKS1_PKT2_SA_S7_PKT4_PKT5_S5_PT6_21rocsparse_index_base_b,@function
_ZN9rocsparseL18bsrxmvn_4x4_kernelILj128ELj4EdlifddEEvT3_20rocsparse_direction_NS_24const_host_device_scalarIT1_EES1_PKS1_PKT2_SA_S7_PKT4_PKT5_S5_PT6_21rocsparse_index_base_b: ; @_ZN9rocsparseL18bsrxmvn_4x4_kernelILj128ELj4EdlifddEEvT3_20rocsparse_direction_NS_24const_host_device_scalarIT1_EES1_PKS1_PKT2_SA_S7_PKT4_PKT5_S5_PT6_21rocsparse_index_base_b
; %bb.0:
	s_load_dwordx2 s[12:13], s[0:1], 0x58
	s_load_dwordx2 s[8:9], s[0:1], 0x8
	;; [unrolled: 1-line block ×3, first 2 shown]
	s_waitcnt lgkmcnt(0)
	s_bitcmp1_b32 s13, 0
	s_cselect_b64 s[10:11], -1, 0
	s_xor_b64 s[6:7], s[10:11], -1
	s_and_b64 vcc, exec, s[10:11]
	v_mov_b64_e32 v[2:3], s[8:9]
	s_cbranch_vccnz .LBB155_2
; %bb.1:
	v_mov_b64_e32 v[2:3], s[8:9]
	flat_load_dwordx2 v[2:3], v[2:3]
.LBB155_2:
	s_andn2_b64 vcc, exec, s[6:7]
	v_mov_b64_e32 v[8:9], s[4:5]
	s_cbranch_vccnz .LBB155_4
; %bb.3:
	v_mov_b64_e32 v[4:5], s[4:5]
	flat_load_dwordx2 v[8:9], v[4:5]
.LBB155_4:
	s_waitcnt vmcnt(0) lgkmcnt(0)
	v_cmp_neq_f64_e32 vcc, 0, v[2:3]
	v_cmp_neq_f64_e64 s[4:5], 1.0, v[8:9]
	s_mov_b64 s[6:7], 0
	s_or_b64 s[4:5], vcc, s[4:5]
	s_and_saveexec_b64 s[8:9], s[4:5]
	s_cbranch_execz .LBB155_10
; %bb.5:
	s_load_dwordx2 s[4:5], s[0:1], 0x18
	s_load_dwordx2 s[14:15], s[0:1], 0x0
	v_lshrrev_b32_e32 v1, 2, v0
	v_lshl_or_b32 v10, s2, 5, v1
	s_mov_b64 s[2:3], 0
	s_waitcnt lgkmcnt(0)
	s_cmp_lg_u64 s[4:5], 0
	s_cbranch_scc0 .LBB155_11
; %bb.6:
	s_load_dword s6, s[0:1], 0x10
                                        ; implicit-def: $vgpr1
	s_waitcnt lgkmcnt(0)
	v_cmp_gt_i32_e32 vcc, s6, v10
	s_and_saveexec_b64 s[6:7], vcc
	s_xor_b64 s[6:7], exec, s[6:7]
	s_cbranch_execz .LBB155_8
; %bb.7:
	v_ashrrev_i32_e32 v11, 31, v10
	v_lshl_add_u64 v[4:5], v[10:11], 2, s[4:5]
	global_load_dword v1, v[4:5], off
	s_mov_b64 s[2:3], exec
	s_waitcnt vmcnt(0)
	v_subrev_u32_e32 v1, s12, v1
.LBB155_8:
	s_or_b64 exec, exec, s[6:7]
	s_mov_b64 s[6:7], s[2:3]
	s_branch .LBB155_12
.LBB155_9:
	v_cmp_gt_i32_e32 vcc, s14, v10
	s_andn2_b64 s[2:3], s[6:7], exec
	s_and_b64 s[4:5], vcc, exec
	s_or_b64 s[6:7], s[2:3], s[4:5]
	s_and_b64 exec, exec, s[6:7]
	s_cbranch_execnz .LBB155_13
.LBB155_10:
	s_endpgm
.LBB155_11:
                                        ; implicit-def: $vgpr1
	s_cbranch_execnz .LBB155_9
.LBB155_12:
	v_mov_b32_e32 v10, v1
	s_and_b64 exec, exec, s[6:7]
	s_cbranch_execz .LBB155_10
.LBB155_13:
	s_load_dwordx8 s[4:11], s[0:1], 0x20
	v_ashrrev_i32_e32 v11, 31, v10
	v_lshlrev_b64 v[4:5], 3, v[10:11]
	v_and_b32_e32 v0, 3, v0
	v_mov_b32_e32 v1, 0
	s_waitcnt lgkmcnt(0)
	v_lshl_add_u64 v[6:7], s[4:5], 0, v[4:5]
	s_cmp_eq_u64 s[6:7], 0
	v_lshl_add_u64 v[4:5], s[6:7], 0, v[4:5]
	global_load_dwordx2 v[22:23], v[6:7], off
	v_lshl_add_u64 v[6:7], v[6:7], 0, 8
	s_cselect_b64 vcc, -1, 0
	v_cndmask_b32_e32 v5, v5, v7, vcc
	v_cndmask_b32_e32 v4, v4, v6, vcc
	global_load_dwordx2 v[6:7], v[4:5], off
	s_load_dwordx2 s[4:5], s[0:1], 0x40
	s_cmp_eq_u32 s15, 1
	s_waitcnt vmcnt(1)
	v_subrev_co_u32_e32 v4, vcc, s12, v22
	s_nop 1
	v_subbrev_co_u32_e32 v5, vcc, 0, v23, vcc
	v_lshl_add_u64 v[4:5], v[4:5], 0, v[0:1]
	s_waitcnt vmcnt(0)
	v_subrev_co_u32_e32 v6, vcc, s12, v6
	v_lshlrev_b64 v[12:13], 6, v[4:5]
	s_nop 0
	v_subbrev_co_u32_e32 v7, vcc, 0, v7, vcc
	v_lshl_add_u64 v[12:13], s[10:11], 0, v[12:13]
	v_cmp_lt_i64_e64 s[2:3], v[4:5], v[6:7]
	s_cbranch_scc1 .LBB155_25
; %bb.14:
	v_mov_b64_e32 v[14:15], 0
	v_mov_b64_e32 v[16:17], 0
	;; [unrolled: 1-line block ×4, first 2 shown]
	s_and_saveexec_b64 s[6:7], s[2:3]
	s_cbranch_execz .LBB155_24
; %bb.15:
	v_or_b32_e32 v1, 4, v0
	v_subrev_co_u32_e32 v14, vcc, s12, v1
	v_not_b32_e32 v17, v23
	s_nop 0
	v_subb_co_u32_e64 v15, s[10:11], 0, 0, vcc
	v_lshl_add_u64 v[14:15], v[14:15], 0, v[22:23]
	v_cmp_gt_i64_e32 vcc, v[14:15], v[6:7]
	v_not_b32_e32 v16, v22
	v_mov_b64_e32 v[20:21], 0
	v_cndmask_b32_e32 v15, v7, v15, vcc
	v_cndmask_b32_e32 v14, v6, v14, vcc
	v_sub_co_u32_e32 v18, vcc, s12, v0
	v_mov_b64_e32 v[24:25], v[4:5]
	s_nop 0
	v_subb_co_u32_e64 v19, s[10:11], 0, 0, vcc
	v_lshl_add_u64 v[16:17], v[18:19], 0, v[16:17]
	v_lshl_add_u64 v[28:29], v[16:17], 0, v[14:15]
	v_and_b32_e32 v14, 12, v28
	v_mov_b32_e32 v15, 0
	v_cmp_ne_u64_e32 vcc, 12, v[14:15]
	v_mov_b64_e32 v[18:19], 0
	v_mov_b64_e32 v[16:17], 0
	;; [unrolled: 1-line block ×4, first 2 shown]
	s_and_saveexec_b64 s[10:11], vcc
	s_cbranch_execz .LBB155_19
; %bb.16:
	v_lshrrev_b32_e32 v1, 2, v28
	v_add_u32_e32 v1, 1, v1
	v_and_b32_e32 v1, 3, v1
	v_sub_co_u32_e32 v32, vcc, 0, v1
	v_lshl_add_u64 v[30:31], v[4:5], 2, s[8:9]
	s_nop 0
	v_subb_co_u32_e64 v33, s[16:17], 0, 0, vcc
	s_mov_b64 s[14:15], 0
	v_mov_b64_e32 v[14:15], 0
	s_mov_b64 s[16:17], 0x100
	v_mov_b64_e32 v[26:27], v[12:13]
	v_mov_b64_e32 v[24:25], v[4:5]
	;; [unrolled: 1-line block ×5, first 2 shown]
.LBB155_17:                             ; =>This Inner Loop Header: Depth=1
	global_load_dword v1, v[30:31], off
	global_load_dwordx4 v[34:37], v[26:27], off
	global_load_dwordx4 v[38:41], v[26:27], off offset:16
	global_load_dwordx4 v[42:45], v[26:27], off offset:32
	;; [unrolled: 1-line block ×3, first 2 shown]
	v_lshl_add_u64 v[32:33], v[32:33], 0, 1
	v_cmp_eq_u64_e32 vcc, 0, v[32:33]
	v_lshl_add_u64 v[26:27], v[26:27], 0, s[16:17]
	v_lshl_add_u64 v[24:25], v[24:25], 0, 4
	;; [unrolled: 1-line block ×3, first 2 shown]
	s_or_b64 s[14:15], vcc, s[14:15]
	s_waitcnt vmcnt(4)
	v_subrev_u32_e32 v1, s12, v1
	v_lshlrev_b32_e32 v50, 2, v1
	v_ashrrev_i32_e32 v51, 31, v50
	s_waitcnt lgkmcnt(0)
	v_lshl_add_u64 v[58:59], v[50:51], 3, s[4:5]
	global_load_dwordx4 v[50:53], v[58:59], off
	global_load_dwordx4 v[54:57], v[58:59], off offset:16
	s_waitcnt vmcnt(5)
	v_cvt_f64_f32_e32 v[58:59], v34
	s_waitcnt vmcnt(4)
	v_cvt_f64_f32_e32 v[62:63], v38
	;; [unrolled: 2-line block ×4, first 2 shown]
	v_cvt_f64_f32_e32 v[34:35], v35
	v_cvt_f64_f32_e32 v[38:39], v39
	;; [unrolled: 1-line block ×12, first 2 shown]
	s_waitcnt vmcnt(1)
	v_fmac_f64_e32 v[20:21], v[58:59], v[50:51]
	v_fmac_f64_e32 v[18:19], v[62:63], v[50:51]
	;; [unrolled: 1-line block ×8, first 2 shown]
	s_waitcnt vmcnt(0)
	v_fmac_f64_e32 v[20:21], v[60:61], v[54:55]
	v_fmac_f64_e32 v[18:19], v[64:65], v[54:55]
	;; [unrolled: 1-line block ×8, first 2 shown]
	s_andn2_b64 exec, exec, s[14:15]
	s_cbranch_execnz .LBB155_17
; %bb.18:
	s_or_b64 exec, exec, s[14:15]
.LBB155_19:
	s_or_b64 exec, exec, s[10:11]
	v_cmp_lt_u64_e32 vcc, 11, v[28:29]
	s_and_saveexec_b64 s[10:11], vcc
	s_cbranch_execz .LBB155_23
; %bb.20:
	v_lshl_add_u64 v[28:29], v[24:25], 2, s[8:9]
	v_lshl_add_u64 v[28:29], v[28:29], 0, 32
	s_mov_b64 s[14:15], 0
	s_mov_b64 s[16:17], 0x400
.LBB155_21:                             ; =>This Inner Loop Header: Depth=1
	global_load_dwordx4 v[30:33], v[26:27], off
	global_load_dwordx4 v[34:37], v[26:27], off offset:16
	global_load_dwordx4 v[38:41], v[26:27], off offset:32
	;; [unrolled: 1-line block ×7, first 2 shown]
	global_load_dword v1, v[28:29], off offset:-32
	v_lshl_add_u64 v[24:25], v[24:25], 0, 16
	v_cmp_ge_i64_e32 vcc, v[24:25], v[6:7]
	s_or_b64 s[14:15], vcc, s[14:15]
	s_waitcnt vmcnt(8)
	v_cvt_f64_f32_e32 v[76:77], v32
	v_cvt_f64_f32_e32 v[78:79], v33
	s_waitcnt vmcnt(6)
	v_cvt_f64_f32_e32 v[104:105], v38
	v_cvt_f64_f32_e32 v[106:107], v39
	;; [unrolled: 1-line block ×4, first 2 shown]
	global_load_dwordx4 v[38:41], v[26:27], off offset:512
	s_waitcnt vmcnt(6)
	v_cvt_f64_f32_e32 v[114:115], v44
	s_waitcnt vmcnt(1)
	v_subrev_u32_e32 v1, s12, v1
	v_cvt_f64_f32_e32 v[116:117], v45
	v_cvt_f64_f32_e32 v[90:91], v46
	;; [unrolled: 1-line block ×3, first 2 shown]
	global_load_dwordx4 v[44:47], v[26:27], off offset:528
	v_cvt_f64_f32_e32 v[54:55], v30
	v_cvt_f64_f32_e32 v[70:71], v31
	;; [unrolled: 1-line block ×22, first 2 shown]
	s_waitcnt vmcnt(1)
	v_cvt_f64_f32_e32 v[32:33], v40
	v_lshlrev_b32_e32 v40, 2, v1
	v_cvt_f64_f32_e32 v[30:31], v41
	v_ashrrev_i32_e32 v41, 31, v40
	s_waitcnt lgkmcnt(0)
	v_lshl_add_u64 v[64:65], v[40:41], 3, s[4:5]
	global_load_dwordx4 v[40:43], v[64:65], off
	global_load_dword v1, v[28:29], off offset:-16
	v_cvt_f64_f32_e32 v[50:51], v38
	v_cvt_f64_f32_e32 v[38:39], v39
	s_waitcnt vmcnt(1)
	v_fmac_f64_e32 v[20:21], v[54:55], v[40:41]
	v_fmac_f64_e32 v[20:21], v[70:71], v[42:43]
	global_load_dwordx4 v[68:71], v[26:27], off offset:544
	v_fmac_f64_e32 v[18:19], v[82:83], v[40:41]
	v_fmac_f64_e32 v[16:17], v[104:105], v[40:41]
	v_fmac_f64_e32 v[14:15], v[110:111], v[40:41]
	v_fmac_f64_e32 v[18:19], v[84:85], v[42:43]
	v_fmac_f64_e32 v[16:17], v[106:107], v[42:43]
	v_fmac_f64_e32 v[14:15], v[112:113], v[42:43]
	v_cvt_f64_f32_e32 v[84:85], v44
	v_cvt_f64_f32_e32 v[54:55], v45
	;; [unrolled: 1-line block ×4, first 2 shown]
	s_waitcnt vmcnt(1)
	v_subrev_u32_e32 v1, s12, v1
	s_waitcnt vmcnt(0)
	v_cvt_f64_f32_e32 v[82:83], v68
	v_cvt_f64_f32_e32 v[48:49], v69
	;; [unrolled: 1-line block ×4, first 2 shown]
	global_load_dwordx4 v[68:71], v[64:65], off offset:16
	s_waitcnt vmcnt(0)
	v_fmac_f64_e32 v[18:19], v[86:87], v[68:69]
	v_fmac_f64_e32 v[20:21], v[76:77], v[68:69]
	;; [unrolled: 1-line block ×3, first 2 shown]
	global_load_dwordx4 v[74:77], v[26:27], off offset:560
	global_load_dwordx4 v[102:105], v[26:27], off offset:768
	v_fmac_f64_e32 v[16:17], v[108:109], v[68:69]
	v_fmac_f64_e32 v[20:21], v[78:79], v[70:71]
	;; [unrolled: 1-line block ×5, first 2 shown]
	s_waitcnt vmcnt(1)
	v_cvt_f64_f32_e32 v[64:65], v76
	s_waitcnt vmcnt(0)
	v_cvt_f64_f32_e32 v[78:79], v102
	v_lshlrev_b32_e32 v102, 2, v1
	v_cvt_f64_f32_e32 v[60:61], v77
	v_cvt_f64_f32_e32 v[76:77], v103
	v_ashrrev_i32_e32 v103, 31, v102
	v_lshl_add_u64 v[106:107], v[102:103], 3, s[4:5]
	v_cvt_f64_f32_e32 v[86:87], v74
	v_cvt_f64_f32_e32 v[70:71], v75
	;; [unrolled: 1-line block ×4, first 2 shown]
	global_load_dwordx4 v[102:105], v[106:107], off
	s_waitcnt vmcnt(0)
	v_fmac_f64_e32 v[20:21], v[90:91], v[102:103]
	v_fmac_f64_e32 v[18:19], v[94:95], v[102:103]
	;; [unrolled: 1-line block ×7, first 2 shown]
	global_load_dwordx4 v[88:91], v[26:27], off offset:784
	v_fmac_f64_e32 v[14:15], v[80:81], v[104:105]
	global_load_dwordx4 v[102:105], v[26:27], off offset:800
	s_waitcnt vmcnt(1)
	v_cvt_f64_f32_e32 v[96:97], v88
	v_cvt_f64_f32_e32 v[92:93], v89
	;; [unrolled: 1-line block ×4, first 2 shown]
	s_waitcnt vmcnt(0)
	v_cvt_f64_f32_e32 v[100:101], v102
	v_cvt_f64_f32_e32 v[98:99], v103
	;; [unrolled: 1-line block ×4, first 2 shown]
	global_load_dwordx4 v[102:105], v[106:107], off offset:16
	s_waitcnt vmcnt(0)
	v_fmac_f64_e32 v[18:19], v[62:63], v[102:103]
	v_fmac_f64_e32 v[20:21], v[56:57], v[102:103]
	;; [unrolled: 1-line block ×3, first 2 shown]
	global_load_dwordx4 v[56:59], v[26:27], off offset:816
	global_load_dword v1, v[28:29], off
	v_fmac_f64_e32 v[16:17], v[66:67], v[102:103]
	v_fmac_f64_e32 v[16:17], v[34:35], v[104:105]
	;; [unrolled: 1-line block ×5, first 2 shown]
	v_lshl_add_u64 v[26:27], v[26:27], 0, s[16:17]
	s_waitcnt vmcnt(1)
	v_cvt_f64_f32_e32 v[62:63], v56
	s_waitcnt vmcnt(0)
	v_subrev_u32_e32 v1, s12, v1
	v_lshlrev_b32_e32 v34, 2, v1
	v_ashrrev_i32_e32 v35, 31, v34
	v_lshl_add_u64 v[52:53], v[34:35], 3, s[4:5]
	global_load_dword v1, v[28:29], off offset:16
	global_load_dwordx4 v[34:37], v[52:53], off
	v_cvt_f64_f32_e32 v[66:67], v57
	v_cvt_f64_f32_e32 v[72:73], v58
	;; [unrolled: 1-line block ×3, first 2 shown]
	v_lshl_add_u64 v[28:29], v[28:29], 0, 64
	s_waitcnt vmcnt(1)
	v_subrev_u32_e32 v1, s12, v1
	s_waitcnt vmcnt(0)
	v_fmac_f64_e32 v[20:21], v[50:51], v[34:35]
	v_lshlrev_b32_e32 v50, 2, v1
	v_ashrrev_i32_e32 v51, 31, v50
	v_fmac_f64_e32 v[18:19], v[84:85], v[34:35]
	v_lshl_add_u64 v[84:85], v[50:51], 3, s[4:5]
	global_load_dwordx4 v[50:53], v[52:53], off offset:16
	v_fmac_f64_e32 v[16:17], v[82:83], v[34:35]
	global_load_dwordx4 v[56:59], v[84:85], off
	v_fmac_f64_e32 v[14:15], v[86:87], v[34:35]
	global_load_dwordx4 v[82:85], v[84:85], off offset:16
	v_fmac_f64_e32 v[20:21], v[38:39], v[36:37]
	v_fmac_f64_e32 v[18:19], v[54:55], v[36:37]
	v_fmac_f64_e32 v[16:17], v[48:49], v[36:37]
	v_fmac_f64_e32 v[14:15], v[70:71], v[36:37]
	s_waitcnt vmcnt(2)
	v_fmac_f64_e32 v[20:21], v[32:33], v[50:51]
	v_fmac_f64_e32 v[18:19], v[42:43], v[50:51]
	v_fmac_f64_e32 v[16:17], v[46:47], v[50:51]
	v_fmac_f64_e32 v[14:15], v[64:65], v[50:51]
	v_fmac_f64_e32 v[20:21], v[30:31], v[52:53]
	v_fmac_f64_e32 v[18:19], v[40:41], v[52:53]
	v_fmac_f64_e32 v[16:17], v[44:45], v[52:53]
	v_fmac_f64_e32 v[14:15], v[60:61], v[52:53]
	s_waitcnt vmcnt(1)
	v_fmac_f64_e32 v[20:21], v[78:79], v[56:57]
	v_fmac_f64_e32 v[18:19], v[96:97], v[56:57]
	v_fmac_f64_e32 v[16:17], v[100:101], v[56:57]
	v_fmac_f64_e32 v[14:15], v[62:63], v[56:57]
	v_fmac_f64_e32 v[20:21], v[76:77], v[58:59]
	v_fmac_f64_e32 v[18:19], v[92:93], v[58:59]
	v_fmac_f64_e32 v[16:17], v[98:99], v[58:59]
	v_fmac_f64_e32 v[14:15], v[66:67], v[58:59]
	s_waitcnt vmcnt(0)
	v_fmac_f64_e32 v[20:21], v[74:75], v[82:83]
	v_fmac_f64_e32 v[18:19], v[88:89], v[82:83]
	v_fmac_f64_e32 v[16:17], v[94:95], v[82:83]
	v_fmac_f64_e32 v[14:15], v[72:73], v[82:83]
	v_fmac_f64_e32 v[20:21], v[68:69], v[84:85]
	v_fmac_f64_e32 v[18:19], v[80:81], v[84:85]
	;; [unrolled: 1-line block ×4, first 2 shown]
	s_andn2_b64 exec, exec, s[14:15]
	s_cbranch_execnz .LBB155_21
; %bb.22:
	s_or_b64 exec, exec, s[14:15]
.LBB155_23:
	s_or_b64 exec, exec, s[10:11]
.LBB155_24:
	s_or_b64 exec, exec, s[6:7]
	s_cbranch_execz .LBB155_26
	s_branch .LBB155_37
.LBB155_25:
                                        ; implicit-def: $vgpr14_vgpr15
                                        ; implicit-def: $vgpr16_vgpr17
                                        ; implicit-def: $vgpr18_vgpr19
                                        ; implicit-def: $vgpr20_vgpr21
.LBB155_26:
	v_mov_b64_e32 v[14:15], 0
	v_mov_b64_e32 v[16:17], 0
	;; [unrolled: 1-line block ×4, first 2 shown]
	s_and_saveexec_b64 s[6:7], s[2:3]
	s_cbranch_execz .LBB155_36
; %bb.27:
	v_or_b32_e32 v1, 4, v0
	v_subrev_co_u32_e32 v14, vcc, s12, v1
	v_not_b32_e32 v17, v23
	s_nop 0
	v_subb_co_u32_e64 v15, s[2:3], 0, 0, vcc
	v_lshl_add_u64 v[14:15], v[14:15], 0, v[22:23]
	v_cmp_gt_i64_e32 vcc, v[14:15], v[6:7]
	v_not_b32_e32 v16, v22
	v_mov_b64_e32 v[20:21], 0
	v_cndmask_b32_e32 v15, v7, v15, vcc
	v_cndmask_b32_e32 v14, v6, v14, vcc
	v_sub_co_u32_e32 v18, vcc, s12, v0
	s_nop 1
	v_subb_co_u32_e64 v19, s[2:3], 0, 0, vcc
	v_lshl_add_u64 v[16:17], v[18:19], 0, v[16:17]
	v_lshl_add_u64 v[22:23], v[16:17], 0, v[14:15]
	v_and_b32_e32 v14, 12, v22
	v_mov_b32_e32 v15, 0
	v_cmp_ne_u64_e32 vcc, 12, v[14:15]
	v_mov_b64_e32 v[18:19], 0
	v_mov_b64_e32 v[16:17], 0
	;; [unrolled: 1-line block ×3, first 2 shown]
	s_and_saveexec_b64 s[2:3], vcc
	s_cbranch_execz .LBB155_31
; %bb.28:
	v_lshrrev_b32_e32 v1, 2, v22
	v_add_u32_e32 v1, 1, v1
	v_and_b32_e32 v1, 3, v1
	v_sub_co_u32_e32 v26, vcc, 0, v1
	v_lshl_add_u64 v[24:25], v[4:5], 2, s[8:9]
	s_nop 0
	v_subb_co_u32_e64 v27, s[14:15], 0, 0, vcc
	s_mov_b64 s[10:11], 0
	v_mov_b64_e32 v[14:15], 0
	s_mov_b64 s[14:15], 0x100
	v_mov_b64_e32 v[16:17], 0
	v_mov_b64_e32 v[18:19], 0
	;; [unrolled: 1-line block ×3, first 2 shown]
.LBB155_29:                             ; =>This Inner Loop Header: Depth=1
	global_load_dword v1, v[24:25], off
	global_load_dwordx4 v[28:31], v[12:13], off
	global_load_dwordx4 v[32:35], v[12:13], off offset:16
	global_load_dwordx4 v[36:39], v[12:13], off offset:32
	v_lshl_add_u64 v[26:27], v[26:27], 0, 1
	v_cmp_eq_u64_e32 vcc, 0, v[26:27]
	v_lshl_add_u64 v[4:5], v[4:5], 0, 4
	v_lshl_add_u64 v[24:25], v[24:25], 0, 16
	s_or_b64 s[10:11], vcc, s[10:11]
	s_waitcnt vmcnt(3)
	v_subrev_u32_e32 v1, s12, v1
	v_lshlrev_b32_e32 v40, 2, v1
	v_ashrrev_i32_e32 v41, 31, v40
	s_waitcnt lgkmcnt(0)
	v_lshl_add_u64 v[52:53], v[40:41], 3, s[4:5]
	global_load_dwordx4 v[40:43], v[52:53], off offset:16
	global_load_dwordx4 v[44:47], v[52:53], off
	global_load_dwordx4 v[48:51], v[12:13], off offset:48
	s_waitcnt vmcnt(5)
	v_cvt_f64_f32_e32 v[52:53], v28
	v_cvt_f64_f32_e32 v[28:29], v29
	v_cvt_f64_f32_e32 v[54:55], v30
	v_cvt_f64_f32_e32 v[30:31], v31
	s_waitcnt vmcnt(4)
	v_cvt_f64_f32_e32 v[56:57], v32
	v_cvt_f64_f32_e32 v[32:33], v33
	v_cvt_f64_f32_e32 v[58:59], v34
	v_cvt_f64_f32_e32 v[34:35], v35
	;; [unrolled: 5-line block ×3, first 2 shown]
	v_lshl_add_u64 v[12:13], v[12:13], 0, s[14:15]
	s_waitcnt vmcnt(1)
	v_fmac_f64_e32 v[20:21], v[52:53], v[44:45]
	v_fmac_f64_e32 v[18:19], v[28:29], v[44:45]
	;; [unrolled: 1-line block ×8, first 2 shown]
	s_waitcnt vmcnt(0)
	v_cvt_f64_f32_e32 v[64:65], v48
	v_cvt_f64_f32_e32 v[48:49], v49
	;; [unrolled: 1-line block ×4, first 2 shown]
	v_fmac_f64_e32 v[20:21], v[60:61], v[40:41]
	v_fmac_f64_e32 v[18:19], v[36:37], v[40:41]
	v_fmac_f64_e32 v[16:17], v[62:63], v[40:41]
	v_fmac_f64_e32 v[14:15], v[38:39], v[40:41]
	v_fmac_f64_e32 v[20:21], v[64:65], v[42:43]
	v_fmac_f64_e32 v[18:19], v[48:49], v[42:43]
	v_fmac_f64_e32 v[16:17], v[66:67], v[42:43]
	v_fmac_f64_e32 v[14:15], v[50:51], v[42:43]
	s_andn2_b64 exec, exec, s[10:11]
	s_cbranch_execnz .LBB155_29
; %bb.30:
	s_or_b64 exec, exec, s[10:11]
.LBB155_31:
	s_or_b64 exec, exec, s[2:3]
	v_cmp_lt_u64_e32 vcc, 11, v[22:23]
	s_and_saveexec_b64 s[2:3], vcc
	s_cbranch_execz .LBB155_35
; %bb.32:
	v_lshl_add_u64 v[22:23], v[4:5], 2, s[8:9]
	v_lshl_add_u64 v[22:23], v[22:23], 0, 32
	s_mov_b64 s[8:9], 0
	s_mov_b64 s[10:11], 0x400
.LBB155_33:                             ; =>This Inner Loop Header: Depth=1
	global_load_dwordx4 v[24:27], v[12:13], off
	global_load_dwordx4 v[28:31], v[12:13], off offset:16
	global_load_dwordx4 v[32:35], v[12:13], off offset:32
	;; [unrolled: 1-line block ×6, first 2 shown]
	global_load_dword v1, v[22:23], off offset:-32
	global_load_dword v11, v[22:23], off offset:-16
	global_load_dword v104, v[22:23], off
	global_load_dword v105, v[22:23], off offset:16
	v_lshl_add_u64 v[4:5], v[4:5], 0, 16
	v_cmp_ge_i64_e32 vcc, v[4:5], v[6:7]
	v_lshl_add_u64 v[22:23], v[22:23], 0, 64
	s_or_b64 s[8:9], vcc, s[8:9]
	s_waitcnt vmcnt(10)
	v_cvt_f64_f32_e32 v[52:53], v24
	v_cvt_f64_f32_e32 v[58:59], v25
	s_waitcnt vmcnt(8)
	v_cvt_f64_f32_e32 v[72:73], v32
	v_cvt_f64_f32_e32 v[74:75], v33
	;; [unrolled: 3-line block ×3, first 2 shown]
	v_cvt_f64_f32_e32 v[76:77], v34
	s_waitcnt vmcnt(3)
	v_subrev_u32_e32 v1, s12, v1
	v_lshlrev_b32_e32 v32, 2, v1
	v_ashrrev_i32_e32 v33, 31, v32
	s_waitcnt lgkmcnt(0)
	v_lshl_add_u64 v[42:43], v[32:33], 3, s[4:5]
	v_cvt_f64_f32_e32 v[78:79], v35
	global_load_dwordx4 v[32:35], v[42:43], off
	v_cvt_f64_f32_e32 v[80:81], v36
	v_cvt_f64_f32_e32 v[82:83], v37
	;; [unrolled: 1-line block ×4, first 2 shown]
	global_load_dwordx4 v[36:39], v[12:13], off offset:304
	v_cvt_f64_f32_e32 v[60:61], v26
	v_cvt_f64_f32_e32 v[62:63], v27
	;; [unrolled: 1-line block ×8, first 2 shown]
	s_waitcnt vmcnt(4)
	v_subrev_u32_e32 v1, s12, v11
	v_cvt_f64_f32_e32 v[88:89], v40
	v_cvt_f64_f32_e32 v[90:91], v41
	v_cvt_f64_f32_e32 v[54:55], v44
	v_cvt_f64_f32_e32 v[56:57], v45
	v_cvt_f64_f32_e32 v[44:45], v46
	v_cvt_f64_f32_e32 v[40:41], v47
	v_cvt_f64_f32_e32 v[24:25], v48
	v_cvt_f64_f32_e32 v[26:27], v49
	s_waitcnt vmcnt(1)
	v_fmac_f64_e32 v[20:21], v[52:53], v[32:33]
	v_fmac_f64_e32 v[18:19], v[58:59], v[32:33]
	;; [unrolled: 1-line block ×7, first 2 shown]
	global_load_dwordx4 v[50:53], v[12:13], off offset:512
	v_fmac_f64_e32 v[14:15], v[70:71], v[34:35]
	s_waitcnt vmcnt(1)
	v_cvt_f64_f32_e32 v[96:97], v36
	v_cvt_f64_f32_e32 v[98:99], v37
	;; [unrolled: 1-line block ×4, first 2 shown]
	global_load_dwordx4 v[32:35], v[42:43], off offset:16
	global_load_dwordx4 v[36:39], v[12:13], off offset:528
	global_load_dwordx4 v[60:63], v[12:13], off offset:544
	global_load_dwordx4 v[64:67], v[12:13], off offset:560
	global_load_dwordx4 v[68:71], v[12:13], off offset:768
	s_waitcnt vmcnt(5)
	v_cvt_f64_f32_e32 v[46:47], v50
	v_cvt_f64_f32_e32 v[48:49], v51
	;; [unrolled: 1-line block ×4, first 2 shown]
	s_waitcnt vmcnt(4)
	v_fmac_f64_e32 v[20:21], v[72:73], v[32:33]
	v_fmac_f64_e32 v[18:19], v[74:75], v[32:33]
	;; [unrolled: 1-line block ×4, first 2 shown]
	s_waitcnt vmcnt(2)
	v_cvt_f64_f32_e32 v[32:33], v60
	v_lshlrev_b32_e32 v60, 2, v1
	v_fmac_f64_e32 v[20:21], v[80:81], v[34:35]
	v_fmac_f64_e32 v[18:19], v[82:83], v[34:35]
	;; [unrolled: 1-line block ×4, first 2 shown]
	v_cvt_f64_f32_e32 v[34:35], v61
	v_ashrrev_i32_e32 v61, 31, v60
	v_lshl_add_u64 v[76:77], v[60:61], 3, s[4:5]
	v_cvt_f64_f32_e32 v[72:73], v36
	v_cvt_f64_f32_e32 v[74:75], v37
	;; [unrolled: 1-line block ×6, first 2 shown]
	global_load_dwordx4 v[60:63], v[76:77], off
	v_subrev_u32_e32 v1, s12, v104
	s_waitcnt vmcnt(0)
	v_fmac_f64_e32 v[20:21], v[88:89], v[60:61]
	v_fmac_f64_e32 v[18:19], v[90:91], v[60:61]
	;; [unrolled: 1-line block ×7, first 2 shown]
	v_cvt_f64_f32_e32 v[44:45], v64
	v_fmac_f64_e32 v[14:15], v[40:41], v[62:63]
	v_cvt_f64_f32_e32 v[40:41], v65
	v_cvt_f64_f32_e32 v[54:55], v66
	;; [unrolled: 1-line block ×7, first 2 shown]
	global_load_dwordx4 v[68:71], v[12:13], off offset:784
	s_waitcnt vmcnt(0)
	v_cvt_f64_f32_e32 v[78:79], v68
	v_cvt_f64_f32_e32 v[80:81], v69
	;; [unrolled: 1-line block ×4, first 2 shown]
	global_load_dwordx4 v[68:71], v[76:77], off offset:16
	s_waitcnt vmcnt(0)
	v_fmac_f64_e32 v[20:21], v[24:25], v[68:69]
	v_fmac_f64_e32 v[18:19], v[26:27], v[68:69]
	global_load_dwordx4 v[24:27], v[12:13], off offset:800
	v_fmac_f64_e32 v[16:17], v[28:29], v[68:69]
	v_fmac_f64_e32 v[14:15], v[30:31], v[68:69]
	;; [unrolled: 1-line block ×6, first 2 shown]
	s_waitcnt vmcnt(0)
	v_cvt_f64_f32_e32 v[68:69], v24
	v_cvt_f64_f32_e32 v[70:71], v25
	;; [unrolled: 1-line block ×4, first 2 shown]
	global_load_dwordx4 v[24:27], v[12:13], off offset:816
	v_lshl_add_u64 v[12:13], v[12:13], 0, s[10:11]
	s_waitcnt vmcnt(0)
	v_cvt_f64_f32_e32 v[88:89], v24
	v_lshlrev_b32_e32 v24, 2, v1
	v_cvt_f64_f32_e32 v[90:91], v25
	v_ashrrev_i32_e32 v25, 31, v24
	v_lshl_add_u64 v[28:29], v[24:25], 3, s[4:5]
	v_cvt_f64_f32_e32 v[92:93], v26
	v_cvt_f64_f32_e32 v[94:95], v27
	global_load_dwordx4 v[24:27], v[28:29], off
	v_subrev_u32_e32 v1, s12, v105
	global_load_dwordx4 v[28:31], v[28:29], off offset:16
	s_waitcnt vmcnt(1)
	v_fmac_f64_e32 v[20:21], v[46:47], v[24:25]
	v_fmac_f64_e32 v[18:19], v[48:49], v[24:25]
	v_fmac_f64_e32 v[16:17], v[50:51], v[24:25]
	v_fmac_f64_e32 v[14:15], v[52:53], v[24:25]
	v_lshlrev_b32_e32 v24, 2, v1
	v_ashrrev_i32_e32 v25, 31, v24
	v_lshl_add_u64 v[50:51], v[24:25], 3, s[4:5]
	v_fmac_f64_e32 v[20:21], v[72:73], v[26:27]
	v_fmac_f64_e32 v[18:19], v[74:75], v[26:27]
	;; [unrolled: 1-line block ×4, first 2 shown]
	global_load_dwordx4 v[24:27], v[50:51], off
	global_load_dwordx4 v[46:49], v[50:51], off offset:16
	s_waitcnt vmcnt(2)
	v_fmac_f64_e32 v[20:21], v[32:33], v[28:29]
	v_fmac_f64_e32 v[18:19], v[34:35], v[28:29]
	v_fmac_f64_e32 v[16:17], v[36:37], v[28:29]
	v_fmac_f64_e32 v[14:15], v[38:39], v[28:29]
	v_fmac_f64_e32 v[20:21], v[44:45], v[30:31]
	v_fmac_f64_e32 v[18:19], v[40:41], v[30:31]
	v_fmac_f64_e32 v[16:17], v[54:55], v[30:31]
	v_fmac_f64_e32 v[14:15], v[56:57], v[30:31]
	s_waitcnt vmcnt(1)
	v_fmac_f64_e32 v[20:21], v[60:61], v[24:25]
	v_fmac_f64_e32 v[18:19], v[62:63], v[24:25]
	v_fmac_f64_e32 v[16:17], v[64:65], v[24:25]
	v_fmac_f64_e32 v[14:15], v[66:67], v[24:25]
	v_fmac_f64_e32 v[20:21], v[78:79], v[26:27]
	v_fmac_f64_e32 v[18:19], v[80:81], v[26:27]
	v_fmac_f64_e32 v[16:17], v[82:83], v[26:27]
	v_fmac_f64_e32 v[14:15], v[84:85], v[26:27]
	s_waitcnt vmcnt(0)
	v_fmac_f64_e32 v[20:21], v[68:69], v[46:47]
	v_fmac_f64_e32 v[18:19], v[70:71], v[46:47]
	v_fmac_f64_e32 v[16:17], v[76:77], v[46:47]
	v_fmac_f64_e32 v[14:15], v[86:87], v[46:47]
	v_fmac_f64_e32 v[20:21], v[88:89], v[48:49]
	v_fmac_f64_e32 v[18:19], v[90:91], v[48:49]
	v_fmac_f64_e32 v[16:17], v[92:93], v[48:49]
	v_fmac_f64_e32 v[14:15], v[94:95], v[48:49]
	s_andn2_b64 exec, exec, s[8:9]
	s_cbranch_execnz .LBB155_33
; %bb.34:
	s_or_b64 exec, exec, s[8:9]
.LBB155_35:
	s_or_b64 exec, exec, s[2:3]
.LBB155_36:
	s_or_b64 exec, exec, s[6:7]
.LBB155_37:
	v_mov_b32_dpp v4, v20 row_shr:1 row_mask:0xf bank_mask:0xf
	v_mov_b32_dpp v5, v21 row_shr:1 row_mask:0xf bank_mask:0xf
	v_add_f64 v[4:5], v[20:21], v[4:5]
	v_mov_b32_dpp v12, v18 row_shr:1 row_mask:0xf bank_mask:0xf
	v_mov_b32_dpp v13, v19 row_shr:1 row_mask:0xf bank_mask:0xf
	;; [unrolled: 1-line block ×6, first 2 shown]
	v_add_f64 v[12:13], v[18:19], v[12:13]
	v_add_f64 v[16:17], v[16:17], v[20:21]
	;; [unrolled: 1-line block ×3, first 2 shown]
	v_mov_b32_dpp v6, v4 row_shr:2 row_mask:0xf bank_mask:0xf
	v_mov_b32_dpp v7, v5 row_shr:2 row_mask:0xf bank_mask:0xf
	;; [unrolled: 1-line block ×8, first 2 shown]
	v_cmp_eq_u32_e32 vcc, 3, v0
	s_and_b64 exec, exec, vcc
	s_cbranch_execz .LBB155_10
; %bb.38:
	s_load_dwordx2 s[0:1], s[0:1], 0x50
	v_add_f64 v[0:1], v[4:5], v[6:7]
	v_add_f64 v[6:7], v[12:13], v[18:19]
	;; [unrolled: 1-line block ×4, first 2 shown]
	v_cmp_eq_f64_e32 vcc, 0, v[8:9]
	v_mul_f64 v[4:5], v[2:3], v[0:1]
	v_mul_f64 v[6:7], v[2:3], v[6:7]
	;; [unrolled: 1-line block ×4, first 2 shown]
	v_lshlrev_b32_e32 v10, 2, v10
	s_and_saveexec_b64 s[2:3], vcc
	s_xor_b64 s[2:3], exec, s[2:3]
	s_cbranch_execz .LBB155_40
; %bb.39:
	v_ashrrev_i32_e32 v11, 31, v10
	s_waitcnt lgkmcnt(0)
	v_lshl_add_u64 v[8:9], v[10:11], 3, s[0:1]
	global_store_dwordx4 v[8:9], v[4:7], off
	global_store_dwordx4 v[8:9], v[0:3], off offset:16
                                        ; implicit-def: $vgpr10
                                        ; implicit-def: $vgpr8_vgpr9
                                        ; implicit-def: $vgpr4_vgpr5
                                        ; implicit-def: $vgpr0_vgpr1
.LBB155_40:
	s_andn2_saveexec_b64 s[2:3], s[2:3]
	s_cbranch_execz .LBB155_10
; %bb.41:
	v_ashrrev_i32_e32 v11, 31, v10
	s_waitcnt lgkmcnt(0)
	v_lshl_add_u64 v[18:19], v[10:11], 3, s[0:1]
	global_load_dwordx4 v[10:13], v[18:19], off
	global_load_dwordx4 v[14:17], v[18:19], off offset:16
	s_waitcnt vmcnt(1)
	v_fmac_f64_e32 v[4:5], v[8:9], v[10:11]
	v_fmac_f64_e32 v[6:7], v[8:9], v[12:13]
	s_waitcnt vmcnt(0)
	v_fmac_f64_e32 v[0:1], v[8:9], v[14:15]
	v_fmac_f64_e32 v[2:3], v[8:9], v[16:17]
	global_store_dwordx4 v[18:19], v[4:7], off
	global_store_dwordx4 v[18:19], v[0:3], off offset:16
	s_endpgm
	.section	.rodata,"a",@progbits
	.p2align	6, 0x0
	.amdhsa_kernel _ZN9rocsparseL18bsrxmvn_4x4_kernelILj128ELj4EdlifddEEvT3_20rocsparse_direction_NS_24const_host_device_scalarIT1_EES1_PKS1_PKT2_SA_S7_PKT4_PKT5_S5_PT6_21rocsparse_index_base_b
		.amdhsa_group_segment_fixed_size 0
		.amdhsa_private_segment_fixed_size 0
		.amdhsa_kernarg_size 96
		.amdhsa_user_sgpr_count 2
		.amdhsa_user_sgpr_dispatch_ptr 0
		.amdhsa_user_sgpr_queue_ptr 0
		.amdhsa_user_sgpr_kernarg_segment_ptr 1
		.amdhsa_user_sgpr_dispatch_id 0
		.amdhsa_user_sgpr_kernarg_preload_length 0
		.amdhsa_user_sgpr_kernarg_preload_offset 0
		.amdhsa_user_sgpr_private_segment_size 0
		.amdhsa_uses_dynamic_stack 0
		.amdhsa_enable_private_segment 0
		.amdhsa_system_sgpr_workgroup_id_x 1
		.amdhsa_system_sgpr_workgroup_id_y 0
		.amdhsa_system_sgpr_workgroup_id_z 0
		.amdhsa_system_sgpr_workgroup_info 0
		.amdhsa_system_vgpr_workitem_id 0
		.amdhsa_next_free_vgpr 118
		.amdhsa_next_free_sgpr 18
		.amdhsa_accum_offset 120
		.amdhsa_reserve_vcc 1
		.amdhsa_float_round_mode_32 0
		.amdhsa_float_round_mode_16_64 0
		.amdhsa_float_denorm_mode_32 3
		.amdhsa_float_denorm_mode_16_64 3
		.amdhsa_dx10_clamp 1
		.amdhsa_ieee_mode 1
		.amdhsa_fp16_overflow 0
		.amdhsa_tg_split 0
		.amdhsa_exception_fp_ieee_invalid_op 0
		.amdhsa_exception_fp_denorm_src 0
		.amdhsa_exception_fp_ieee_div_zero 0
		.amdhsa_exception_fp_ieee_overflow 0
		.amdhsa_exception_fp_ieee_underflow 0
		.amdhsa_exception_fp_ieee_inexact 0
		.amdhsa_exception_int_div_zero 0
	.end_amdhsa_kernel
	.section	.text._ZN9rocsparseL18bsrxmvn_4x4_kernelILj128ELj4EdlifddEEvT3_20rocsparse_direction_NS_24const_host_device_scalarIT1_EES1_PKS1_PKT2_SA_S7_PKT4_PKT5_S5_PT6_21rocsparse_index_base_b,"axG",@progbits,_ZN9rocsparseL18bsrxmvn_4x4_kernelILj128ELj4EdlifddEEvT3_20rocsparse_direction_NS_24const_host_device_scalarIT1_EES1_PKS1_PKT2_SA_S7_PKT4_PKT5_S5_PT6_21rocsparse_index_base_b,comdat
.Lfunc_end155:
	.size	_ZN9rocsparseL18bsrxmvn_4x4_kernelILj128ELj4EdlifddEEvT3_20rocsparse_direction_NS_24const_host_device_scalarIT1_EES1_PKS1_PKT2_SA_S7_PKT4_PKT5_S5_PT6_21rocsparse_index_base_b, .Lfunc_end155-_ZN9rocsparseL18bsrxmvn_4x4_kernelILj128ELj4EdlifddEEvT3_20rocsparse_direction_NS_24const_host_device_scalarIT1_EES1_PKS1_PKT2_SA_S7_PKT4_PKT5_S5_PT6_21rocsparse_index_base_b
                                        ; -- End function
	.set _ZN9rocsparseL18bsrxmvn_4x4_kernelILj128ELj4EdlifddEEvT3_20rocsparse_direction_NS_24const_host_device_scalarIT1_EES1_PKS1_PKT2_SA_S7_PKT4_PKT5_S5_PT6_21rocsparse_index_base_b.num_vgpr, 118
	.set _ZN9rocsparseL18bsrxmvn_4x4_kernelILj128ELj4EdlifddEEvT3_20rocsparse_direction_NS_24const_host_device_scalarIT1_EES1_PKS1_PKT2_SA_S7_PKT4_PKT5_S5_PT6_21rocsparse_index_base_b.num_agpr, 0
	.set _ZN9rocsparseL18bsrxmvn_4x4_kernelILj128ELj4EdlifddEEvT3_20rocsparse_direction_NS_24const_host_device_scalarIT1_EES1_PKS1_PKT2_SA_S7_PKT4_PKT5_S5_PT6_21rocsparse_index_base_b.numbered_sgpr, 18
	.set _ZN9rocsparseL18bsrxmvn_4x4_kernelILj128ELj4EdlifddEEvT3_20rocsparse_direction_NS_24const_host_device_scalarIT1_EES1_PKS1_PKT2_SA_S7_PKT4_PKT5_S5_PT6_21rocsparse_index_base_b.num_named_barrier, 0
	.set _ZN9rocsparseL18bsrxmvn_4x4_kernelILj128ELj4EdlifddEEvT3_20rocsparse_direction_NS_24const_host_device_scalarIT1_EES1_PKS1_PKT2_SA_S7_PKT4_PKT5_S5_PT6_21rocsparse_index_base_b.private_seg_size, 0
	.set _ZN9rocsparseL18bsrxmvn_4x4_kernelILj128ELj4EdlifddEEvT3_20rocsparse_direction_NS_24const_host_device_scalarIT1_EES1_PKS1_PKT2_SA_S7_PKT4_PKT5_S5_PT6_21rocsparse_index_base_b.uses_vcc, 1
	.set _ZN9rocsparseL18bsrxmvn_4x4_kernelILj128ELj4EdlifddEEvT3_20rocsparse_direction_NS_24const_host_device_scalarIT1_EES1_PKS1_PKT2_SA_S7_PKT4_PKT5_S5_PT6_21rocsparse_index_base_b.uses_flat_scratch, 0
	.set _ZN9rocsparseL18bsrxmvn_4x4_kernelILj128ELj4EdlifddEEvT3_20rocsparse_direction_NS_24const_host_device_scalarIT1_EES1_PKS1_PKT2_SA_S7_PKT4_PKT5_S5_PT6_21rocsparse_index_base_b.has_dyn_sized_stack, 0
	.set _ZN9rocsparseL18bsrxmvn_4x4_kernelILj128ELj4EdlifddEEvT3_20rocsparse_direction_NS_24const_host_device_scalarIT1_EES1_PKS1_PKT2_SA_S7_PKT4_PKT5_S5_PT6_21rocsparse_index_base_b.has_recursion, 0
	.set _ZN9rocsparseL18bsrxmvn_4x4_kernelILj128ELj4EdlifddEEvT3_20rocsparse_direction_NS_24const_host_device_scalarIT1_EES1_PKS1_PKT2_SA_S7_PKT4_PKT5_S5_PT6_21rocsparse_index_base_b.has_indirect_call, 0
	.section	.AMDGPU.csdata,"",@progbits
; Kernel info:
; codeLenInByte = 3828
; TotalNumSgprs: 24
; NumVgprs: 118
; NumAgprs: 0
; TotalNumVgprs: 118
; ScratchSize: 0
; MemoryBound: 0
; FloatMode: 240
; IeeeMode: 1
; LDSByteSize: 0 bytes/workgroup (compile time only)
; SGPRBlocks: 2
; VGPRBlocks: 14
; NumSGPRsForWavesPerEU: 24
; NumVGPRsForWavesPerEU: 118
; AccumOffset: 120
; Occupancy: 4
; WaveLimiterHint : 1
; COMPUTE_PGM_RSRC2:SCRATCH_EN: 0
; COMPUTE_PGM_RSRC2:USER_SGPR: 2
; COMPUTE_PGM_RSRC2:TRAP_HANDLER: 0
; COMPUTE_PGM_RSRC2:TGID_X_EN: 1
; COMPUTE_PGM_RSRC2:TGID_Y_EN: 0
; COMPUTE_PGM_RSRC2:TGID_Z_EN: 0
; COMPUTE_PGM_RSRC2:TIDIG_COMP_CNT: 0
; COMPUTE_PGM_RSRC3_GFX90A:ACCUM_OFFSET: 29
; COMPUTE_PGM_RSRC3_GFX90A:TG_SPLIT: 0
	.section	.text._ZN9rocsparseL18bsrxmvn_4x4_kernelILj128ELj8EdlifddEEvT3_20rocsparse_direction_NS_24const_host_device_scalarIT1_EES1_PKS1_PKT2_SA_S7_PKT4_PKT5_S5_PT6_21rocsparse_index_base_b,"axG",@progbits,_ZN9rocsparseL18bsrxmvn_4x4_kernelILj128ELj8EdlifddEEvT3_20rocsparse_direction_NS_24const_host_device_scalarIT1_EES1_PKS1_PKT2_SA_S7_PKT4_PKT5_S5_PT6_21rocsparse_index_base_b,comdat
	.globl	_ZN9rocsparseL18bsrxmvn_4x4_kernelILj128ELj8EdlifddEEvT3_20rocsparse_direction_NS_24const_host_device_scalarIT1_EES1_PKS1_PKT2_SA_S7_PKT4_PKT5_S5_PT6_21rocsparse_index_base_b ; -- Begin function _ZN9rocsparseL18bsrxmvn_4x4_kernelILj128ELj8EdlifddEEvT3_20rocsparse_direction_NS_24const_host_device_scalarIT1_EES1_PKS1_PKT2_SA_S7_PKT4_PKT5_S5_PT6_21rocsparse_index_base_b
	.p2align	8
	.type	_ZN9rocsparseL18bsrxmvn_4x4_kernelILj128ELj8EdlifddEEvT3_20rocsparse_direction_NS_24const_host_device_scalarIT1_EES1_PKS1_PKT2_SA_S7_PKT4_PKT5_S5_PT6_21rocsparse_index_base_b,@function
_ZN9rocsparseL18bsrxmvn_4x4_kernelILj128ELj8EdlifddEEvT3_20rocsparse_direction_NS_24const_host_device_scalarIT1_EES1_PKS1_PKT2_SA_S7_PKT4_PKT5_S5_PT6_21rocsparse_index_base_b: ; @_ZN9rocsparseL18bsrxmvn_4x4_kernelILj128ELj8EdlifddEEvT3_20rocsparse_direction_NS_24const_host_device_scalarIT1_EES1_PKS1_PKT2_SA_S7_PKT4_PKT5_S5_PT6_21rocsparse_index_base_b
; %bb.0:
	s_load_dwordx2 s[12:13], s[0:1], 0x58
	s_load_dwordx2 s[8:9], s[0:1], 0x8
	;; [unrolled: 1-line block ×3, first 2 shown]
	s_waitcnt lgkmcnt(0)
	s_bitcmp1_b32 s13, 0
	s_cselect_b64 s[10:11], -1, 0
	s_xor_b64 s[6:7], s[10:11], -1
	s_and_b64 vcc, exec, s[10:11]
	v_mov_b64_e32 v[2:3], s[8:9]
	s_cbranch_vccnz .LBB156_2
; %bb.1:
	v_mov_b64_e32 v[2:3], s[8:9]
	flat_load_dwordx2 v[2:3], v[2:3]
.LBB156_2:
	s_andn2_b64 vcc, exec, s[6:7]
	v_mov_b64_e32 v[8:9], s[4:5]
	s_cbranch_vccnz .LBB156_4
; %bb.3:
	v_mov_b64_e32 v[4:5], s[4:5]
	flat_load_dwordx2 v[8:9], v[4:5]
.LBB156_4:
	s_waitcnt vmcnt(0) lgkmcnt(0)
	v_cmp_neq_f64_e32 vcc, 0, v[2:3]
	v_cmp_neq_f64_e64 s[4:5], 1.0, v[8:9]
	s_mov_b64 s[6:7], 0
	s_or_b64 s[4:5], vcc, s[4:5]
	s_and_saveexec_b64 s[8:9], s[4:5]
	s_cbranch_execz .LBB156_10
; %bb.5:
	s_load_dwordx2 s[4:5], s[0:1], 0x18
	s_load_dwordx2 s[14:15], s[0:1], 0x0
	v_lshrrev_b32_e32 v1, 3, v0
	v_lshl_or_b32 v10, s2, 4, v1
	s_mov_b64 s[2:3], 0
	s_waitcnt lgkmcnt(0)
	s_cmp_lg_u64 s[4:5], 0
	s_cbranch_scc0 .LBB156_11
; %bb.6:
	s_load_dword s6, s[0:1], 0x10
                                        ; implicit-def: $vgpr1
	s_waitcnt lgkmcnt(0)
	v_cmp_gt_i32_e32 vcc, s6, v10
	s_and_saveexec_b64 s[6:7], vcc
	s_xor_b64 s[6:7], exec, s[6:7]
	s_cbranch_execz .LBB156_8
; %bb.7:
	v_ashrrev_i32_e32 v11, 31, v10
	v_lshl_add_u64 v[4:5], v[10:11], 2, s[4:5]
	global_load_dword v1, v[4:5], off
	s_mov_b64 s[2:3], exec
	s_waitcnt vmcnt(0)
	v_subrev_u32_e32 v1, s12, v1
.LBB156_8:
	s_or_b64 exec, exec, s[6:7]
	s_mov_b64 s[6:7], s[2:3]
	s_branch .LBB156_12
.LBB156_9:
	v_cmp_gt_i32_e32 vcc, s14, v10
	s_andn2_b64 s[2:3], s[6:7], exec
	s_and_b64 s[4:5], vcc, exec
	s_or_b64 s[6:7], s[2:3], s[4:5]
	s_and_b64 exec, exec, s[6:7]
	s_cbranch_execnz .LBB156_13
.LBB156_10:
	s_endpgm
.LBB156_11:
                                        ; implicit-def: $vgpr1
	s_cbranch_execnz .LBB156_9
.LBB156_12:
	v_mov_b32_e32 v10, v1
	s_and_b64 exec, exec, s[6:7]
	s_cbranch_execz .LBB156_10
.LBB156_13:
	s_load_dwordx8 s[4:11], s[0:1], 0x20
	v_ashrrev_i32_e32 v11, 31, v10
	v_lshlrev_b64 v[4:5], 3, v[10:11]
	v_and_b32_e32 v0, 7, v0
	v_mov_b32_e32 v1, 0
	s_waitcnt lgkmcnt(0)
	v_lshl_add_u64 v[6:7], s[4:5], 0, v[4:5]
	s_cmp_eq_u64 s[6:7], 0
	v_lshl_add_u64 v[4:5], s[6:7], 0, v[4:5]
	global_load_dwordx2 v[22:23], v[6:7], off
	v_lshl_add_u64 v[6:7], v[6:7], 0, 8
	s_cselect_b64 vcc, -1, 0
	v_cndmask_b32_e32 v5, v5, v7, vcc
	v_cndmask_b32_e32 v4, v4, v6, vcc
	global_load_dwordx2 v[6:7], v[4:5], off
	s_load_dwordx2 s[4:5], s[0:1], 0x40
	s_cmp_eq_u32 s15, 1
	s_waitcnt vmcnt(1)
	v_subrev_co_u32_e32 v4, vcc, s12, v22
	s_nop 1
	v_subbrev_co_u32_e32 v5, vcc, 0, v23, vcc
	v_lshl_add_u64 v[4:5], v[4:5], 0, v[0:1]
	s_waitcnt vmcnt(0)
	v_subrev_co_u32_e32 v6, vcc, s12, v6
	v_lshlrev_b64 v[12:13], 6, v[4:5]
	s_nop 0
	v_subbrev_co_u32_e32 v7, vcc, 0, v7, vcc
	v_lshl_add_u64 v[12:13], s[10:11], 0, v[12:13]
	v_cmp_lt_i64_e64 s[2:3], v[4:5], v[6:7]
	s_cbranch_scc1 .LBB156_25
; %bb.14:
	v_mov_b64_e32 v[14:15], 0
	v_mov_b64_e32 v[16:17], 0
	;; [unrolled: 1-line block ×4, first 2 shown]
	s_and_saveexec_b64 s[6:7], s[2:3]
	s_cbranch_execz .LBB156_24
; %bb.15:
	v_or_b32_e32 v1, 8, v0
	v_subrev_co_u32_e32 v14, vcc, s12, v1
	v_not_b32_e32 v17, v23
	s_nop 0
	v_subb_co_u32_e64 v15, s[10:11], 0, 0, vcc
	v_lshl_add_u64 v[14:15], v[14:15], 0, v[22:23]
	v_cmp_gt_i64_e32 vcc, v[14:15], v[6:7]
	v_not_b32_e32 v16, v22
	v_mov_b64_e32 v[20:21], 0
	v_cndmask_b32_e32 v15, v7, v15, vcc
	v_cndmask_b32_e32 v14, v6, v14, vcc
	v_sub_co_u32_e32 v18, vcc, s12, v0
	v_mov_b64_e32 v[24:25], v[4:5]
	s_nop 0
	v_subb_co_u32_e64 v19, s[10:11], 0, 0, vcc
	v_lshl_add_u64 v[16:17], v[18:19], 0, v[16:17]
	v_lshl_add_u64 v[28:29], v[16:17], 0, v[14:15]
	v_and_b32_e32 v14, 24, v28
	v_mov_b32_e32 v15, 0
	v_cmp_ne_u64_e32 vcc, 24, v[14:15]
	v_mov_b64_e32 v[18:19], 0
	v_mov_b64_e32 v[16:17], 0
	;; [unrolled: 1-line block ×4, first 2 shown]
	s_and_saveexec_b64 s[10:11], vcc
	s_cbranch_execz .LBB156_19
; %bb.16:
	v_lshrrev_b32_e32 v1, 3, v28
	v_add_u32_e32 v1, 1, v1
	v_and_b32_e32 v1, 3, v1
	v_sub_co_u32_e32 v32, vcc, 0, v1
	v_lshl_add_u64 v[30:31], v[4:5], 2, s[8:9]
	s_nop 0
	v_subb_co_u32_e64 v33, s[16:17], 0, 0, vcc
	s_mov_b64 s[14:15], 0
	v_mov_b64_e32 v[14:15], 0
	s_mov_b64 s[16:17], 0x200
	v_mov_b64_e32 v[26:27], v[12:13]
	v_mov_b64_e32 v[24:25], v[4:5]
	;; [unrolled: 1-line block ×5, first 2 shown]
.LBB156_17:                             ; =>This Inner Loop Header: Depth=1
	global_load_dword v1, v[30:31], off
	global_load_dwordx4 v[34:37], v[26:27], off
	global_load_dwordx4 v[38:41], v[26:27], off offset:16
	global_load_dwordx4 v[42:45], v[26:27], off offset:32
	;; [unrolled: 1-line block ×3, first 2 shown]
	v_lshl_add_u64 v[32:33], v[32:33], 0, 1
	v_cmp_eq_u64_e32 vcc, 0, v[32:33]
	v_lshl_add_u64 v[26:27], v[26:27], 0, s[16:17]
	v_lshl_add_u64 v[24:25], v[24:25], 0, 8
	;; [unrolled: 1-line block ×3, first 2 shown]
	s_or_b64 s[14:15], vcc, s[14:15]
	s_waitcnt vmcnt(4)
	v_subrev_u32_e32 v1, s12, v1
	v_lshlrev_b32_e32 v50, 2, v1
	v_ashrrev_i32_e32 v51, 31, v50
	s_waitcnt lgkmcnt(0)
	v_lshl_add_u64 v[58:59], v[50:51], 3, s[4:5]
	global_load_dwordx4 v[50:53], v[58:59], off
	global_load_dwordx4 v[54:57], v[58:59], off offset:16
	s_waitcnt vmcnt(5)
	v_cvt_f64_f32_e32 v[58:59], v34
	s_waitcnt vmcnt(4)
	v_cvt_f64_f32_e32 v[62:63], v38
	s_waitcnt vmcnt(3)
	v_cvt_f64_f32_e32 v[66:67], v42
	s_waitcnt vmcnt(2)
	v_cvt_f64_f32_e32 v[70:71], v46
	v_cvt_f64_f32_e32 v[34:35], v35
	v_cvt_f64_f32_e32 v[38:39], v39
	;; [unrolled: 1-line block ×12, first 2 shown]
	s_waitcnt vmcnt(1)
	v_fmac_f64_e32 v[20:21], v[58:59], v[50:51]
	v_fmac_f64_e32 v[18:19], v[62:63], v[50:51]
	;; [unrolled: 1-line block ×8, first 2 shown]
	s_waitcnt vmcnt(0)
	v_fmac_f64_e32 v[20:21], v[60:61], v[54:55]
	v_fmac_f64_e32 v[18:19], v[64:65], v[54:55]
	;; [unrolled: 1-line block ×8, first 2 shown]
	s_andn2_b64 exec, exec, s[14:15]
	s_cbranch_execnz .LBB156_17
; %bb.18:
	s_or_b64 exec, exec, s[14:15]
.LBB156_19:
	s_or_b64 exec, exec, s[10:11]
	v_cmp_lt_u64_e32 vcc, 23, v[28:29]
	s_and_saveexec_b64 s[10:11], vcc
	s_cbranch_execz .LBB156_23
; %bb.20:
	v_lshl_add_u64 v[28:29], v[24:25], 2, s[8:9]
	v_lshl_add_u64 v[28:29], v[28:29], 0, 64
	s_mov_b64 s[14:15], 0
	s_mov_b64 s[16:17], 0x800
	;; [unrolled: 1-line block ×3, first 2 shown]
.LBB156_21:                             ; =>This Inner Loop Header: Depth=1
	global_load_dwordx4 v[30:33], v[26:27], off
	global_load_dwordx4 v[34:37], v[26:27], off offset:16
	global_load_dwordx4 v[38:41], v[26:27], off offset:32
	;; [unrolled: 1-line block ×7, first 2 shown]
	global_load_dword v1, v[28:29], off offset:-64
	v_lshl_add_u64 v[24:25], v[24:25], 0, 32
	v_cmp_ge_i64_e32 vcc, v[24:25], v[6:7]
	s_or_b64 s[14:15], vcc, s[14:15]
	s_waitcnt vmcnt(8)
	v_cvt_f64_f32_e32 v[76:77], v32
	v_cvt_f64_f32_e32 v[78:79], v33
	s_waitcnt vmcnt(6)
	v_cvt_f64_f32_e32 v[104:105], v38
	v_cvt_f64_f32_e32 v[106:107], v39
	;; [unrolled: 1-line block ×4, first 2 shown]
	global_load_dwordx4 v[38:41], v[26:27], off offset:1024
	s_waitcnt vmcnt(6)
	v_cvt_f64_f32_e32 v[114:115], v44
	s_waitcnt vmcnt(1)
	v_subrev_u32_e32 v1, s12, v1
	v_cvt_f64_f32_e32 v[116:117], v45
	v_cvt_f64_f32_e32 v[90:91], v46
	;; [unrolled: 1-line block ×3, first 2 shown]
	global_load_dwordx4 v[44:47], v[26:27], off offset:1040
	v_cvt_f64_f32_e32 v[54:55], v30
	v_cvt_f64_f32_e32 v[70:71], v31
	;; [unrolled: 1-line block ×22, first 2 shown]
	s_waitcnt vmcnt(1)
	v_cvt_f64_f32_e32 v[32:33], v40
	v_lshlrev_b32_e32 v40, 2, v1
	v_cvt_f64_f32_e32 v[30:31], v41
	v_ashrrev_i32_e32 v41, 31, v40
	s_waitcnt lgkmcnt(0)
	v_lshl_add_u64 v[64:65], v[40:41], 3, s[4:5]
	global_load_dwordx4 v[40:43], v[64:65], off
	global_load_dword v1, v[28:29], off offset:-32
	v_cvt_f64_f32_e32 v[50:51], v38
	v_cvt_f64_f32_e32 v[38:39], v39
	s_waitcnt vmcnt(1)
	v_fmac_f64_e32 v[20:21], v[54:55], v[40:41]
	v_fmac_f64_e32 v[20:21], v[70:71], v[42:43]
	global_load_dwordx4 v[68:71], v[26:27], off offset:1056
	v_fmac_f64_e32 v[18:19], v[82:83], v[40:41]
	v_fmac_f64_e32 v[16:17], v[104:105], v[40:41]
	;; [unrolled: 1-line block ×6, first 2 shown]
	v_cvt_f64_f32_e32 v[84:85], v44
	v_cvt_f64_f32_e32 v[54:55], v45
	;; [unrolled: 1-line block ×4, first 2 shown]
	s_waitcnt vmcnt(1)
	v_subrev_u32_e32 v1, s12, v1
	s_waitcnt vmcnt(0)
	v_cvt_f64_f32_e32 v[82:83], v68
	v_cvt_f64_f32_e32 v[48:49], v69
	;; [unrolled: 1-line block ×4, first 2 shown]
	global_load_dwordx4 v[68:71], v[64:65], off offset:16
	s_waitcnt vmcnt(0)
	v_fmac_f64_e32 v[18:19], v[86:87], v[68:69]
	v_fmac_f64_e32 v[20:21], v[76:77], v[68:69]
	;; [unrolled: 1-line block ×3, first 2 shown]
	global_load_dwordx4 v[74:77], v[26:27], off offset:1072
	global_load_dwordx4 v[102:105], v[26:27], off offset:1536
	v_fmac_f64_e32 v[16:17], v[108:109], v[68:69]
	v_fmac_f64_e32 v[20:21], v[78:79], v[70:71]
	;; [unrolled: 1-line block ×5, first 2 shown]
	s_waitcnt vmcnt(1)
	v_cvt_f64_f32_e32 v[64:65], v76
	s_waitcnt vmcnt(0)
	v_cvt_f64_f32_e32 v[78:79], v102
	v_lshlrev_b32_e32 v102, 2, v1
	v_cvt_f64_f32_e32 v[60:61], v77
	v_cvt_f64_f32_e32 v[76:77], v103
	v_ashrrev_i32_e32 v103, 31, v102
	v_lshl_add_u64 v[106:107], v[102:103], 3, s[4:5]
	v_cvt_f64_f32_e32 v[86:87], v74
	v_cvt_f64_f32_e32 v[70:71], v75
	;; [unrolled: 1-line block ×4, first 2 shown]
	global_load_dwordx4 v[102:105], v[106:107], off
	s_waitcnt vmcnt(0)
	v_fmac_f64_e32 v[20:21], v[90:91], v[102:103]
	v_fmac_f64_e32 v[18:19], v[94:95], v[102:103]
	;; [unrolled: 1-line block ×7, first 2 shown]
	global_load_dwordx4 v[88:91], v[26:27], off offset:1552
	v_fmac_f64_e32 v[14:15], v[80:81], v[104:105]
	global_load_dwordx4 v[102:105], v[26:27], off offset:1568
	s_waitcnt vmcnt(1)
	v_cvt_f64_f32_e32 v[96:97], v88
	v_cvt_f64_f32_e32 v[92:93], v89
	;; [unrolled: 1-line block ×4, first 2 shown]
	s_waitcnt vmcnt(0)
	v_cvt_f64_f32_e32 v[100:101], v102
	v_cvt_f64_f32_e32 v[98:99], v103
	;; [unrolled: 1-line block ×4, first 2 shown]
	global_load_dwordx4 v[102:105], v[106:107], off offset:16
	s_waitcnt vmcnt(0)
	v_fmac_f64_e32 v[18:19], v[62:63], v[102:103]
	v_fmac_f64_e32 v[20:21], v[56:57], v[102:103]
	;; [unrolled: 1-line block ×3, first 2 shown]
	global_load_dwordx4 v[56:59], v[26:27], off offset:1584
	global_load_dword v1, v[28:29], off
	v_fmac_f64_e32 v[16:17], v[66:67], v[102:103]
	v_fmac_f64_e32 v[16:17], v[34:35], v[104:105]
	;; [unrolled: 1-line block ×5, first 2 shown]
	v_lshl_add_u64 v[26:27], v[26:27], 0, s[16:17]
	s_waitcnt vmcnt(1)
	v_cvt_f64_f32_e32 v[62:63], v56
	s_waitcnt vmcnt(0)
	v_subrev_u32_e32 v1, s12, v1
	v_lshlrev_b32_e32 v34, 2, v1
	v_ashrrev_i32_e32 v35, 31, v34
	v_lshl_add_u64 v[52:53], v[34:35], 3, s[4:5]
	global_load_dword v1, v[28:29], off offset:32
	global_load_dwordx4 v[34:37], v[52:53], off
	v_cvt_f64_f32_e32 v[66:67], v57
	v_cvt_f64_f32_e32 v[72:73], v58
	;; [unrolled: 1-line block ×3, first 2 shown]
	v_lshl_add_u64 v[28:29], v[28:29], 0, s[18:19]
	s_waitcnt vmcnt(1)
	v_subrev_u32_e32 v1, s12, v1
	s_waitcnt vmcnt(0)
	v_fmac_f64_e32 v[20:21], v[50:51], v[34:35]
	v_lshlrev_b32_e32 v50, 2, v1
	v_ashrrev_i32_e32 v51, 31, v50
	v_fmac_f64_e32 v[18:19], v[84:85], v[34:35]
	v_lshl_add_u64 v[84:85], v[50:51], 3, s[4:5]
	global_load_dwordx4 v[50:53], v[52:53], off offset:16
	v_fmac_f64_e32 v[16:17], v[82:83], v[34:35]
	global_load_dwordx4 v[56:59], v[84:85], off
	v_fmac_f64_e32 v[14:15], v[86:87], v[34:35]
	global_load_dwordx4 v[82:85], v[84:85], off offset:16
	v_fmac_f64_e32 v[20:21], v[38:39], v[36:37]
	v_fmac_f64_e32 v[18:19], v[54:55], v[36:37]
	v_fmac_f64_e32 v[16:17], v[48:49], v[36:37]
	v_fmac_f64_e32 v[14:15], v[70:71], v[36:37]
	s_waitcnt vmcnt(2)
	v_fmac_f64_e32 v[20:21], v[32:33], v[50:51]
	v_fmac_f64_e32 v[18:19], v[42:43], v[50:51]
	v_fmac_f64_e32 v[16:17], v[46:47], v[50:51]
	v_fmac_f64_e32 v[14:15], v[64:65], v[50:51]
	v_fmac_f64_e32 v[20:21], v[30:31], v[52:53]
	v_fmac_f64_e32 v[18:19], v[40:41], v[52:53]
	v_fmac_f64_e32 v[16:17], v[44:45], v[52:53]
	v_fmac_f64_e32 v[14:15], v[60:61], v[52:53]
	s_waitcnt vmcnt(1)
	v_fmac_f64_e32 v[20:21], v[78:79], v[56:57]
	v_fmac_f64_e32 v[18:19], v[96:97], v[56:57]
	v_fmac_f64_e32 v[16:17], v[100:101], v[56:57]
	v_fmac_f64_e32 v[14:15], v[62:63], v[56:57]
	;; [unrolled: 9-line block ×3, first 2 shown]
	v_fmac_f64_e32 v[20:21], v[68:69], v[84:85]
	v_fmac_f64_e32 v[18:19], v[80:81], v[84:85]
	v_fmac_f64_e32 v[16:17], v[90:91], v[84:85]
	v_fmac_f64_e32 v[14:15], v[102:103], v[84:85]
	s_andn2_b64 exec, exec, s[14:15]
	s_cbranch_execnz .LBB156_21
; %bb.22:
	s_or_b64 exec, exec, s[14:15]
.LBB156_23:
	s_or_b64 exec, exec, s[10:11]
.LBB156_24:
	s_or_b64 exec, exec, s[6:7]
	s_cbranch_execz .LBB156_26
	s_branch .LBB156_37
.LBB156_25:
                                        ; implicit-def: $vgpr14_vgpr15
                                        ; implicit-def: $vgpr16_vgpr17
                                        ; implicit-def: $vgpr18_vgpr19
                                        ; implicit-def: $vgpr20_vgpr21
.LBB156_26:
	v_mov_b64_e32 v[14:15], 0
	v_mov_b64_e32 v[16:17], 0
	;; [unrolled: 1-line block ×4, first 2 shown]
	s_and_saveexec_b64 s[6:7], s[2:3]
	s_cbranch_execz .LBB156_36
; %bb.27:
	v_or_b32_e32 v1, 8, v0
	v_subrev_co_u32_e32 v14, vcc, s12, v1
	v_not_b32_e32 v17, v23
	s_nop 0
	v_subb_co_u32_e64 v15, s[2:3], 0, 0, vcc
	v_lshl_add_u64 v[14:15], v[14:15], 0, v[22:23]
	v_cmp_gt_i64_e32 vcc, v[14:15], v[6:7]
	v_not_b32_e32 v16, v22
	v_mov_b64_e32 v[20:21], 0
	v_cndmask_b32_e32 v15, v7, v15, vcc
	v_cndmask_b32_e32 v14, v6, v14, vcc
	v_sub_co_u32_e32 v18, vcc, s12, v0
	s_nop 1
	v_subb_co_u32_e64 v19, s[2:3], 0, 0, vcc
	v_lshl_add_u64 v[16:17], v[18:19], 0, v[16:17]
	v_lshl_add_u64 v[22:23], v[16:17], 0, v[14:15]
	v_and_b32_e32 v14, 24, v22
	v_mov_b32_e32 v15, 0
	v_cmp_ne_u64_e32 vcc, 24, v[14:15]
	v_mov_b64_e32 v[18:19], 0
	v_mov_b64_e32 v[16:17], 0
	;; [unrolled: 1-line block ×3, first 2 shown]
	s_and_saveexec_b64 s[2:3], vcc
	s_cbranch_execz .LBB156_31
; %bb.28:
	v_lshrrev_b32_e32 v1, 3, v22
	v_add_u32_e32 v1, 1, v1
	v_and_b32_e32 v1, 3, v1
	v_sub_co_u32_e32 v26, vcc, 0, v1
	v_lshl_add_u64 v[24:25], v[4:5], 2, s[8:9]
	s_nop 0
	v_subb_co_u32_e64 v27, s[14:15], 0, 0, vcc
	s_mov_b64 s[10:11], 0
	v_mov_b64_e32 v[14:15], 0
	s_mov_b64 s[14:15], 0x200
	v_mov_b64_e32 v[16:17], 0
	v_mov_b64_e32 v[18:19], 0
	;; [unrolled: 1-line block ×3, first 2 shown]
.LBB156_29:                             ; =>This Inner Loop Header: Depth=1
	global_load_dword v1, v[24:25], off
	global_load_dwordx4 v[28:31], v[12:13], off
	global_load_dwordx4 v[32:35], v[12:13], off offset:16
	global_load_dwordx4 v[36:39], v[12:13], off offset:32
	v_lshl_add_u64 v[26:27], v[26:27], 0, 1
	v_cmp_eq_u64_e32 vcc, 0, v[26:27]
	v_lshl_add_u64 v[4:5], v[4:5], 0, 8
	v_lshl_add_u64 v[24:25], v[24:25], 0, 32
	s_or_b64 s[10:11], vcc, s[10:11]
	s_waitcnt vmcnt(3)
	v_subrev_u32_e32 v1, s12, v1
	v_lshlrev_b32_e32 v40, 2, v1
	v_ashrrev_i32_e32 v41, 31, v40
	s_waitcnt lgkmcnt(0)
	v_lshl_add_u64 v[52:53], v[40:41], 3, s[4:5]
	global_load_dwordx4 v[40:43], v[52:53], off offset:16
	global_load_dwordx4 v[44:47], v[52:53], off
	global_load_dwordx4 v[48:51], v[12:13], off offset:48
	s_waitcnt vmcnt(5)
	v_cvt_f64_f32_e32 v[52:53], v28
	v_cvt_f64_f32_e32 v[28:29], v29
	v_cvt_f64_f32_e32 v[54:55], v30
	v_cvt_f64_f32_e32 v[30:31], v31
	s_waitcnt vmcnt(4)
	v_cvt_f64_f32_e32 v[56:57], v32
	v_cvt_f64_f32_e32 v[32:33], v33
	v_cvt_f64_f32_e32 v[58:59], v34
	v_cvt_f64_f32_e32 v[34:35], v35
	s_waitcnt vmcnt(3)
	v_cvt_f64_f32_e32 v[60:61], v36
	v_cvt_f64_f32_e32 v[36:37], v37
	v_cvt_f64_f32_e32 v[62:63], v38
	v_cvt_f64_f32_e32 v[38:39], v39
	v_lshl_add_u64 v[12:13], v[12:13], 0, s[14:15]
	s_waitcnt vmcnt(1)
	v_fmac_f64_e32 v[20:21], v[52:53], v[44:45]
	v_fmac_f64_e32 v[18:19], v[28:29], v[44:45]
	;; [unrolled: 1-line block ×8, first 2 shown]
	s_waitcnt vmcnt(0)
	v_cvt_f64_f32_e32 v[64:65], v48
	v_cvt_f64_f32_e32 v[48:49], v49
	;; [unrolled: 1-line block ×4, first 2 shown]
	v_fmac_f64_e32 v[20:21], v[60:61], v[40:41]
	v_fmac_f64_e32 v[18:19], v[36:37], v[40:41]
	;; [unrolled: 1-line block ×8, first 2 shown]
	s_andn2_b64 exec, exec, s[10:11]
	s_cbranch_execnz .LBB156_29
; %bb.30:
	s_or_b64 exec, exec, s[10:11]
.LBB156_31:
	s_or_b64 exec, exec, s[2:3]
	v_cmp_lt_u64_e32 vcc, 23, v[22:23]
	s_and_saveexec_b64 s[2:3], vcc
	s_cbranch_execz .LBB156_35
; %bb.32:
	v_lshl_add_u64 v[22:23], v[4:5], 2, s[8:9]
	v_lshl_add_u64 v[22:23], v[22:23], 0, 64
	s_mov_b64 s[8:9], 0
	s_mov_b64 s[10:11], 0x800
	;; [unrolled: 1-line block ×3, first 2 shown]
.LBB156_33:                             ; =>This Inner Loop Header: Depth=1
	global_load_dwordx4 v[24:27], v[12:13], off
	global_load_dwordx4 v[28:31], v[12:13], off offset:16
	global_load_dwordx4 v[32:35], v[12:13], off offset:32
	;; [unrolled: 1-line block ×6, first 2 shown]
	global_load_dword v1, v[22:23], off offset:-64
	global_load_dword v11, v[22:23], off offset:-32
	global_load_dword v104, v[22:23], off
	global_load_dword v105, v[22:23], off offset:32
	v_lshl_add_u64 v[4:5], v[4:5], 0, 32
	v_cmp_ge_i64_e32 vcc, v[4:5], v[6:7]
	v_lshl_add_u64 v[22:23], v[22:23], 0, s[14:15]
	s_or_b64 s[8:9], vcc, s[8:9]
	s_waitcnt vmcnt(10)
	v_cvt_f64_f32_e32 v[52:53], v24
	v_cvt_f64_f32_e32 v[58:59], v25
	s_waitcnt vmcnt(8)
	v_cvt_f64_f32_e32 v[72:73], v32
	v_cvt_f64_f32_e32 v[74:75], v33
	;; [unrolled: 3-line block ×3, first 2 shown]
	v_cvt_f64_f32_e32 v[76:77], v34
	s_waitcnt vmcnt(3)
	v_subrev_u32_e32 v1, s12, v1
	v_lshlrev_b32_e32 v32, 2, v1
	v_ashrrev_i32_e32 v33, 31, v32
	s_waitcnt lgkmcnt(0)
	v_lshl_add_u64 v[42:43], v[32:33], 3, s[4:5]
	v_cvt_f64_f32_e32 v[78:79], v35
	global_load_dwordx4 v[32:35], v[42:43], off
	v_cvt_f64_f32_e32 v[80:81], v36
	v_cvt_f64_f32_e32 v[82:83], v37
	;; [unrolled: 1-line block ×4, first 2 shown]
	global_load_dwordx4 v[36:39], v[12:13], off offset:560
	v_cvt_f64_f32_e32 v[60:61], v26
	v_cvt_f64_f32_e32 v[62:63], v27
	;; [unrolled: 1-line block ×8, first 2 shown]
	s_waitcnt vmcnt(4)
	v_subrev_u32_e32 v1, s12, v11
	v_cvt_f64_f32_e32 v[88:89], v40
	v_cvt_f64_f32_e32 v[90:91], v41
	;; [unrolled: 1-line block ×8, first 2 shown]
	s_waitcnt vmcnt(1)
	v_fmac_f64_e32 v[20:21], v[52:53], v[32:33]
	v_fmac_f64_e32 v[18:19], v[58:59], v[32:33]
	;; [unrolled: 1-line block ×7, first 2 shown]
	global_load_dwordx4 v[50:53], v[12:13], off offset:1024
	v_fmac_f64_e32 v[14:15], v[70:71], v[34:35]
	s_waitcnt vmcnt(1)
	v_cvt_f64_f32_e32 v[96:97], v36
	v_cvt_f64_f32_e32 v[98:99], v37
	;; [unrolled: 1-line block ×4, first 2 shown]
	global_load_dwordx4 v[32:35], v[42:43], off offset:16
	global_load_dwordx4 v[36:39], v[12:13], off offset:1040
	;; [unrolled: 1-line block ×5, first 2 shown]
	s_waitcnt vmcnt(5)
	v_cvt_f64_f32_e32 v[46:47], v50
	v_cvt_f64_f32_e32 v[48:49], v51
	;; [unrolled: 1-line block ×4, first 2 shown]
	s_waitcnt vmcnt(4)
	v_fmac_f64_e32 v[20:21], v[72:73], v[32:33]
	v_fmac_f64_e32 v[18:19], v[74:75], v[32:33]
	;; [unrolled: 1-line block ×4, first 2 shown]
	s_waitcnt vmcnt(2)
	v_cvt_f64_f32_e32 v[32:33], v60
	v_lshlrev_b32_e32 v60, 2, v1
	v_fmac_f64_e32 v[20:21], v[80:81], v[34:35]
	v_fmac_f64_e32 v[18:19], v[82:83], v[34:35]
	;; [unrolled: 1-line block ×4, first 2 shown]
	v_cvt_f64_f32_e32 v[34:35], v61
	v_ashrrev_i32_e32 v61, 31, v60
	v_lshl_add_u64 v[76:77], v[60:61], 3, s[4:5]
	v_cvt_f64_f32_e32 v[72:73], v36
	v_cvt_f64_f32_e32 v[74:75], v37
	;; [unrolled: 1-line block ×6, first 2 shown]
	global_load_dwordx4 v[60:63], v[76:77], off
	v_subrev_u32_e32 v1, s12, v104
	s_waitcnt vmcnt(0)
	v_fmac_f64_e32 v[20:21], v[88:89], v[60:61]
	v_fmac_f64_e32 v[18:19], v[90:91], v[60:61]
	;; [unrolled: 1-line block ×7, first 2 shown]
	v_cvt_f64_f32_e32 v[44:45], v64
	v_fmac_f64_e32 v[14:15], v[40:41], v[62:63]
	v_cvt_f64_f32_e32 v[40:41], v65
	v_cvt_f64_f32_e32 v[54:55], v66
	;; [unrolled: 1-line block ×7, first 2 shown]
	global_load_dwordx4 v[68:71], v[12:13], off offset:1552
	s_waitcnt vmcnt(0)
	v_cvt_f64_f32_e32 v[78:79], v68
	v_cvt_f64_f32_e32 v[80:81], v69
	;; [unrolled: 1-line block ×4, first 2 shown]
	global_load_dwordx4 v[68:71], v[76:77], off offset:16
	s_waitcnt vmcnt(0)
	v_fmac_f64_e32 v[20:21], v[24:25], v[68:69]
	v_fmac_f64_e32 v[18:19], v[26:27], v[68:69]
	global_load_dwordx4 v[24:27], v[12:13], off offset:1568
	v_fmac_f64_e32 v[16:17], v[28:29], v[68:69]
	v_fmac_f64_e32 v[14:15], v[30:31], v[68:69]
	v_fmac_f64_e32 v[20:21], v[96:97], v[70:71]
	v_fmac_f64_e32 v[18:19], v[98:99], v[70:71]
	v_fmac_f64_e32 v[16:17], v[100:101], v[70:71]
	v_fmac_f64_e32 v[14:15], v[102:103], v[70:71]
	s_waitcnt vmcnt(0)
	v_cvt_f64_f32_e32 v[68:69], v24
	v_cvt_f64_f32_e32 v[70:71], v25
	;; [unrolled: 1-line block ×4, first 2 shown]
	global_load_dwordx4 v[24:27], v[12:13], off offset:1584
	v_lshl_add_u64 v[12:13], v[12:13], 0, s[10:11]
	s_waitcnt vmcnt(0)
	v_cvt_f64_f32_e32 v[88:89], v24
	v_lshlrev_b32_e32 v24, 2, v1
	v_cvt_f64_f32_e32 v[90:91], v25
	v_ashrrev_i32_e32 v25, 31, v24
	v_lshl_add_u64 v[28:29], v[24:25], 3, s[4:5]
	v_cvt_f64_f32_e32 v[92:93], v26
	v_cvt_f64_f32_e32 v[94:95], v27
	global_load_dwordx4 v[24:27], v[28:29], off
	v_subrev_u32_e32 v1, s12, v105
	global_load_dwordx4 v[28:31], v[28:29], off offset:16
	s_waitcnt vmcnt(1)
	v_fmac_f64_e32 v[20:21], v[46:47], v[24:25]
	v_fmac_f64_e32 v[18:19], v[48:49], v[24:25]
	;; [unrolled: 1-line block ×4, first 2 shown]
	v_lshlrev_b32_e32 v24, 2, v1
	v_ashrrev_i32_e32 v25, 31, v24
	v_lshl_add_u64 v[50:51], v[24:25], 3, s[4:5]
	v_fmac_f64_e32 v[20:21], v[72:73], v[26:27]
	v_fmac_f64_e32 v[18:19], v[74:75], v[26:27]
	;; [unrolled: 1-line block ×4, first 2 shown]
	global_load_dwordx4 v[24:27], v[50:51], off
	global_load_dwordx4 v[46:49], v[50:51], off offset:16
	s_waitcnt vmcnt(2)
	v_fmac_f64_e32 v[20:21], v[32:33], v[28:29]
	v_fmac_f64_e32 v[18:19], v[34:35], v[28:29]
	v_fmac_f64_e32 v[16:17], v[36:37], v[28:29]
	v_fmac_f64_e32 v[14:15], v[38:39], v[28:29]
	v_fmac_f64_e32 v[20:21], v[44:45], v[30:31]
	v_fmac_f64_e32 v[18:19], v[40:41], v[30:31]
	v_fmac_f64_e32 v[16:17], v[54:55], v[30:31]
	v_fmac_f64_e32 v[14:15], v[56:57], v[30:31]
	s_waitcnt vmcnt(1)
	v_fmac_f64_e32 v[20:21], v[60:61], v[24:25]
	v_fmac_f64_e32 v[18:19], v[62:63], v[24:25]
	v_fmac_f64_e32 v[16:17], v[64:65], v[24:25]
	v_fmac_f64_e32 v[14:15], v[66:67], v[24:25]
	v_fmac_f64_e32 v[20:21], v[78:79], v[26:27]
	v_fmac_f64_e32 v[18:19], v[80:81], v[26:27]
	v_fmac_f64_e32 v[16:17], v[82:83], v[26:27]
	v_fmac_f64_e32 v[14:15], v[84:85], v[26:27]
	;; [unrolled: 9-line block ×3, first 2 shown]
	s_andn2_b64 exec, exec, s[8:9]
	s_cbranch_execnz .LBB156_33
; %bb.34:
	s_or_b64 exec, exec, s[8:9]
.LBB156_35:
	s_or_b64 exec, exec, s[2:3]
.LBB156_36:
	s_or_b64 exec, exec, s[6:7]
.LBB156_37:
	v_mov_b32_dpp v4, v20 row_shr:1 row_mask:0xf bank_mask:0xf
	v_mov_b32_dpp v5, v21 row_shr:1 row_mask:0xf bank_mask:0xf
	v_add_f64 v[4:5], v[20:21], v[4:5]
	v_mov_b32_dpp v12, v18 row_shr:1 row_mask:0xf bank_mask:0xf
	v_mov_b32_dpp v13, v19 row_shr:1 row_mask:0xf bank_mask:0xf
	;; [unrolled: 1-line block ×6, first 2 shown]
	v_add_f64 v[12:13], v[18:19], v[12:13]
	v_add_f64 v[16:17], v[16:17], v[20:21]
	;; [unrolled: 1-line block ×3, first 2 shown]
	v_mov_b32_dpp v6, v4 row_shr:2 row_mask:0xf bank_mask:0xf
	v_mov_b32_dpp v7, v5 row_shr:2 row_mask:0xf bank_mask:0xf
	;; [unrolled: 1-line block ×8, first 2 shown]
	v_add_f64 v[4:5], v[4:5], v[6:7]
	v_add_f64 v[12:13], v[12:13], v[18:19]
	;; [unrolled: 1-line block ×4, first 2 shown]
	v_mov_b32_dpp v6, v4 row_shr:4 row_mask:0xf bank_mask:0xe
	v_mov_b32_dpp v7, v5 row_shr:4 row_mask:0xf bank_mask:0xe
	v_mov_b32_dpp v18, v12 row_shr:4 row_mask:0xf bank_mask:0xe
	v_mov_b32_dpp v19, v13 row_shr:4 row_mask:0xf bank_mask:0xe
	v_mov_b32_dpp v20, v16 row_shr:4 row_mask:0xf bank_mask:0xe
	v_mov_b32_dpp v21, v17 row_shr:4 row_mask:0xf bank_mask:0xe
	v_mov_b32_dpp v22, v14 row_shr:4 row_mask:0xf bank_mask:0xe
	v_mov_b32_dpp v23, v15 row_shr:4 row_mask:0xf bank_mask:0xe
	v_cmp_eq_u32_e32 vcc, 7, v0
	s_and_b64 exec, exec, vcc
	s_cbranch_execz .LBB156_10
; %bb.38:
	s_load_dwordx2 s[0:1], s[0:1], 0x50
	v_add_f64 v[0:1], v[4:5], v[6:7]
	v_add_f64 v[6:7], v[12:13], v[18:19]
	;; [unrolled: 1-line block ×4, first 2 shown]
	v_cmp_eq_f64_e32 vcc, 0, v[8:9]
	v_mul_f64 v[4:5], v[2:3], v[0:1]
	v_mul_f64 v[6:7], v[2:3], v[6:7]
	;; [unrolled: 1-line block ×4, first 2 shown]
	v_lshlrev_b32_e32 v10, 2, v10
	s_and_saveexec_b64 s[2:3], vcc
	s_xor_b64 s[2:3], exec, s[2:3]
	s_cbranch_execz .LBB156_40
; %bb.39:
	v_ashrrev_i32_e32 v11, 31, v10
	s_waitcnt lgkmcnt(0)
	v_lshl_add_u64 v[8:9], v[10:11], 3, s[0:1]
	global_store_dwordx4 v[8:9], v[4:7], off
	global_store_dwordx4 v[8:9], v[0:3], off offset:16
                                        ; implicit-def: $vgpr10
                                        ; implicit-def: $vgpr8_vgpr9
                                        ; implicit-def: $vgpr4_vgpr5
                                        ; implicit-def: $vgpr0_vgpr1
.LBB156_40:
	s_andn2_saveexec_b64 s[2:3], s[2:3]
	s_cbranch_execz .LBB156_10
; %bb.41:
	v_ashrrev_i32_e32 v11, 31, v10
	s_waitcnt lgkmcnt(0)
	v_lshl_add_u64 v[18:19], v[10:11], 3, s[0:1]
	global_load_dwordx4 v[10:13], v[18:19], off
	global_load_dwordx4 v[14:17], v[18:19], off offset:16
	s_waitcnt vmcnt(1)
	v_fmac_f64_e32 v[4:5], v[8:9], v[10:11]
	v_fmac_f64_e32 v[6:7], v[8:9], v[12:13]
	s_waitcnt vmcnt(0)
	v_fmac_f64_e32 v[0:1], v[8:9], v[14:15]
	v_fmac_f64_e32 v[2:3], v[8:9], v[16:17]
	global_store_dwordx4 v[18:19], v[4:7], off
	global_store_dwordx4 v[18:19], v[0:3], off offset:16
	s_endpgm
	.section	.rodata,"a",@progbits
	.p2align	6, 0x0
	.amdhsa_kernel _ZN9rocsparseL18bsrxmvn_4x4_kernelILj128ELj8EdlifddEEvT3_20rocsparse_direction_NS_24const_host_device_scalarIT1_EES1_PKS1_PKT2_SA_S7_PKT4_PKT5_S5_PT6_21rocsparse_index_base_b
		.amdhsa_group_segment_fixed_size 0
		.amdhsa_private_segment_fixed_size 0
		.amdhsa_kernarg_size 96
		.amdhsa_user_sgpr_count 2
		.amdhsa_user_sgpr_dispatch_ptr 0
		.amdhsa_user_sgpr_queue_ptr 0
		.amdhsa_user_sgpr_kernarg_segment_ptr 1
		.amdhsa_user_sgpr_dispatch_id 0
		.amdhsa_user_sgpr_kernarg_preload_length 0
		.amdhsa_user_sgpr_kernarg_preload_offset 0
		.amdhsa_user_sgpr_private_segment_size 0
		.amdhsa_uses_dynamic_stack 0
		.amdhsa_enable_private_segment 0
		.amdhsa_system_sgpr_workgroup_id_x 1
		.amdhsa_system_sgpr_workgroup_id_y 0
		.amdhsa_system_sgpr_workgroup_id_z 0
		.amdhsa_system_sgpr_workgroup_info 0
		.amdhsa_system_vgpr_workitem_id 0
		.amdhsa_next_free_vgpr 118
		.amdhsa_next_free_sgpr 20
		.amdhsa_accum_offset 120
		.amdhsa_reserve_vcc 1
		.amdhsa_float_round_mode_32 0
		.amdhsa_float_round_mode_16_64 0
		.amdhsa_float_denorm_mode_32 3
		.amdhsa_float_denorm_mode_16_64 3
		.amdhsa_dx10_clamp 1
		.amdhsa_ieee_mode 1
		.amdhsa_fp16_overflow 0
		.amdhsa_tg_split 0
		.amdhsa_exception_fp_ieee_invalid_op 0
		.amdhsa_exception_fp_denorm_src 0
		.amdhsa_exception_fp_ieee_div_zero 0
		.amdhsa_exception_fp_ieee_overflow 0
		.amdhsa_exception_fp_ieee_underflow 0
		.amdhsa_exception_fp_ieee_inexact 0
		.amdhsa_exception_int_div_zero 0
	.end_amdhsa_kernel
	.section	.text._ZN9rocsparseL18bsrxmvn_4x4_kernelILj128ELj8EdlifddEEvT3_20rocsparse_direction_NS_24const_host_device_scalarIT1_EES1_PKS1_PKT2_SA_S7_PKT4_PKT5_S5_PT6_21rocsparse_index_base_b,"axG",@progbits,_ZN9rocsparseL18bsrxmvn_4x4_kernelILj128ELj8EdlifddEEvT3_20rocsparse_direction_NS_24const_host_device_scalarIT1_EES1_PKS1_PKT2_SA_S7_PKT4_PKT5_S5_PT6_21rocsparse_index_base_b,comdat
.Lfunc_end156:
	.size	_ZN9rocsparseL18bsrxmvn_4x4_kernelILj128ELj8EdlifddEEvT3_20rocsparse_direction_NS_24const_host_device_scalarIT1_EES1_PKS1_PKT2_SA_S7_PKT4_PKT5_S5_PT6_21rocsparse_index_base_b, .Lfunc_end156-_ZN9rocsparseL18bsrxmvn_4x4_kernelILj128ELj8EdlifddEEvT3_20rocsparse_direction_NS_24const_host_device_scalarIT1_EES1_PKS1_PKT2_SA_S7_PKT4_PKT5_S5_PT6_21rocsparse_index_base_b
                                        ; -- End function
	.set _ZN9rocsparseL18bsrxmvn_4x4_kernelILj128ELj8EdlifddEEvT3_20rocsparse_direction_NS_24const_host_device_scalarIT1_EES1_PKS1_PKT2_SA_S7_PKT4_PKT5_S5_PT6_21rocsparse_index_base_b.num_vgpr, 118
	.set _ZN9rocsparseL18bsrxmvn_4x4_kernelILj128ELj8EdlifddEEvT3_20rocsparse_direction_NS_24const_host_device_scalarIT1_EES1_PKS1_PKT2_SA_S7_PKT4_PKT5_S5_PT6_21rocsparse_index_base_b.num_agpr, 0
	.set _ZN9rocsparseL18bsrxmvn_4x4_kernelILj128ELj8EdlifddEEvT3_20rocsparse_direction_NS_24const_host_device_scalarIT1_EES1_PKS1_PKT2_SA_S7_PKT4_PKT5_S5_PT6_21rocsparse_index_base_b.numbered_sgpr, 20
	.set _ZN9rocsparseL18bsrxmvn_4x4_kernelILj128ELj8EdlifddEEvT3_20rocsparse_direction_NS_24const_host_device_scalarIT1_EES1_PKS1_PKT2_SA_S7_PKT4_PKT5_S5_PT6_21rocsparse_index_base_b.num_named_barrier, 0
	.set _ZN9rocsparseL18bsrxmvn_4x4_kernelILj128ELj8EdlifddEEvT3_20rocsparse_direction_NS_24const_host_device_scalarIT1_EES1_PKS1_PKT2_SA_S7_PKT4_PKT5_S5_PT6_21rocsparse_index_base_b.private_seg_size, 0
	.set _ZN9rocsparseL18bsrxmvn_4x4_kernelILj128ELj8EdlifddEEvT3_20rocsparse_direction_NS_24const_host_device_scalarIT1_EES1_PKS1_PKT2_SA_S7_PKT4_PKT5_S5_PT6_21rocsparse_index_base_b.uses_vcc, 1
	.set _ZN9rocsparseL18bsrxmvn_4x4_kernelILj128ELj8EdlifddEEvT3_20rocsparse_direction_NS_24const_host_device_scalarIT1_EES1_PKS1_PKT2_SA_S7_PKT4_PKT5_S5_PT6_21rocsparse_index_base_b.uses_flat_scratch, 0
	.set _ZN9rocsparseL18bsrxmvn_4x4_kernelILj128ELj8EdlifddEEvT3_20rocsparse_direction_NS_24const_host_device_scalarIT1_EES1_PKS1_PKT2_SA_S7_PKT4_PKT5_S5_PT6_21rocsparse_index_base_b.has_dyn_sized_stack, 0
	.set _ZN9rocsparseL18bsrxmvn_4x4_kernelILj128ELj8EdlifddEEvT3_20rocsparse_direction_NS_24const_host_device_scalarIT1_EES1_PKS1_PKT2_SA_S7_PKT4_PKT5_S5_PT6_21rocsparse_index_base_b.has_recursion, 0
	.set _ZN9rocsparseL18bsrxmvn_4x4_kernelILj128ELj8EdlifddEEvT3_20rocsparse_direction_NS_24const_host_device_scalarIT1_EES1_PKS1_PKT2_SA_S7_PKT4_PKT5_S5_PT6_21rocsparse_index_base_b.has_indirect_call, 0
	.section	.AMDGPU.csdata,"",@progbits
; Kernel info:
; codeLenInByte = 3940
; TotalNumSgprs: 26
; NumVgprs: 118
; NumAgprs: 0
; TotalNumVgprs: 118
; ScratchSize: 0
; MemoryBound: 0
; FloatMode: 240
; IeeeMode: 1
; LDSByteSize: 0 bytes/workgroup (compile time only)
; SGPRBlocks: 3
; VGPRBlocks: 14
; NumSGPRsForWavesPerEU: 26
; NumVGPRsForWavesPerEU: 118
; AccumOffset: 120
; Occupancy: 4
; WaveLimiterHint : 1
; COMPUTE_PGM_RSRC2:SCRATCH_EN: 0
; COMPUTE_PGM_RSRC2:USER_SGPR: 2
; COMPUTE_PGM_RSRC2:TRAP_HANDLER: 0
; COMPUTE_PGM_RSRC2:TGID_X_EN: 1
; COMPUTE_PGM_RSRC2:TGID_Y_EN: 0
; COMPUTE_PGM_RSRC2:TGID_Z_EN: 0
; COMPUTE_PGM_RSRC2:TIDIG_COMP_CNT: 0
; COMPUTE_PGM_RSRC3_GFX90A:ACCUM_OFFSET: 29
; COMPUTE_PGM_RSRC3_GFX90A:TG_SPLIT: 0
	.section	.text._ZN9rocsparseL18bsrxmvn_4x4_kernelILj128ELj16EdlifddEEvT3_20rocsparse_direction_NS_24const_host_device_scalarIT1_EES1_PKS1_PKT2_SA_S7_PKT4_PKT5_S5_PT6_21rocsparse_index_base_b,"axG",@progbits,_ZN9rocsparseL18bsrxmvn_4x4_kernelILj128ELj16EdlifddEEvT3_20rocsparse_direction_NS_24const_host_device_scalarIT1_EES1_PKS1_PKT2_SA_S7_PKT4_PKT5_S5_PT6_21rocsparse_index_base_b,comdat
	.globl	_ZN9rocsparseL18bsrxmvn_4x4_kernelILj128ELj16EdlifddEEvT3_20rocsparse_direction_NS_24const_host_device_scalarIT1_EES1_PKS1_PKT2_SA_S7_PKT4_PKT5_S5_PT6_21rocsparse_index_base_b ; -- Begin function _ZN9rocsparseL18bsrxmvn_4x4_kernelILj128ELj16EdlifddEEvT3_20rocsparse_direction_NS_24const_host_device_scalarIT1_EES1_PKS1_PKT2_SA_S7_PKT4_PKT5_S5_PT6_21rocsparse_index_base_b
	.p2align	8
	.type	_ZN9rocsparseL18bsrxmvn_4x4_kernelILj128ELj16EdlifddEEvT3_20rocsparse_direction_NS_24const_host_device_scalarIT1_EES1_PKS1_PKT2_SA_S7_PKT4_PKT5_S5_PT6_21rocsparse_index_base_b,@function
_ZN9rocsparseL18bsrxmvn_4x4_kernelILj128ELj16EdlifddEEvT3_20rocsparse_direction_NS_24const_host_device_scalarIT1_EES1_PKS1_PKT2_SA_S7_PKT4_PKT5_S5_PT6_21rocsparse_index_base_b: ; @_ZN9rocsparseL18bsrxmvn_4x4_kernelILj128ELj16EdlifddEEvT3_20rocsparse_direction_NS_24const_host_device_scalarIT1_EES1_PKS1_PKT2_SA_S7_PKT4_PKT5_S5_PT6_21rocsparse_index_base_b
; %bb.0:
	s_load_dwordx2 s[12:13], s[0:1], 0x58
	s_load_dwordx2 s[8:9], s[0:1], 0x8
	;; [unrolled: 1-line block ×3, first 2 shown]
	s_waitcnt lgkmcnt(0)
	s_bitcmp1_b32 s13, 0
	s_cselect_b64 s[10:11], -1, 0
	s_xor_b64 s[6:7], s[10:11], -1
	s_and_b64 vcc, exec, s[10:11]
	v_mov_b64_e32 v[2:3], s[8:9]
	s_cbranch_vccnz .LBB157_2
; %bb.1:
	v_mov_b64_e32 v[2:3], s[8:9]
	flat_load_dwordx2 v[2:3], v[2:3]
.LBB157_2:
	s_andn2_b64 vcc, exec, s[6:7]
	v_mov_b64_e32 v[8:9], s[4:5]
	s_cbranch_vccnz .LBB157_4
; %bb.3:
	v_mov_b64_e32 v[4:5], s[4:5]
	flat_load_dwordx2 v[8:9], v[4:5]
.LBB157_4:
	s_waitcnt vmcnt(0) lgkmcnt(0)
	v_cmp_neq_f64_e32 vcc, 0, v[2:3]
	v_cmp_neq_f64_e64 s[4:5], 1.0, v[8:9]
	s_mov_b64 s[6:7], 0
	s_or_b64 s[4:5], vcc, s[4:5]
	s_and_saveexec_b64 s[8:9], s[4:5]
	s_cbranch_execz .LBB157_10
; %bb.5:
	s_load_dwordx2 s[4:5], s[0:1], 0x18
	s_load_dwordx2 s[14:15], s[0:1], 0x0
	v_lshrrev_b32_e32 v1, 4, v0
	v_lshl_or_b32 v10, s2, 3, v1
	s_mov_b64 s[2:3], 0
	s_waitcnt lgkmcnt(0)
	s_cmp_lg_u64 s[4:5], 0
	s_cbranch_scc0 .LBB157_11
; %bb.6:
	s_load_dword s6, s[0:1], 0x10
                                        ; implicit-def: $vgpr1
	s_waitcnt lgkmcnt(0)
	v_cmp_gt_i32_e32 vcc, s6, v10
	s_and_saveexec_b64 s[6:7], vcc
	s_xor_b64 s[6:7], exec, s[6:7]
	s_cbranch_execz .LBB157_8
; %bb.7:
	v_ashrrev_i32_e32 v11, 31, v10
	v_lshl_add_u64 v[4:5], v[10:11], 2, s[4:5]
	global_load_dword v1, v[4:5], off
	s_mov_b64 s[2:3], exec
	s_waitcnt vmcnt(0)
	v_subrev_u32_e32 v1, s12, v1
.LBB157_8:
	s_or_b64 exec, exec, s[6:7]
	s_mov_b64 s[6:7], s[2:3]
	s_branch .LBB157_12
.LBB157_9:
	v_cmp_gt_i32_e32 vcc, s14, v10
	s_andn2_b64 s[2:3], s[6:7], exec
	s_and_b64 s[4:5], vcc, exec
	s_or_b64 s[6:7], s[2:3], s[4:5]
	s_and_b64 exec, exec, s[6:7]
	s_cbranch_execnz .LBB157_13
.LBB157_10:
	s_endpgm
.LBB157_11:
                                        ; implicit-def: $vgpr1
	s_cbranch_execnz .LBB157_9
.LBB157_12:
	v_mov_b32_e32 v10, v1
	s_and_b64 exec, exec, s[6:7]
	s_cbranch_execz .LBB157_10
.LBB157_13:
	s_load_dwordx8 s[4:11], s[0:1], 0x20
	v_ashrrev_i32_e32 v11, 31, v10
	v_lshlrev_b64 v[4:5], 3, v[10:11]
	v_and_b32_e32 v0, 15, v0
	v_mov_b32_e32 v1, 0
	s_waitcnt lgkmcnt(0)
	v_lshl_add_u64 v[6:7], s[4:5], 0, v[4:5]
	s_cmp_eq_u64 s[6:7], 0
	v_lshl_add_u64 v[4:5], s[6:7], 0, v[4:5]
	global_load_dwordx2 v[22:23], v[6:7], off
	v_lshl_add_u64 v[6:7], v[6:7], 0, 8
	s_cselect_b64 vcc, -1, 0
	v_cndmask_b32_e32 v5, v5, v7, vcc
	v_cndmask_b32_e32 v4, v4, v6, vcc
	global_load_dwordx2 v[6:7], v[4:5], off
	s_load_dwordx2 s[4:5], s[0:1], 0x40
	s_cmp_eq_u32 s15, 1
	s_waitcnt vmcnt(1)
	v_subrev_co_u32_e32 v4, vcc, s12, v22
	s_nop 1
	v_subbrev_co_u32_e32 v5, vcc, 0, v23, vcc
	v_lshl_add_u64 v[4:5], v[4:5], 0, v[0:1]
	s_waitcnt vmcnt(0)
	v_subrev_co_u32_e32 v6, vcc, s12, v6
	v_lshlrev_b64 v[12:13], 6, v[4:5]
	s_nop 0
	v_subbrev_co_u32_e32 v7, vcc, 0, v7, vcc
	v_lshl_add_u64 v[12:13], s[10:11], 0, v[12:13]
	v_cmp_lt_i64_e64 s[2:3], v[4:5], v[6:7]
	s_cbranch_scc1 .LBB157_25
; %bb.14:
	v_mov_b64_e32 v[14:15], 0
	v_mov_b64_e32 v[16:17], 0
	;; [unrolled: 1-line block ×4, first 2 shown]
	s_and_saveexec_b64 s[6:7], s[2:3]
	s_cbranch_execz .LBB157_24
; %bb.15:
	v_or_b32_e32 v1, 16, v0
	v_subrev_co_u32_e32 v14, vcc, s12, v1
	v_not_b32_e32 v17, v23
	s_nop 0
	v_subb_co_u32_e64 v15, s[10:11], 0, 0, vcc
	v_lshl_add_u64 v[14:15], v[14:15], 0, v[22:23]
	v_cmp_gt_i64_e32 vcc, v[14:15], v[6:7]
	v_not_b32_e32 v16, v22
	v_mov_b64_e32 v[20:21], 0
	v_cndmask_b32_e32 v15, v7, v15, vcc
	v_cndmask_b32_e32 v14, v6, v14, vcc
	v_sub_co_u32_e32 v18, vcc, s12, v0
	v_mov_b64_e32 v[24:25], v[4:5]
	s_nop 0
	v_subb_co_u32_e64 v19, s[10:11], 0, 0, vcc
	v_lshl_add_u64 v[16:17], v[18:19], 0, v[16:17]
	v_lshl_add_u64 v[28:29], v[16:17], 0, v[14:15]
	v_and_b32_e32 v14, 48, v28
	v_mov_b32_e32 v15, 0
	v_cmp_ne_u64_e32 vcc, 48, v[14:15]
	v_mov_b64_e32 v[18:19], 0
	v_mov_b64_e32 v[16:17], 0
	;; [unrolled: 1-line block ×4, first 2 shown]
	s_and_saveexec_b64 s[10:11], vcc
	s_cbranch_execz .LBB157_19
; %bb.16:
	v_lshrrev_b32_e32 v1, 4, v28
	v_add_u32_e32 v1, 1, v1
	v_and_b32_e32 v1, 3, v1
	v_sub_co_u32_e32 v32, vcc, 0, v1
	v_lshl_add_u64 v[30:31], v[4:5], 2, s[8:9]
	s_nop 0
	v_subb_co_u32_e64 v33, s[16:17], 0, 0, vcc
	s_mov_b64 s[14:15], 0
	v_mov_b64_e32 v[14:15], 0
	s_mov_b64 s[16:17], 0x400
	v_mov_b64_e32 v[26:27], v[12:13]
	v_mov_b64_e32 v[24:25], v[4:5]
	v_mov_b64_e32 v[16:17], 0
	v_mov_b64_e32 v[18:19], 0
	v_mov_b64_e32 v[20:21], 0
.LBB157_17:                             ; =>This Inner Loop Header: Depth=1
	global_load_dword v1, v[30:31], off
	global_load_dwordx4 v[34:37], v[26:27], off
	global_load_dwordx4 v[38:41], v[26:27], off offset:16
	global_load_dwordx4 v[42:45], v[26:27], off offset:32
	;; [unrolled: 1-line block ×3, first 2 shown]
	v_lshl_add_u64 v[32:33], v[32:33], 0, 1
	v_cmp_eq_u64_e32 vcc, 0, v[32:33]
	v_lshl_add_u64 v[26:27], v[26:27], 0, s[16:17]
	v_lshl_add_u64 v[24:25], v[24:25], 0, 16
	;; [unrolled: 1-line block ×3, first 2 shown]
	s_or_b64 s[14:15], vcc, s[14:15]
	s_waitcnt vmcnt(4)
	v_subrev_u32_e32 v1, s12, v1
	v_lshlrev_b32_e32 v50, 2, v1
	v_ashrrev_i32_e32 v51, 31, v50
	s_waitcnt lgkmcnt(0)
	v_lshl_add_u64 v[58:59], v[50:51], 3, s[4:5]
	global_load_dwordx4 v[50:53], v[58:59], off
	global_load_dwordx4 v[54:57], v[58:59], off offset:16
	s_waitcnt vmcnt(5)
	v_cvt_f64_f32_e32 v[58:59], v34
	s_waitcnt vmcnt(4)
	v_cvt_f64_f32_e32 v[62:63], v38
	;; [unrolled: 2-line block ×4, first 2 shown]
	v_cvt_f64_f32_e32 v[34:35], v35
	v_cvt_f64_f32_e32 v[38:39], v39
	;; [unrolled: 1-line block ×12, first 2 shown]
	s_waitcnt vmcnt(1)
	v_fmac_f64_e32 v[20:21], v[58:59], v[50:51]
	v_fmac_f64_e32 v[18:19], v[62:63], v[50:51]
	;; [unrolled: 1-line block ×8, first 2 shown]
	s_waitcnt vmcnt(0)
	v_fmac_f64_e32 v[20:21], v[60:61], v[54:55]
	v_fmac_f64_e32 v[18:19], v[64:65], v[54:55]
	;; [unrolled: 1-line block ×8, first 2 shown]
	s_andn2_b64 exec, exec, s[14:15]
	s_cbranch_execnz .LBB157_17
; %bb.18:
	s_or_b64 exec, exec, s[14:15]
.LBB157_19:
	s_or_b64 exec, exec, s[10:11]
	v_cmp_lt_u64_e32 vcc, 47, v[28:29]
	s_and_saveexec_b64 s[10:11], vcc
	s_cbranch_execz .LBB157_23
; %bb.20:
	v_lshl_add_u64 v[28:29], v[24:25], 2, s[8:9]
	s_mov_b64 s[14:15], 0x80
	v_lshl_add_u64 v[28:29], v[28:29], 0, s[14:15]
	s_mov_b64 s[14:15], 0
	s_mov_b64 s[16:17], 0x1000
	;; [unrolled: 1-line block ×3, first 2 shown]
.LBB157_21:                             ; =>This Inner Loop Header: Depth=1
	global_load_dwordx4 v[30:33], v[26:27], off
	global_load_dwordx4 v[34:37], v[26:27], off offset:16
	global_load_dwordx4 v[38:41], v[26:27], off offset:32
	;; [unrolled: 1-line block ×7, first 2 shown]
	global_load_dword v1, v[28:29], off offset:-128
	v_lshl_add_u64 v[24:25], v[24:25], 0, 64
	v_cmp_ge_i64_e32 vcc, v[24:25], v[6:7]
	s_or_b64 s[14:15], vcc, s[14:15]
	s_waitcnt vmcnt(8)
	v_cvt_f64_f32_e32 v[76:77], v32
	v_cvt_f64_f32_e32 v[78:79], v33
	s_waitcnt vmcnt(6)
	v_cvt_f64_f32_e32 v[104:105], v38
	v_cvt_f64_f32_e32 v[106:107], v39
	v_cvt_f64_f32_e32 v[108:109], v40
	v_cvt_f64_f32_e32 v[60:61], v41
	global_load_dwordx4 v[38:41], v[26:27], off offset:2048
	s_waitcnt vmcnt(6)
	v_cvt_f64_f32_e32 v[114:115], v44
	s_waitcnt vmcnt(1)
	v_subrev_u32_e32 v1, s12, v1
	v_cvt_f64_f32_e32 v[116:117], v45
	v_cvt_f64_f32_e32 v[90:91], v46
	;; [unrolled: 1-line block ×3, first 2 shown]
	global_load_dwordx4 v[44:47], v[26:27], off offset:2064
	v_cvt_f64_f32_e32 v[54:55], v30
	v_cvt_f64_f32_e32 v[70:71], v31
	;; [unrolled: 1-line block ×22, first 2 shown]
	s_waitcnt vmcnt(1)
	v_cvt_f64_f32_e32 v[32:33], v40
	v_lshlrev_b32_e32 v40, 2, v1
	v_cvt_f64_f32_e32 v[30:31], v41
	v_ashrrev_i32_e32 v41, 31, v40
	s_waitcnt lgkmcnt(0)
	v_lshl_add_u64 v[64:65], v[40:41], 3, s[4:5]
	global_load_dwordx4 v[40:43], v[64:65], off
	global_load_dword v1, v[28:29], off offset:-64
	v_cvt_f64_f32_e32 v[50:51], v38
	v_cvt_f64_f32_e32 v[38:39], v39
	s_waitcnt vmcnt(1)
	v_fmac_f64_e32 v[20:21], v[54:55], v[40:41]
	v_fmac_f64_e32 v[20:21], v[70:71], v[42:43]
	global_load_dwordx4 v[68:71], v[26:27], off offset:2080
	v_fmac_f64_e32 v[18:19], v[82:83], v[40:41]
	v_fmac_f64_e32 v[16:17], v[104:105], v[40:41]
	;; [unrolled: 1-line block ×6, first 2 shown]
	v_cvt_f64_f32_e32 v[84:85], v44
	v_cvt_f64_f32_e32 v[54:55], v45
	;; [unrolled: 1-line block ×4, first 2 shown]
	s_waitcnt vmcnt(1)
	v_subrev_u32_e32 v1, s12, v1
	s_waitcnt vmcnt(0)
	v_cvt_f64_f32_e32 v[82:83], v68
	v_cvt_f64_f32_e32 v[48:49], v69
	;; [unrolled: 1-line block ×4, first 2 shown]
	global_load_dwordx4 v[68:71], v[64:65], off offset:16
	s_waitcnt vmcnt(0)
	v_fmac_f64_e32 v[18:19], v[86:87], v[68:69]
	v_fmac_f64_e32 v[20:21], v[76:77], v[68:69]
	;; [unrolled: 1-line block ×3, first 2 shown]
	global_load_dwordx4 v[74:77], v[26:27], off offset:2096
	global_load_dwordx4 v[102:105], v[26:27], off offset:3072
	v_fmac_f64_e32 v[16:17], v[108:109], v[68:69]
	v_fmac_f64_e32 v[20:21], v[78:79], v[70:71]
	;; [unrolled: 1-line block ×5, first 2 shown]
	s_waitcnt vmcnt(1)
	v_cvt_f64_f32_e32 v[64:65], v76
	s_waitcnt vmcnt(0)
	v_cvt_f64_f32_e32 v[78:79], v102
	v_lshlrev_b32_e32 v102, 2, v1
	v_cvt_f64_f32_e32 v[60:61], v77
	v_cvt_f64_f32_e32 v[76:77], v103
	v_ashrrev_i32_e32 v103, 31, v102
	v_lshl_add_u64 v[106:107], v[102:103], 3, s[4:5]
	v_cvt_f64_f32_e32 v[86:87], v74
	v_cvt_f64_f32_e32 v[70:71], v75
	;; [unrolled: 1-line block ×4, first 2 shown]
	global_load_dwordx4 v[102:105], v[106:107], off
	s_waitcnt vmcnt(0)
	v_fmac_f64_e32 v[20:21], v[90:91], v[102:103]
	v_fmac_f64_e32 v[18:19], v[94:95], v[102:103]
	;; [unrolled: 1-line block ×7, first 2 shown]
	global_load_dwordx4 v[88:91], v[26:27], off offset:3088
	v_fmac_f64_e32 v[14:15], v[80:81], v[104:105]
	global_load_dwordx4 v[102:105], v[26:27], off offset:3104
	s_waitcnt vmcnt(1)
	v_cvt_f64_f32_e32 v[96:97], v88
	v_cvt_f64_f32_e32 v[92:93], v89
	;; [unrolled: 1-line block ×4, first 2 shown]
	s_waitcnt vmcnt(0)
	v_cvt_f64_f32_e32 v[100:101], v102
	v_cvt_f64_f32_e32 v[98:99], v103
	;; [unrolled: 1-line block ×4, first 2 shown]
	global_load_dwordx4 v[102:105], v[106:107], off offset:16
	s_waitcnt vmcnt(0)
	v_fmac_f64_e32 v[18:19], v[62:63], v[102:103]
	v_fmac_f64_e32 v[20:21], v[56:57], v[102:103]
	v_fmac_f64_e32 v[18:19], v[58:59], v[104:105]
	global_load_dwordx4 v[56:59], v[26:27], off offset:3120
	global_load_dword v1, v[28:29], off
	v_fmac_f64_e32 v[16:17], v[66:67], v[102:103]
	v_fmac_f64_e32 v[16:17], v[34:35], v[104:105]
	;; [unrolled: 1-line block ×5, first 2 shown]
	v_lshl_add_u64 v[26:27], v[26:27], 0, s[16:17]
	s_waitcnt vmcnt(1)
	v_cvt_f64_f32_e32 v[62:63], v56
	s_waitcnt vmcnt(0)
	v_subrev_u32_e32 v1, s12, v1
	v_lshlrev_b32_e32 v34, 2, v1
	v_ashrrev_i32_e32 v35, 31, v34
	v_lshl_add_u64 v[52:53], v[34:35], 3, s[4:5]
	global_load_dword v1, v[28:29], off offset:64
	global_load_dwordx4 v[34:37], v[52:53], off
	v_cvt_f64_f32_e32 v[66:67], v57
	v_cvt_f64_f32_e32 v[72:73], v58
	;; [unrolled: 1-line block ×3, first 2 shown]
	v_lshl_add_u64 v[28:29], v[28:29], 0, s[18:19]
	s_waitcnt vmcnt(1)
	v_subrev_u32_e32 v1, s12, v1
	s_waitcnt vmcnt(0)
	v_fmac_f64_e32 v[20:21], v[50:51], v[34:35]
	v_lshlrev_b32_e32 v50, 2, v1
	v_ashrrev_i32_e32 v51, 31, v50
	v_fmac_f64_e32 v[18:19], v[84:85], v[34:35]
	v_lshl_add_u64 v[84:85], v[50:51], 3, s[4:5]
	global_load_dwordx4 v[50:53], v[52:53], off offset:16
	v_fmac_f64_e32 v[16:17], v[82:83], v[34:35]
	global_load_dwordx4 v[56:59], v[84:85], off
	v_fmac_f64_e32 v[14:15], v[86:87], v[34:35]
	global_load_dwordx4 v[82:85], v[84:85], off offset:16
	v_fmac_f64_e32 v[20:21], v[38:39], v[36:37]
	v_fmac_f64_e32 v[18:19], v[54:55], v[36:37]
	v_fmac_f64_e32 v[16:17], v[48:49], v[36:37]
	v_fmac_f64_e32 v[14:15], v[70:71], v[36:37]
	s_waitcnt vmcnt(2)
	v_fmac_f64_e32 v[20:21], v[32:33], v[50:51]
	v_fmac_f64_e32 v[18:19], v[42:43], v[50:51]
	v_fmac_f64_e32 v[16:17], v[46:47], v[50:51]
	v_fmac_f64_e32 v[14:15], v[64:65], v[50:51]
	v_fmac_f64_e32 v[20:21], v[30:31], v[52:53]
	v_fmac_f64_e32 v[18:19], v[40:41], v[52:53]
	v_fmac_f64_e32 v[16:17], v[44:45], v[52:53]
	v_fmac_f64_e32 v[14:15], v[60:61], v[52:53]
	s_waitcnt vmcnt(1)
	v_fmac_f64_e32 v[20:21], v[78:79], v[56:57]
	v_fmac_f64_e32 v[18:19], v[96:97], v[56:57]
	v_fmac_f64_e32 v[16:17], v[100:101], v[56:57]
	v_fmac_f64_e32 v[14:15], v[62:63], v[56:57]
	;; [unrolled: 9-line block ×3, first 2 shown]
	v_fmac_f64_e32 v[20:21], v[68:69], v[84:85]
	v_fmac_f64_e32 v[18:19], v[80:81], v[84:85]
	;; [unrolled: 1-line block ×4, first 2 shown]
	s_andn2_b64 exec, exec, s[14:15]
	s_cbranch_execnz .LBB157_21
; %bb.22:
	s_or_b64 exec, exec, s[14:15]
.LBB157_23:
	s_or_b64 exec, exec, s[10:11]
.LBB157_24:
	s_or_b64 exec, exec, s[6:7]
	s_cbranch_execz .LBB157_26
	s_branch .LBB157_37
.LBB157_25:
                                        ; implicit-def: $vgpr14_vgpr15
                                        ; implicit-def: $vgpr16_vgpr17
                                        ; implicit-def: $vgpr18_vgpr19
                                        ; implicit-def: $vgpr20_vgpr21
.LBB157_26:
	v_mov_b64_e32 v[14:15], 0
	v_mov_b64_e32 v[16:17], 0
	v_mov_b64_e32 v[18:19], 0
	v_mov_b64_e32 v[20:21], 0
	s_and_saveexec_b64 s[6:7], s[2:3]
	s_cbranch_execz .LBB157_36
; %bb.27:
	v_or_b32_e32 v1, 16, v0
	v_subrev_co_u32_e32 v14, vcc, s12, v1
	v_not_b32_e32 v17, v23
	s_nop 0
	v_subb_co_u32_e64 v15, s[2:3], 0, 0, vcc
	v_lshl_add_u64 v[14:15], v[14:15], 0, v[22:23]
	v_cmp_gt_i64_e32 vcc, v[14:15], v[6:7]
	v_not_b32_e32 v16, v22
	v_mov_b64_e32 v[20:21], 0
	v_cndmask_b32_e32 v15, v7, v15, vcc
	v_cndmask_b32_e32 v14, v6, v14, vcc
	v_sub_co_u32_e32 v18, vcc, s12, v0
	s_nop 1
	v_subb_co_u32_e64 v19, s[2:3], 0, 0, vcc
	v_lshl_add_u64 v[16:17], v[18:19], 0, v[16:17]
	v_lshl_add_u64 v[22:23], v[16:17], 0, v[14:15]
	v_and_b32_e32 v14, 48, v22
	v_mov_b32_e32 v15, 0
	v_cmp_ne_u64_e32 vcc, 48, v[14:15]
	v_mov_b64_e32 v[18:19], 0
	v_mov_b64_e32 v[16:17], 0
	;; [unrolled: 1-line block ×3, first 2 shown]
	s_and_saveexec_b64 s[2:3], vcc
	s_cbranch_execz .LBB157_31
; %bb.28:
	v_lshrrev_b32_e32 v1, 4, v22
	v_add_u32_e32 v1, 1, v1
	v_and_b32_e32 v1, 3, v1
	v_sub_co_u32_e32 v26, vcc, 0, v1
	v_lshl_add_u64 v[24:25], v[4:5], 2, s[8:9]
	s_nop 0
	v_subb_co_u32_e64 v27, s[14:15], 0, 0, vcc
	s_mov_b64 s[10:11], 0
	v_mov_b64_e32 v[14:15], 0
	s_mov_b64 s[14:15], 0x400
	v_mov_b64_e32 v[16:17], 0
	v_mov_b64_e32 v[18:19], 0
	;; [unrolled: 1-line block ×3, first 2 shown]
.LBB157_29:                             ; =>This Inner Loop Header: Depth=1
	global_load_dword v1, v[24:25], off
	global_load_dwordx4 v[28:31], v[12:13], off
	global_load_dwordx4 v[32:35], v[12:13], off offset:16
	global_load_dwordx4 v[36:39], v[12:13], off offset:32
	v_lshl_add_u64 v[26:27], v[26:27], 0, 1
	v_cmp_eq_u64_e32 vcc, 0, v[26:27]
	v_lshl_add_u64 v[4:5], v[4:5], 0, 16
	v_lshl_add_u64 v[24:25], v[24:25], 0, 64
	s_or_b64 s[10:11], vcc, s[10:11]
	s_waitcnt vmcnt(3)
	v_subrev_u32_e32 v1, s12, v1
	v_lshlrev_b32_e32 v40, 2, v1
	v_ashrrev_i32_e32 v41, 31, v40
	s_waitcnt lgkmcnt(0)
	v_lshl_add_u64 v[52:53], v[40:41], 3, s[4:5]
	global_load_dwordx4 v[40:43], v[52:53], off offset:16
	global_load_dwordx4 v[44:47], v[52:53], off
	global_load_dwordx4 v[48:51], v[12:13], off offset:48
	s_waitcnt vmcnt(5)
	v_cvt_f64_f32_e32 v[52:53], v28
	v_cvt_f64_f32_e32 v[28:29], v29
	v_cvt_f64_f32_e32 v[54:55], v30
	v_cvt_f64_f32_e32 v[30:31], v31
	s_waitcnt vmcnt(4)
	v_cvt_f64_f32_e32 v[56:57], v32
	v_cvt_f64_f32_e32 v[32:33], v33
	v_cvt_f64_f32_e32 v[58:59], v34
	v_cvt_f64_f32_e32 v[34:35], v35
	;; [unrolled: 5-line block ×3, first 2 shown]
	v_lshl_add_u64 v[12:13], v[12:13], 0, s[14:15]
	s_waitcnt vmcnt(1)
	v_fmac_f64_e32 v[20:21], v[52:53], v[44:45]
	v_fmac_f64_e32 v[18:19], v[28:29], v[44:45]
	;; [unrolled: 1-line block ×8, first 2 shown]
	s_waitcnt vmcnt(0)
	v_cvt_f64_f32_e32 v[64:65], v48
	v_cvt_f64_f32_e32 v[48:49], v49
	;; [unrolled: 1-line block ×4, first 2 shown]
	v_fmac_f64_e32 v[20:21], v[60:61], v[40:41]
	v_fmac_f64_e32 v[18:19], v[36:37], v[40:41]
	;; [unrolled: 1-line block ×8, first 2 shown]
	s_andn2_b64 exec, exec, s[10:11]
	s_cbranch_execnz .LBB157_29
; %bb.30:
	s_or_b64 exec, exec, s[10:11]
.LBB157_31:
	s_or_b64 exec, exec, s[2:3]
	v_cmp_lt_u64_e32 vcc, 47, v[22:23]
	s_and_saveexec_b64 s[2:3], vcc
	s_cbranch_execz .LBB157_35
; %bb.32:
	v_lshl_add_u64 v[22:23], v[4:5], 2, s[8:9]
	s_mov_b64 s[8:9], 0x80
	v_lshl_add_u64 v[22:23], v[22:23], 0, s[8:9]
	s_mov_b64 s[8:9], 0
	s_mov_b64 s[10:11], 0x1000
	;; [unrolled: 1-line block ×3, first 2 shown]
.LBB157_33:                             ; =>This Inner Loop Header: Depth=1
	global_load_dwordx4 v[24:27], v[12:13], off
	global_load_dwordx4 v[28:31], v[12:13], off offset:16
	global_load_dwordx4 v[32:35], v[12:13], off offset:32
	;; [unrolled: 1-line block ×6, first 2 shown]
	global_load_dword v1, v[22:23], off offset:-128
	global_load_dword v11, v[22:23], off offset:-64
	global_load_dword v104, v[22:23], off
	global_load_dword v105, v[22:23], off offset:64
	v_lshl_add_u64 v[4:5], v[4:5], 0, 64
	v_cmp_ge_i64_e32 vcc, v[4:5], v[6:7]
	v_lshl_add_u64 v[22:23], v[22:23], 0, s[14:15]
	s_or_b64 s[8:9], vcc, s[8:9]
	s_waitcnt vmcnt(10)
	v_cvt_f64_f32_e32 v[52:53], v24
	v_cvt_f64_f32_e32 v[58:59], v25
	s_waitcnt vmcnt(8)
	v_cvt_f64_f32_e32 v[72:73], v32
	v_cvt_f64_f32_e32 v[74:75], v33
	;; [unrolled: 3-line block ×3, first 2 shown]
	v_cvt_f64_f32_e32 v[76:77], v34
	s_waitcnt vmcnt(3)
	v_subrev_u32_e32 v1, s12, v1
	v_lshlrev_b32_e32 v32, 2, v1
	v_ashrrev_i32_e32 v33, 31, v32
	s_waitcnt lgkmcnt(0)
	v_lshl_add_u64 v[42:43], v[32:33], 3, s[4:5]
	v_cvt_f64_f32_e32 v[78:79], v35
	global_load_dwordx4 v[32:35], v[42:43], off
	v_cvt_f64_f32_e32 v[80:81], v36
	v_cvt_f64_f32_e32 v[82:83], v37
	;; [unrolled: 1-line block ×4, first 2 shown]
	global_load_dwordx4 v[36:39], v[12:13], off offset:1072
	v_cvt_f64_f32_e32 v[60:61], v26
	v_cvt_f64_f32_e32 v[62:63], v27
	;; [unrolled: 1-line block ×8, first 2 shown]
	s_waitcnt vmcnt(4)
	v_subrev_u32_e32 v1, s12, v11
	v_cvt_f64_f32_e32 v[88:89], v40
	v_cvt_f64_f32_e32 v[90:91], v41
	;; [unrolled: 1-line block ×8, first 2 shown]
	s_waitcnt vmcnt(1)
	v_fmac_f64_e32 v[20:21], v[52:53], v[32:33]
	v_fmac_f64_e32 v[18:19], v[58:59], v[32:33]
	;; [unrolled: 1-line block ×7, first 2 shown]
	global_load_dwordx4 v[50:53], v[12:13], off offset:2048
	v_fmac_f64_e32 v[14:15], v[70:71], v[34:35]
	s_waitcnt vmcnt(1)
	v_cvt_f64_f32_e32 v[96:97], v36
	v_cvt_f64_f32_e32 v[98:99], v37
	v_cvt_f64_f32_e32 v[100:101], v38
	v_cvt_f64_f32_e32 v[102:103], v39
	global_load_dwordx4 v[32:35], v[42:43], off offset:16
	global_load_dwordx4 v[36:39], v[12:13], off offset:2064
	;; [unrolled: 1-line block ×5, first 2 shown]
	s_waitcnt vmcnt(5)
	v_cvt_f64_f32_e32 v[46:47], v50
	v_cvt_f64_f32_e32 v[48:49], v51
	;; [unrolled: 1-line block ×4, first 2 shown]
	s_waitcnt vmcnt(4)
	v_fmac_f64_e32 v[20:21], v[72:73], v[32:33]
	v_fmac_f64_e32 v[18:19], v[74:75], v[32:33]
	;; [unrolled: 1-line block ×4, first 2 shown]
	s_waitcnt vmcnt(2)
	v_cvt_f64_f32_e32 v[32:33], v60
	v_lshlrev_b32_e32 v60, 2, v1
	v_fmac_f64_e32 v[20:21], v[80:81], v[34:35]
	v_fmac_f64_e32 v[18:19], v[82:83], v[34:35]
	;; [unrolled: 1-line block ×4, first 2 shown]
	v_cvt_f64_f32_e32 v[34:35], v61
	v_ashrrev_i32_e32 v61, 31, v60
	v_lshl_add_u64 v[76:77], v[60:61], 3, s[4:5]
	v_cvt_f64_f32_e32 v[72:73], v36
	v_cvt_f64_f32_e32 v[74:75], v37
	;; [unrolled: 1-line block ×6, first 2 shown]
	global_load_dwordx4 v[60:63], v[76:77], off
	v_subrev_u32_e32 v1, s12, v104
	s_waitcnt vmcnt(0)
	v_fmac_f64_e32 v[20:21], v[88:89], v[60:61]
	v_fmac_f64_e32 v[18:19], v[90:91], v[60:61]
	;; [unrolled: 1-line block ×7, first 2 shown]
	v_cvt_f64_f32_e32 v[44:45], v64
	v_fmac_f64_e32 v[14:15], v[40:41], v[62:63]
	v_cvt_f64_f32_e32 v[40:41], v65
	v_cvt_f64_f32_e32 v[54:55], v66
	;; [unrolled: 1-line block ×7, first 2 shown]
	global_load_dwordx4 v[68:71], v[12:13], off offset:3088
	s_waitcnt vmcnt(0)
	v_cvt_f64_f32_e32 v[78:79], v68
	v_cvt_f64_f32_e32 v[80:81], v69
	;; [unrolled: 1-line block ×4, first 2 shown]
	global_load_dwordx4 v[68:71], v[76:77], off offset:16
	s_waitcnt vmcnt(0)
	v_fmac_f64_e32 v[20:21], v[24:25], v[68:69]
	v_fmac_f64_e32 v[18:19], v[26:27], v[68:69]
	global_load_dwordx4 v[24:27], v[12:13], off offset:3104
	v_fmac_f64_e32 v[16:17], v[28:29], v[68:69]
	v_fmac_f64_e32 v[14:15], v[30:31], v[68:69]
	;; [unrolled: 1-line block ×6, first 2 shown]
	s_waitcnt vmcnt(0)
	v_cvt_f64_f32_e32 v[68:69], v24
	v_cvt_f64_f32_e32 v[70:71], v25
	;; [unrolled: 1-line block ×4, first 2 shown]
	global_load_dwordx4 v[24:27], v[12:13], off offset:3120
	v_lshl_add_u64 v[12:13], v[12:13], 0, s[10:11]
	s_waitcnt vmcnt(0)
	v_cvt_f64_f32_e32 v[88:89], v24
	v_lshlrev_b32_e32 v24, 2, v1
	v_cvt_f64_f32_e32 v[90:91], v25
	v_ashrrev_i32_e32 v25, 31, v24
	v_lshl_add_u64 v[28:29], v[24:25], 3, s[4:5]
	v_cvt_f64_f32_e32 v[92:93], v26
	v_cvt_f64_f32_e32 v[94:95], v27
	global_load_dwordx4 v[24:27], v[28:29], off
	v_subrev_u32_e32 v1, s12, v105
	global_load_dwordx4 v[28:31], v[28:29], off offset:16
	s_waitcnt vmcnt(1)
	v_fmac_f64_e32 v[20:21], v[46:47], v[24:25]
	v_fmac_f64_e32 v[18:19], v[48:49], v[24:25]
	;; [unrolled: 1-line block ×4, first 2 shown]
	v_lshlrev_b32_e32 v24, 2, v1
	v_ashrrev_i32_e32 v25, 31, v24
	v_lshl_add_u64 v[50:51], v[24:25], 3, s[4:5]
	v_fmac_f64_e32 v[20:21], v[72:73], v[26:27]
	v_fmac_f64_e32 v[18:19], v[74:75], v[26:27]
	;; [unrolled: 1-line block ×4, first 2 shown]
	global_load_dwordx4 v[24:27], v[50:51], off
	global_load_dwordx4 v[46:49], v[50:51], off offset:16
	s_waitcnt vmcnt(2)
	v_fmac_f64_e32 v[20:21], v[32:33], v[28:29]
	v_fmac_f64_e32 v[18:19], v[34:35], v[28:29]
	v_fmac_f64_e32 v[16:17], v[36:37], v[28:29]
	v_fmac_f64_e32 v[14:15], v[38:39], v[28:29]
	v_fmac_f64_e32 v[20:21], v[44:45], v[30:31]
	v_fmac_f64_e32 v[18:19], v[40:41], v[30:31]
	v_fmac_f64_e32 v[16:17], v[54:55], v[30:31]
	v_fmac_f64_e32 v[14:15], v[56:57], v[30:31]
	s_waitcnt vmcnt(1)
	v_fmac_f64_e32 v[20:21], v[60:61], v[24:25]
	v_fmac_f64_e32 v[18:19], v[62:63], v[24:25]
	v_fmac_f64_e32 v[16:17], v[64:65], v[24:25]
	v_fmac_f64_e32 v[14:15], v[66:67], v[24:25]
	v_fmac_f64_e32 v[20:21], v[78:79], v[26:27]
	v_fmac_f64_e32 v[18:19], v[80:81], v[26:27]
	v_fmac_f64_e32 v[16:17], v[82:83], v[26:27]
	v_fmac_f64_e32 v[14:15], v[84:85], v[26:27]
	;; [unrolled: 9-line block ×3, first 2 shown]
	s_andn2_b64 exec, exec, s[8:9]
	s_cbranch_execnz .LBB157_33
; %bb.34:
	s_or_b64 exec, exec, s[8:9]
.LBB157_35:
	s_or_b64 exec, exec, s[2:3]
.LBB157_36:
	s_or_b64 exec, exec, s[6:7]
.LBB157_37:
	v_mov_b32_dpp v4, v20 row_shr:1 row_mask:0xf bank_mask:0xf
	v_mov_b32_dpp v5, v21 row_shr:1 row_mask:0xf bank_mask:0xf
	v_add_f64 v[4:5], v[20:21], v[4:5]
	v_mov_b32_dpp v12, v18 row_shr:1 row_mask:0xf bank_mask:0xf
	v_mov_b32_dpp v13, v19 row_shr:1 row_mask:0xf bank_mask:0xf
	;; [unrolled: 1-line block ×6, first 2 shown]
	v_add_f64 v[12:13], v[18:19], v[12:13]
	v_add_f64 v[16:17], v[16:17], v[20:21]
	v_add_f64 v[14:15], v[14:15], v[22:23]
	v_mov_b32_dpp v6, v4 row_shr:2 row_mask:0xf bank_mask:0xf
	v_mov_b32_dpp v7, v5 row_shr:2 row_mask:0xf bank_mask:0xf
	;; [unrolled: 1-line block ×8, first 2 shown]
	v_add_f64 v[4:5], v[4:5], v[6:7]
	v_add_f64 v[12:13], v[12:13], v[18:19]
	;; [unrolled: 1-line block ×4, first 2 shown]
	v_mov_b32_dpp v6, v4 row_shr:4 row_mask:0xf bank_mask:0xe
	v_mov_b32_dpp v7, v5 row_shr:4 row_mask:0xf bank_mask:0xe
	;; [unrolled: 1-line block ×8, first 2 shown]
	v_add_f64 v[4:5], v[4:5], v[6:7]
	v_add_f64 v[12:13], v[12:13], v[18:19]
	;; [unrolled: 1-line block ×4, first 2 shown]
	v_mov_b32_dpp v6, v4 row_shr:8 row_mask:0xf bank_mask:0xc
	v_mov_b32_dpp v7, v5 row_shr:8 row_mask:0xf bank_mask:0xc
	;; [unrolled: 1-line block ×8, first 2 shown]
	v_cmp_eq_u32_e32 vcc, 15, v0
	s_and_b64 exec, exec, vcc
	s_cbranch_execz .LBB157_10
; %bb.38:
	s_load_dwordx2 s[0:1], s[0:1], 0x50
	v_add_f64 v[0:1], v[4:5], v[6:7]
	v_add_f64 v[6:7], v[12:13], v[18:19]
	;; [unrolled: 1-line block ×4, first 2 shown]
	v_cmp_eq_f64_e32 vcc, 0, v[8:9]
	v_mul_f64 v[4:5], v[2:3], v[0:1]
	v_mul_f64 v[6:7], v[2:3], v[6:7]
	;; [unrolled: 1-line block ×4, first 2 shown]
	v_lshlrev_b32_e32 v10, 2, v10
	s_and_saveexec_b64 s[2:3], vcc
	s_xor_b64 s[2:3], exec, s[2:3]
	s_cbranch_execz .LBB157_40
; %bb.39:
	v_ashrrev_i32_e32 v11, 31, v10
	s_waitcnt lgkmcnt(0)
	v_lshl_add_u64 v[8:9], v[10:11], 3, s[0:1]
	global_store_dwordx4 v[8:9], v[4:7], off
	global_store_dwordx4 v[8:9], v[0:3], off offset:16
                                        ; implicit-def: $vgpr10
                                        ; implicit-def: $vgpr8_vgpr9
                                        ; implicit-def: $vgpr4_vgpr5
                                        ; implicit-def: $vgpr0_vgpr1
.LBB157_40:
	s_andn2_saveexec_b64 s[2:3], s[2:3]
	s_cbranch_execz .LBB157_10
; %bb.41:
	v_ashrrev_i32_e32 v11, 31, v10
	s_waitcnt lgkmcnt(0)
	v_lshl_add_u64 v[18:19], v[10:11], 3, s[0:1]
	global_load_dwordx4 v[10:13], v[18:19], off
	global_load_dwordx4 v[14:17], v[18:19], off offset:16
	s_waitcnt vmcnt(1)
	v_fmac_f64_e32 v[4:5], v[8:9], v[10:11]
	v_fmac_f64_e32 v[6:7], v[8:9], v[12:13]
	s_waitcnt vmcnt(0)
	v_fmac_f64_e32 v[0:1], v[8:9], v[14:15]
	v_fmac_f64_e32 v[2:3], v[8:9], v[16:17]
	global_store_dwordx4 v[18:19], v[4:7], off
	global_store_dwordx4 v[18:19], v[0:3], off offset:16
	s_endpgm
	.section	.rodata,"a",@progbits
	.p2align	6, 0x0
	.amdhsa_kernel _ZN9rocsparseL18bsrxmvn_4x4_kernelILj128ELj16EdlifddEEvT3_20rocsparse_direction_NS_24const_host_device_scalarIT1_EES1_PKS1_PKT2_SA_S7_PKT4_PKT5_S5_PT6_21rocsparse_index_base_b
		.amdhsa_group_segment_fixed_size 0
		.amdhsa_private_segment_fixed_size 0
		.amdhsa_kernarg_size 96
		.amdhsa_user_sgpr_count 2
		.amdhsa_user_sgpr_dispatch_ptr 0
		.amdhsa_user_sgpr_queue_ptr 0
		.amdhsa_user_sgpr_kernarg_segment_ptr 1
		.amdhsa_user_sgpr_dispatch_id 0
		.amdhsa_user_sgpr_kernarg_preload_length 0
		.amdhsa_user_sgpr_kernarg_preload_offset 0
		.amdhsa_user_sgpr_private_segment_size 0
		.amdhsa_uses_dynamic_stack 0
		.amdhsa_enable_private_segment 0
		.amdhsa_system_sgpr_workgroup_id_x 1
		.amdhsa_system_sgpr_workgroup_id_y 0
		.amdhsa_system_sgpr_workgroup_id_z 0
		.amdhsa_system_sgpr_workgroup_info 0
		.amdhsa_system_vgpr_workitem_id 0
		.amdhsa_next_free_vgpr 118
		.amdhsa_next_free_sgpr 20
		.amdhsa_accum_offset 120
		.amdhsa_reserve_vcc 1
		.amdhsa_float_round_mode_32 0
		.amdhsa_float_round_mode_16_64 0
		.amdhsa_float_denorm_mode_32 3
		.amdhsa_float_denorm_mode_16_64 3
		.amdhsa_dx10_clamp 1
		.amdhsa_ieee_mode 1
		.amdhsa_fp16_overflow 0
		.amdhsa_tg_split 0
		.amdhsa_exception_fp_ieee_invalid_op 0
		.amdhsa_exception_fp_denorm_src 0
		.amdhsa_exception_fp_ieee_div_zero 0
		.amdhsa_exception_fp_ieee_overflow 0
		.amdhsa_exception_fp_ieee_underflow 0
		.amdhsa_exception_fp_ieee_inexact 0
		.amdhsa_exception_int_div_zero 0
	.end_amdhsa_kernel
	.section	.text._ZN9rocsparseL18bsrxmvn_4x4_kernelILj128ELj16EdlifddEEvT3_20rocsparse_direction_NS_24const_host_device_scalarIT1_EES1_PKS1_PKT2_SA_S7_PKT4_PKT5_S5_PT6_21rocsparse_index_base_b,"axG",@progbits,_ZN9rocsparseL18bsrxmvn_4x4_kernelILj128ELj16EdlifddEEvT3_20rocsparse_direction_NS_24const_host_device_scalarIT1_EES1_PKS1_PKT2_SA_S7_PKT4_PKT5_S5_PT6_21rocsparse_index_base_b,comdat
.Lfunc_end157:
	.size	_ZN9rocsparseL18bsrxmvn_4x4_kernelILj128ELj16EdlifddEEvT3_20rocsparse_direction_NS_24const_host_device_scalarIT1_EES1_PKS1_PKT2_SA_S7_PKT4_PKT5_S5_PT6_21rocsparse_index_base_b, .Lfunc_end157-_ZN9rocsparseL18bsrxmvn_4x4_kernelILj128ELj16EdlifddEEvT3_20rocsparse_direction_NS_24const_host_device_scalarIT1_EES1_PKS1_PKT2_SA_S7_PKT4_PKT5_S5_PT6_21rocsparse_index_base_b
                                        ; -- End function
	.set _ZN9rocsparseL18bsrxmvn_4x4_kernelILj128ELj16EdlifddEEvT3_20rocsparse_direction_NS_24const_host_device_scalarIT1_EES1_PKS1_PKT2_SA_S7_PKT4_PKT5_S5_PT6_21rocsparse_index_base_b.num_vgpr, 118
	.set _ZN9rocsparseL18bsrxmvn_4x4_kernelILj128ELj16EdlifddEEvT3_20rocsparse_direction_NS_24const_host_device_scalarIT1_EES1_PKS1_PKT2_SA_S7_PKT4_PKT5_S5_PT6_21rocsparse_index_base_b.num_agpr, 0
	.set _ZN9rocsparseL18bsrxmvn_4x4_kernelILj128ELj16EdlifddEEvT3_20rocsparse_direction_NS_24const_host_device_scalarIT1_EES1_PKS1_PKT2_SA_S7_PKT4_PKT5_S5_PT6_21rocsparse_index_base_b.numbered_sgpr, 20
	.set _ZN9rocsparseL18bsrxmvn_4x4_kernelILj128ELj16EdlifddEEvT3_20rocsparse_direction_NS_24const_host_device_scalarIT1_EES1_PKS1_PKT2_SA_S7_PKT4_PKT5_S5_PT6_21rocsparse_index_base_b.num_named_barrier, 0
	.set _ZN9rocsparseL18bsrxmvn_4x4_kernelILj128ELj16EdlifddEEvT3_20rocsparse_direction_NS_24const_host_device_scalarIT1_EES1_PKS1_PKT2_SA_S7_PKT4_PKT5_S5_PT6_21rocsparse_index_base_b.private_seg_size, 0
	.set _ZN9rocsparseL18bsrxmvn_4x4_kernelILj128ELj16EdlifddEEvT3_20rocsparse_direction_NS_24const_host_device_scalarIT1_EES1_PKS1_PKT2_SA_S7_PKT4_PKT5_S5_PT6_21rocsparse_index_base_b.uses_vcc, 1
	.set _ZN9rocsparseL18bsrxmvn_4x4_kernelILj128ELj16EdlifddEEvT3_20rocsparse_direction_NS_24const_host_device_scalarIT1_EES1_PKS1_PKT2_SA_S7_PKT4_PKT5_S5_PT6_21rocsparse_index_base_b.uses_flat_scratch, 0
	.set _ZN9rocsparseL18bsrxmvn_4x4_kernelILj128ELj16EdlifddEEvT3_20rocsparse_direction_NS_24const_host_device_scalarIT1_EES1_PKS1_PKT2_SA_S7_PKT4_PKT5_S5_PT6_21rocsparse_index_base_b.has_dyn_sized_stack, 0
	.set _ZN9rocsparseL18bsrxmvn_4x4_kernelILj128ELj16EdlifddEEvT3_20rocsparse_direction_NS_24const_host_device_scalarIT1_EES1_PKS1_PKT2_SA_S7_PKT4_PKT5_S5_PT6_21rocsparse_index_base_b.has_recursion, 0
	.set _ZN9rocsparseL18bsrxmvn_4x4_kernelILj128ELj16EdlifddEEvT3_20rocsparse_direction_NS_24const_host_device_scalarIT1_EES1_PKS1_PKT2_SA_S7_PKT4_PKT5_S5_PT6_21rocsparse_index_base_b.has_indirect_call, 0
	.section	.AMDGPU.csdata,"",@progbits
; Kernel info:
; codeLenInByte = 4052
; TotalNumSgprs: 26
; NumVgprs: 118
; NumAgprs: 0
; TotalNumVgprs: 118
; ScratchSize: 0
; MemoryBound: 0
; FloatMode: 240
; IeeeMode: 1
; LDSByteSize: 0 bytes/workgroup (compile time only)
; SGPRBlocks: 3
; VGPRBlocks: 14
; NumSGPRsForWavesPerEU: 26
; NumVGPRsForWavesPerEU: 118
; AccumOffset: 120
; Occupancy: 4
; WaveLimiterHint : 1
; COMPUTE_PGM_RSRC2:SCRATCH_EN: 0
; COMPUTE_PGM_RSRC2:USER_SGPR: 2
; COMPUTE_PGM_RSRC2:TRAP_HANDLER: 0
; COMPUTE_PGM_RSRC2:TGID_X_EN: 1
; COMPUTE_PGM_RSRC2:TGID_Y_EN: 0
; COMPUTE_PGM_RSRC2:TGID_Z_EN: 0
; COMPUTE_PGM_RSRC2:TIDIG_COMP_CNT: 0
; COMPUTE_PGM_RSRC3_GFX90A:ACCUM_OFFSET: 29
; COMPUTE_PGM_RSRC3_GFX90A:TG_SPLIT: 0
	.section	.text._ZN9rocsparseL18bsrxmvn_4x4_kernelILj128ELj32EdlifddEEvT3_20rocsparse_direction_NS_24const_host_device_scalarIT1_EES1_PKS1_PKT2_SA_S7_PKT4_PKT5_S5_PT6_21rocsparse_index_base_b,"axG",@progbits,_ZN9rocsparseL18bsrxmvn_4x4_kernelILj128ELj32EdlifddEEvT3_20rocsparse_direction_NS_24const_host_device_scalarIT1_EES1_PKS1_PKT2_SA_S7_PKT4_PKT5_S5_PT6_21rocsparse_index_base_b,comdat
	.globl	_ZN9rocsparseL18bsrxmvn_4x4_kernelILj128ELj32EdlifddEEvT3_20rocsparse_direction_NS_24const_host_device_scalarIT1_EES1_PKS1_PKT2_SA_S7_PKT4_PKT5_S5_PT6_21rocsparse_index_base_b ; -- Begin function _ZN9rocsparseL18bsrxmvn_4x4_kernelILj128ELj32EdlifddEEvT3_20rocsparse_direction_NS_24const_host_device_scalarIT1_EES1_PKS1_PKT2_SA_S7_PKT4_PKT5_S5_PT6_21rocsparse_index_base_b
	.p2align	8
	.type	_ZN9rocsparseL18bsrxmvn_4x4_kernelILj128ELj32EdlifddEEvT3_20rocsparse_direction_NS_24const_host_device_scalarIT1_EES1_PKS1_PKT2_SA_S7_PKT4_PKT5_S5_PT6_21rocsparse_index_base_b,@function
_ZN9rocsparseL18bsrxmvn_4x4_kernelILj128ELj32EdlifddEEvT3_20rocsparse_direction_NS_24const_host_device_scalarIT1_EES1_PKS1_PKT2_SA_S7_PKT4_PKT5_S5_PT6_21rocsparse_index_base_b: ; @_ZN9rocsparseL18bsrxmvn_4x4_kernelILj128ELj32EdlifddEEvT3_20rocsparse_direction_NS_24const_host_device_scalarIT1_EES1_PKS1_PKT2_SA_S7_PKT4_PKT5_S5_PT6_21rocsparse_index_base_b
; %bb.0:
	s_load_dwordx2 s[12:13], s[0:1], 0x58
	s_load_dwordx2 s[8:9], s[0:1], 0x8
	s_load_dwordx2 s[4:5], s[0:1], 0x48
	s_waitcnt lgkmcnt(0)
	s_bitcmp1_b32 s13, 0
	s_cselect_b64 s[10:11], -1, 0
	s_xor_b64 s[6:7], s[10:11], -1
	s_and_b64 vcc, exec, s[10:11]
	v_mov_b64_e32 v[2:3], s[8:9]
	s_cbranch_vccnz .LBB158_2
; %bb.1:
	v_mov_b64_e32 v[2:3], s[8:9]
	flat_load_dwordx2 v[2:3], v[2:3]
.LBB158_2:
	s_andn2_b64 vcc, exec, s[6:7]
	v_mov_b64_e32 v[8:9], s[4:5]
	s_cbranch_vccnz .LBB158_4
; %bb.3:
	v_mov_b64_e32 v[4:5], s[4:5]
	flat_load_dwordx2 v[8:9], v[4:5]
.LBB158_4:
	s_waitcnt vmcnt(0) lgkmcnt(0)
	v_cmp_neq_f64_e32 vcc, 0, v[2:3]
	v_cmp_neq_f64_e64 s[4:5], 1.0, v[8:9]
	s_mov_b64 s[6:7], 0
	s_or_b64 s[4:5], vcc, s[4:5]
	s_and_saveexec_b64 s[8:9], s[4:5]
	s_cbranch_execz .LBB158_10
; %bb.5:
	s_load_dwordx2 s[4:5], s[0:1], 0x18
	s_load_dwordx2 s[14:15], s[0:1], 0x0
	v_lshrrev_b32_e32 v1, 5, v0
	v_lshl_or_b32 v10, s2, 2, v1
	s_mov_b64 s[2:3], 0
	s_waitcnt lgkmcnt(0)
	s_cmp_lg_u64 s[4:5], 0
	s_cbranch_scc0 .LBB158_11
; %bb.6:
	s_load_dword s6, s[0:1], 0x10
                                        ; implicit-def: $vgpr1
	s_waitcnt lgkmcnt(0)
	v_cmp_gt_i32_e32 vcc, s6, v10
	s_and_saveexec_b64 s[6:7], vcc
	s_xor_b64 s[6:7], exec, s[6:7]
	s_cbranch_execz .LBB158_8
; %bb.7:
	v_ashrrev_i32_e32 v11, 31, v10
	v_lshl_add_u64 v[4:5], v[10:11], 2, s[4:5]
	global_load_dword v1, v[4:5], off
	s_mov_b64 s[2:3], exec
	s_waitcnt vmcnt(0)
	v_subrev_u32_e32 v1, s12, v1
.LBB158_8:
	s_or_b64 exec, exec, s[6:7]
	s_mov_b64 s[6:7], s[2:3]
	s_branch .LBB158_12
.LBB158_9:
	v_cmp_gt_i32_e32 vcc, s14, v10
	s_andn2_b64 s[2:3], s[6:7], exec
	s_and_b64 s[4:5], vcc, exec
	s_or_b64 s[6:7], s[2:3], s[4:5]
	s_and_b64 exec, exec, s[6:7]
	s_cbranch_execnz .LBB158_13
.LBB158_10:
	s_endpgm
.LBB158_11:
                                        ; implicit-def: $vgpr1
	s_cbranch_execnz .LBB158_9
.LBB158_12:
	v_mov_b32_e32 v10, v1
	s_and_b64 exec, exec, s[6:7]
	s_cbranch_execz .LBB158_10
.LBB158_13:
	s_load_dwordx8 s[4:11], s[0:1], 0x20
	v_ashrrev_i32_e32 v11, 31, v10
	v_lshlrev_b64 v[4:5], 3, v[10:11]
	v_and_b32_e32 v0, 31, v0
	v_mov_b32_e32 v1, 0
	s_waitcnt lgkmcnt(0)
	v_lshl_add_u64 v[6:7], s[4:5], 0, v[4:5]
	s_cmp_eq_u64 s[6:7], 0
	v_lshl_add_u64 v[4:5], s[6:7], 0, v[4:5]
	global_load_dwordx2 v[22:23], v[6:7], off
	v_lshl_add_u64 v[6:7], v[6:7], 0, 8
	s_cselect_b64 vcc, -1, 0
	v_cndmask_b32_e32 v5, v5, v7, vcc
	v_cndmask_b32_e32 v4, v4, v6, vcc
	global_load_dwordx2 v[4:5], v[4:5], off
	s_load_dwordx2 s[4:5], s[0:1], 0x40
	s_cmp_eq_u32 s15, 1
	s_waitcnt vmcnt(1)
	v_subrev_co_u32_e32 v6, vcc, s12, v22
	s_nop 1
	v_subbrev_co_u32_e32 v7, vcc, 0, v23, vcc
	v_lshl_add_u64 v[6:7], v[6:7], 0, v[0:1]
	s_waitcnt vmcnt(0)
	v_subrev_co_u32_e32 v12, vcc, s12, v4
	s_nop 1
	v_subbrev_co_u32_e32 v13, vcc, 0, v5, vcc
	v_lshlrev_b64 v[4:5], 6, v[6:7]
	v_lshl_add_u64 v[14:15], s[10:11], 0, v[4:5]
	v_cmp_lt_i64_e64 s[2:3], v[6:7], v[12:13]
	s_cbranch_scc1 .LBB158_25
; %bb.14:
	v_mov_b64_e32 v[4:5], 0
	v_mov_b64_e32 v[16:17], 0
	;; [unrolled: 1-line block ×4, first 2 shown]
	s_and_saveexec_b64 s[6:7], s[2:3]
	s_cbranch_execz .LBB158_24
; %bb.15:
	v_or_b32_e32 v1, 32, v0
	v_subrev_co_u32_e32 v4, vcc, s12, v1
	v_not_b32_e32 v17, v23
	s_nop 0
	v_subb_co_u32_e64 v5, s[10:11], 0, 0, vcc
	v_lshl_add_u64 v[4:5], v[4:5], 0, v[22:23]
	v_cmp_gt_i64_e32 vcc, v[4:5], v[12:13]
	v_not_b32_e32 v16, v22
	v_mov_b64_e32 v[20:21], 0
	v_cndmask_b32_e32 v5, v13, v5, vcc
	v_cndmask_b32_e32 v4, v12, v4, vcc
	v_sub_co_u32_e32 v18, vcc, s12, v0
	v_mov_b64_e32 v[24:25], v[6:7]
	s_nop 0
	v_subb_co_u32_e64 v19, s[10:11], 0, 0, vcc
	v_lshl_add_u64 v[16:17], v[18:19], 0, v[16:17]
	v_lshl_add_u64 v[28:29], v[16:17], 0, v[4:5]
	v_and_b32_e32 v4, 0x60, v28
	v_mov_b32_e32 v5, 0
	s_mov_b64 s[10:11], 0x60
	v_cmp_ne_u64_e32 vcc, s[10:11], v[4:5]
	v_mov_b64_e32 v[18:19], 0
	v_mov_b64_e32 v[16:17], 0
	;; [unrolled: 1-line block ×4, first 2 shown]
	s_and_saveexec_b64 s[10:11], vcc
	s_cbranch_execz .LBB158_19
; %bb.16:
	v_lshrrev_b32_e32 v1, 5, v28
	v_add_u32_e32 v1, 1, v1
	v_and_b32_e32 v1, 3, v1
	v_sub_co_u32_e32 v32, vcc, 0, v1
	v_lshl_add_u64 v[30:31], v[6:7], 2, s[8:9]
	s_nop 0
	v_subb_co_u32_e64 v33, s[16:17], 0, 0, vcc
	s_mov_b64 s[14:15], 0
	v_mov_b64_e32 v[4:5], 0
	s_mov_b64 s[16:17], 0x800
	s_mov_b64 s[18:19], 0x80
	v_mov_b64_e32 v[26:27], v[14:15]
	v_mov_b64_e32 v[24:25], v[6:7]
	;; [unrolled: 1-line block ×5, first 2 shown]
.LBB158_17:                             ; =>This Inner Loop Header: Depth=1
	global_load_dword v1, v[30:31], off
	global_load_dwordx4 v[34:37], v[26:27], off
	global_load_dwordx4 v[38:41], v[26:27], off offset:16
	global_load_dwordx4 v[42:45], v[26:27], off offset:32
	;; [unrolled: 1-line block ×3, first 2 shown]
	v_lshl_add_u64 v[32:33], v[32:33], 0, 1
	v_cmp_eq_u64_e32 vcc, 0, v[32:33]
	v_lshl_add_u64 v[26:27], v[26:27], 0, s[16:17]
	v_lshl_add_u64 v[24:25], v[24:25], 0, 32
	;; [unrolled: 1-line block ×3, first 2 shown]
	s_or_b64 s[14:15], vcc, s[14:15]
	s_waitcnt vmcnt(4)
	v_subrev_u32_e32 v1, s12, v1
	v_lshlrev_b32_e32 v50, 2, v1
	v_ashrrev_i32_e32 v51, 31, v50
	s_waitcnt lgkmcnt(0)
	v_lshl_add_u64 v[58:59], v[50:51], 3, s[4:5]
	global_load_dwordx4 v[50:53], v[58:59], off
	global_load_dwordx4 v[54:57], v[58:59], off offset:16
	s_waitcnt vmcnt(5)
	v_cvt_f64_f32_e32 v[58:59], v34
	s_waitcnt vmcnt(4)
	v_cvt_f64_f32_e32 v[62:63], v38
	s_waitcnt vmcnt(3)
	v_cvt_f64_f32_e32 v[66:67], v42
	s_waitcnt vmcnt(2)
	v_cvt_f64_f32_e32 v[70:71], v46
	v_cvt_f64_f32_e32 v[34:35], v35
	v_cvt_f64_f32_e32 v[38:39], v39
	;; [unrolled: 1-line block ×12, first 2 shown]
	s_waitcnt vmcnt(1)
	v_fmac_f64_e32 v[20:21], v[58:59], v[50:51]
	v_fmac_f64_e32 v[18:19], v[62:63], v[50:51]
	;; [unrolled: 1-line block ×8, first 2 shown]
	s_waitcnt vmcnt(0)
	v_fmac_f64_e32 v[20:21], v[60:61], v[54:55]
	v_fmac_f64_e32 v[18:19], v[64:65], v[54:55]
	;; [unrolled: 1-line block ×8, first 2 shown]
	s_andn2_b64 exec, exec, s[14:15]
	s_cbranch_execnz .LBB158_17
; %bb.18:
	s_or_b64 exec, exec, s[14:15]
.LBB158_19:
	s_or_b64 exec, exec, s[10:11]
	s_mov_b64 s[10:11], 0x5f
	v_cmp_lt_u64_e32 vcc, s[10:11], v[28:29]
	s_and_saveexec_b64 s[10:11], vcc
	s_cbranch_execz .LBB158_23
; %bb.20:
	v_lshl_add_u64 v[28:29], v[24:25], 2, s[8:9]
	s_mov_b64 s[14:15], 0x100
	v_lshl_add_u64 v[28:29], v[28:29], 0, s[14:15]
	s_mov_b64 s[14:15], 0
	s_mov_b64 s[16:17], 0x1000
	s_movk_i32 s13, 0x1000
	s_mov_b64 s[18:19], 0x80
	s_mov_b64 s[20:21], 0x200
	;; [unrolled: 1-line block ×3, first 2 shown]
.LBB158_21:                             ; =>This Inner Loop Header: Depth=1
	global_load_dword v1, v[28:29], off offset:-256
	global_load_dwordx4 v[30:33], v[26:27], off
	global_load_dwordx4 v[34:37], v[26:27], off offset:16
	global_load_dwordx4 v[38:41], v[26:27], off offset:32
	;; [unrolled: 1-line block ×7, first 2 shown]
	v_lshl_add_u64 v[110:111], v[26:27], 0, s[16:17]
	v_lshl_add_u64 v[24:25], v[24:25], 0, s[18:19]
	s_waitcnt vmcnt(8)
	v_subrev_u32_e32 v1, s12, v1
	s_waitcnt vmcnt(7)
	v_cvt_f64_f32_e32 v[62:63], v30
	v_cvt_f64_f32_e32 v[66:67], v31
	s_waitcnt vmcnt(5)
	v_cvt_f64_f32_e32 v[84:85], v38
	v_cvt_f64_f32_e32 v[102:103], v39
	s_waitcnt vmcnt(3)
	v_cvt_f64_f32_e32 v[38:39], v48
	v_lshlrev_b32_e32 v48, 2, v1
	v_cvt_f64_f32_e32 v[30:31], v49
	v_ashrrev_i32_e32 v49, 31, v48
	s_waitcnt lgkmcnt(0)
	v_lshl_add_u64 v[108:109], v[48:49], 3, s[4:5]
	s_waitcnt vmcnt(2)
	v_cvt_f64_f32_e32 v[88:89], v50
	v_cvt_f64_f32_e32 v[72:73], v51
	global_load_dwordx4 v[48:51], v[108:109], off
	v_cvt_f64_f32_e32 v[104:105], v42
	v_cvt_f64_f32_e32 v[78:79], v32
	;; [unrolled: 1-line block ×12, first 2 shown]
	s_waitcnt vmcnt(2)
	v_cvt_f64_f32_e32 v[90:91], v54
	v_cvt_f64_f32_e32 v[64:65], v55
	;; [unrolled: 1-line block ×4, first 2 shown]
	s_waitcnt vmcnt(1)
	v_cvt_f64_f32_e32 v[92:93], v58
	v_cvt_f64_f32_e32 v[46:47], v59
	global_load_dwordx4 v[52:55], v[110:111], off offset:16
	global_load_dwordx4 v[56:59], v[110:111], off offset:32
	v_cvt_f64_f32_e32 v[96:97], v36
	v_cvt_f64_f32_e32 v[76:77], v37
	;; [unrolled: 1-line block ×6, first 2 shown]
	global_load_dword v1, v[28:29], off offset:-128
	s_waitcnt vmcnt(3)
	v_fmac_f64_e32 v[16:17], v[84:85], v[48:49]
	v_fmac_f64_e32 v[4:5], v[104:105], v[48:49]
	;; [unrolled: 1-line block ×3, first 2 shown]
	global_load_dwordx4 v[102:105], v[110:111], off offset:48
	v_fmac_f64_e32 v[20:21], v[62:63], v[48:49]
	v_fmac_f64_e32 v[18:19], v[80:81], v[48:49]
	;; [unrolled: 1-line block ×5, first 2 shown]
	s_waitcnt vmcnt(3)
	v_cvt_f64_f32_e32 v[84:85], v52
	v_cvt_f64_f32_e32 v[62:63], v53
	v_cvt_f64_f32_e32 v[50:51], v54
	v_cvt_f64_f32_e32 v[48:49], v55
	s_waitcnt vmcnt(2)
	v_cvt_f64_f32_e32 v[54:55], v58
	v_cvt_f64_f32_e32 v[52:53], v59
	v_cvt_f64_f32_e32 v[80:81], v56
	v_cvt_f64_f32_e32 v[56:57], v57
	s_waitcnt vmcnt(1)
	v_subrev_u32_e32 v1, s12, v1
	s_waitcnt vmcnt(0)
	v_cvt_f64_f32_e32 v[82:83], v102
	v_cvt_f64_f32_e32 v[66:67], v103
	;; [unrolled: 1-line block ×4, first 2 shown]
	global_load_dwordx4 v[102:105], v[108:109], off offset:16
	s_waitcnt vmcnt(0)
	v_fmac_f64_e32 v[16:17], v[98:99], v[102:103]
	v_fmac_f64_e32 v[18:19], v[96:97], v[102:103]
	;; [unrolled: 1-line block ×3, first 2 shown]
	global_load_dwordx4 v[94:97], v[110:111], off offset:2048
	v_fmac_f64_e32 v[20:21], v[78:79], v[102:103]
	v_fmac_f64_e32 v[18:19], v[76:77], v[104:105]
	v_fmac_f64_e32 v[4:5], v[100:101], v[102:103]
	v_fmac_f64_e32 v[20:21], v[74:75], v[104:105]
	v_fmac_f64_e32 v[4:5], v[70:71], v[104:105]
	s_waitcnt vmcnt(0)
	v_cvt_f64_f32_e32 v[78:79], v94
	v_lshlrev_b32_e32 v94, 2, v1
	v_cvt_f64_f32_e32 v[76:77], v95
	v_ashrrev_i32_e32 v95, 31, v94
	v_lshl_add_u64 v[98:99], v[94:95], 3, s[4:5]
	v_cvt_f64_f32_e32 v[74:75], v96
	v_cvt_f64_f32_e32 v[70:71], v97
	global_load_dwordx4 v[94:97], v[98:99], off
	global_load_dword v1, v[28:29], off
	s_waitcnt vmcnt(1)
	v_fmac_f64_e32 v[20:21], v[86:87], v[94:95]
	v_fmac_f64_e32 v[18:19], v[88:89], v[94:95]
	global_load_dwordx4 v[86:89], v[110:111], off offset:2064
	v_fmac_f64_e32 v[16:17], v[90:91], v[94:95]
	v_fmac_f64_e32 v[4:5], v[92:93], v[94:95]
	;; [unrolled: 1-line block ×6, first 2 shown]
	global_load_dwordx4 v[90:93], v[110:111], off offset:2080
	s_waitcnt vmcnt(2)
	v_subrev_u32_e32 v1, s12, v1
	s_waitcnt vmcnt(1)
	v_cvt_f64_f32_e32 v[64:65], v86
	v_cvt_f64_f32_e32 v[46:47], v87
	;; [unrolled: 1-line block ×4, first 2 shown]
	global_load_dwordx4 v[86:89], v[110:111], off offset:2096
	s_waitcnt vmcnt(0)
	v_cvt_f64_f32_e32 v[100:101], v86
	v_cvt_f64_f32_e32 v[102:103], v87
	;; [unrolled: 1-line block ×4, first 2 shown]
	global_load_dwordx4 v[86:89], v[98:99], off offset:16
	s_waitcnt vmcnt(0)
	v_fmac_f64_e32 v[20:21], v[38:39], v[86:87]
	v_fmac_f64_e32 v[20:21], v[30:31], v[88:89]
	v_add_co_u32_e32 v30, vcc, s13, v26
	v_fmac_f64_e32 v[18:19], v[40:41], v[86:87]
	s_nop 0
	v_addc_co_u32_e32 v31, vcc, 0, v27, vcc
	v_fmac_f64_e32 v[18:19], v[32:33], v[88:89]
	global_load_dwordx4 v[30:33], v[30:31], off
	v_fmac_f64_e32 v[16:17], v[42:43], v[86:87]
	v_fmac_f64_e32 v[16:17], v[34:35], v[88:89]
	v_lshlrev_b32_e32 v34, 2, v1
	v_ashrrev_i32_e32 v35, 31, v34
	v_fmac_f64_e32 v[4:5], v[44:45], v[86:87]
	v_lshl_add_u64 v[34:35], v[34:35], 3, s[4:5]
	global_load_dword v1, v[28:29], off offset:128
	v_fmac_f64_e32 v[4:5], v[36:37], v[88:89]
	v_cvt_f64_f32_e32 v[94:95], v90
	v_cvt_f64_f32_e32 v[90:91], v91
	;; [unrolled: 1-line block ×4, first 2 shown]
	v_cmp_ge_i64_e32 vcc, v[24:25], v[12:13]
	v_lshl_add_u64 v[28:29], v[28:29], 0, s[20:21]
	v_lshl_add_u64 v[26:27], v[26:27], 0, s[22:23]
	s_or_b64 s[14:15], vcc, s[14:15]
	s_waitcnt vmcnt(1)
	v_cvt_f64_f32_e32 v[36:37], v30
	v_cvt_f64_f32_e32 v[38:39], v31
	;; [unrolled: 1-line block ×4, first 2 shown]
	global_load_dwordx4 v[30:33], v[34:35], off
	s_waitcnt vmcnt(1)
	v_subrev_u32_e32 v1, s12, v1
	s_waitcnt vmcnt(0)
	v_fmac_f64_e32 v[20:21], v[36:37], v[30:31]
	v_lshlrev_b32_e32 v36, 2, v1
	v_ashrrev_i32_e32 v37, 31, v36
	v_lshl_add_u64 v[42:43], v[36:37], 3, s[4:5]
	global_load_dwordx4 v[34:37], v[34:35], off offset:16
	v_fmac_f64_e32 v[20:21], v[38:39], v[32:33]
	global_load_dwordx4 v[38:41], v[42:43], off
	v_fmac_f64_e32 v[18:19], v[84:85], v[30:31]
	global_load_dwordx4 v[42:45], v[42:43], off offset:16
	v_fmac_f64_e32 v[16:17], v[80:81], v[30:31]
	v_fmac_f64_e32 v[4:5], v[82:83], v[30:31]
	v_fmac_f64_e32 v[18:19], v[62:63], v[32:33]
	v_fmac_f64_e32 v[16:17], v[56:57], v[32:33]
	v_fmac_f64_e32 v[4:5], v[66:67], v[32:33]
	s_waitcnt vmcnt(2)
	v_fmac_f64_e32 v[20:21], v[86:87], v[34:35]
	v_fmac_f64_e32 v[18:19], v[50:51], v[34:35]
	v_fmac_f64_e32 v[16:17], v[54:55], v[34:35]
	v_fmac_f64_e32 v[4:5], v[60:61], v[34:35]
	v_fmac_f64_e32 v[20:21], v[88:89], v[36:37]
	v_fmac_f64_e32 v[18:19], v[48:49], v[36:37]
	v_fmac_f64_e32 v[16:17], v[52:53], v[36:37]
	v_fmac_f64_e32 v[4:5], v[58:59], v[36:37]
	s_waitcnt vmcnt(1)
	v_fmac_f64_e32 v[20:21], v[78:79], v[38:39]
	v_fmac_f64_e32 v[18:19], v[64:65], v[38:39]
	v_fmac_f64_e32 v[16:17], v[94:95], v[38:39]
	v_fmac_f64_e32 v[4:5], v[100:101], v[38:39]
	v_fmac_f64_e32 v[20:21], v[76:77], v[40:41]
	v_fmac_f64_e32 v[18:19], v[46:47], v[40:41]
	v_fmac_f64_e32 v[16:17], v[90:91], v[40:41]
	v_fmac_f64_e32 v[4:5], v[102:103], v[40:41]
	s_waitcnt vmcnt(0)
	v_fmac_f64_e32 v[20:21], v[74:75], v[42:43]
	v_fmac_f64_e32 v[18:19], v[68:69], v[42:43]
	v_fmac_f64_e32 v[16:17], v[96:97], v[42:43]
	v_fmac_f64_e32 v[4:5], v[104:105], v[42:43]
	v_fmac_f64_e32 v[20:21], v[70:71], v[44:45]
	;; [unrolled: 1-line block ×5, first 2 shown]
	s_andn2_b64 exec, exec, s[14:15]
	s_cbranch_execnz .LBB158_21
; %bb.22:
	s_or_b64 exec, exec, s[14:15]
.LBB158_23:
	s_or_b64 exec, exec, s[10:11]
.LBB158_24:
	s_or_b64 exec, exec, s[6:7]
	s_cbranch_execz .LBB158_26
	s_branch .LBB158_37
.LBB158_25:
                                        ; implicit-def: $vgpr4_vgpr5
                                        ; implicit-def: $vgpr16_vgpr17
                                        ; implicit-def: $vgpr18_vgpr19
                                        ; implicit-def: $vgpr20_vgpr21
.LBB158_26:
	v_mov_b64_e32 v[4:5], 0
	v_mov_b64_e32 v[16:17], 0
	;; [unrolled: 1-line block ×4, first 2 shown]
	s_and_saveexec_b64 s[6:7], s[2:3]
	s_cbranch_execz .LBB158_36
; %bb.27:
	v_or_b32_e32 v1, 32, v0
	v_subrev_co_u32_e32 v4, vcc, s12, v1
	v_not_b32_e32 v17, v23
	s_nop 0
	v_subb_co_u32_e64 v5, s[2:3], 0, 0, vcc
	v_lshl_add_u64 v[4:5], v[4:5], 0, v[22:23]
	v_cmp_gt_i64_e32 vcc, v[4:5], v[12:13]
	v_not_b32_e32 v16, v22
	v_mov_b64_e32 v[20:21], 0
	v_cndmask_b32_e32 v5, v13, v5, vcc
	v_cndmask_b32_e32 v4, v12, v4, vcc
	v_sub_co_u32_e32 v18, vcc, s12, v0
	s_nop 1
	v_subb_co_u32_e64 v19, s[2:3], 0, 0, vcc
	v_lshl_add_u64 v[16:17], v[18:19], 0, v[16:17]
	v_lshl_add_u64 v[22:23], v[16:17], 0, v[4:5]
	v_and_b32_e32 v4, 0x60, v22
	v_mov_b32_e32 v5, 0
	s_mov_b64 s[2:3], 0x60
	v_cmp_ne_u64_e32 vcc, s[2:3], v[4:5]
	v_mov_b64_e32 v[18:19], 0
	v_mov_b64_e32 v[16:17], 0
	;; [unrolled: 1-line block ×3, first 2 shown]
	s_and_saveexec_b64 s[2:3], vcc
	s_cbranch_execz .LBB158_31
; %bb.28:
	v_lshrrev_b32_e32 v1, 5, v22
	v_add_u32_e32 v1, 1, v1
	v_and_b32_e32 v1, 3, v1
	v_sub_co_u32_e32 v26, vcc, 0, v1
	v_lshl_add_u64 v[24:25], v[6:7], 2, s[8:9]
	s_nop 0
	v_subb_co_u32_e64 v27, s[14:15], 0, 0, vcc
	s_mov_b64 s[10:11], 0
	v_mov_b64_e32 v[4:5], 0
	s_mov_b64 s[14:15], 0x800
	s_mov_b64 s[16:17], 0x80
	v_mov_b64_e32 v[16:17], 0
	v_mov_b64_e32 v[18:19], 0
	;; [unrolled: 1-line block ×3, first 2 shown]
.LBB158_29:                             ; =>This Inner Loop Header: Depth=1
	global_load_dword v1, v[24:25], off
	global_load_dwordx4 v[28:31], v[14:15], off
	global_load_dwordx4 v[32:35], v[14:15], off offset:16
	global_load_dwordx4 v[36:39], v[14:15], off offset:32
	v_lshl_add_u64 v[26:27], v[26:27], 0, 1
	v_cmp_eq_u64_e32 vcc, 0, v[26:27]
	v_lshl_add_u64 v[6:7], v[6:7], 0, 32
	v_lshl_add_u64 v[24:25], v[24:25], 0, s[16:17]
	s_or_b64 s[10:11], vcc, s[10:11]
	s_waitcnt vmcnt(3)
	v_subrev_u32_e32 v1, s12, v1
	v_lshlrev_b32_e32 v40, 2, v1
	v_ashrrev_i32_e32 v41, 31, v40
	s_waitcnt lgkmcnt(0)
	v_lshl_add_u64 v[52:53], v[40:41], 3, s[4:5]
	global_load_dwordx4 v[40:43], v[52:53], off offset:16
	global_load_dwordx4 v[44:47], v[52:53], off
	global_load_dwordx4 v[48:51], v[14:15], off offset:48
	s_waitcnt vmcnt(5)
	v_cvt_f64_f32_e32 v[52:53], v28
	v_cvt_f64_f32_e32 v[28:29], v29
	v_cvt_f64_f32_e32 v[54:55], v30
	v_cvt_f64_f32_e32 v[30:31], v31
	s_waitcnt vmcnt(4)
	v_cvt_f64_f32_e32 v[56:57], v32
	v_cvt_f64_f32_e32 v[32:33], v33
	v_cvt_f64_f32_e32 v[58:59], v34
	v_cvt_f64_f32_e32 v[34:35], v35
	;; [unrolled: 5-line block ×3, first 2 shown]
	v_lshl_add_u64 v[14:15], v[14:15], 0, s[14:15]
	s_waitcnt vmcnt(1)
	v_fmac_f64_e32 v[20:21], v[52:53], v[44:45]
	v_fmac_f64_e32 v[18:19], v[28:29], v[44:45]
	;; [unrolled: 1-line block ×8, first 2 shown]
	s_waitcnt vmcnt(0)
	v_cvt_f64_f32_e32 v[64:65], v48
	v_cvt_f64_f32_e32 v[48:49], v49
	;; [unrolled: 1-line block ×4, first 2 shown]
	v_fmac_f64_e32 v[20:21], v[60:61], v[40:41]
	v_fmac_f64_e32 v[18:19], v[36:37], v[40:41]
	;; [unrolled: 1-line block ×8, first 2 shown]
	s_andn2_b64 exec, exec, s[10:11]
	s_cbranch_execnz .LBB158_29
; %bb.30:
	s_or_b64 exec, exec, s[10:11]
.LBB158_31:
	s_or_b64 exec, exec, s[2:3]
	s_mov_b64 s[2:3], 0x5f
	v_cmp_lt_u64_e32 vcc, s[2:3], v[22:23]
	s_and_saveexec_b64 s[2:3], vcc
	s_cbranch_execz .LBB158_35
; %bb.32:
	v_lshl_add_u64 v[22:23], v[6:7], 2, s[8:9]
	s_mov_b64 s[8:9], 0x100
	v_lshl_add_u64 v[22:23], v[22:23], 0, s[8:9]
	s_mov_b64 s[8:9], 0
	s_mov_b64 s[10:11], 0x1000
	s_movk_i32 s13, 0x1000
	s_mov_b64 s[14:15], 0x80
	s_mov_b64 s[16:17], 0x200
	;; [unrolled: 1-line block ×3, first 2 shown]
.LBB158_33:                             ; =>This Inner Loop Header: Depth=1
	global_load_dwordx4 v[24:27], v[14:15], off
	global_load_dwordx4 v[28:31], v[14:15], off offset:16
	global_load_dwordx4 v[32:35], v[14:15], off offset:32
	global_load_dwordx4 v[36:39], v[14:15], off offset:48
	global_load_dwordx4 v[40:43], v[14:15], off offset:2048
	global_load_dwordx4 v[44:47], v[14:15], off offset:2064
	global_load_dwordx4 v[48:51], v[14:15], off offset:2080
	global_load_dword v1, v[22:23], off offset:-256
	global_load_dword v11, v[22:23], off offset:-128
	global_load_dword v100, v[22:23], off
	global_load_dword v101, v[22:23], off offset:128
	v_lshl_add_u64 v[6:7], v[6:7], 0, s[14:15]
	v_lshl_add_u64 v[22:23], v[22:23], 0, s[16:17]
	s_waitcnt vmcnt(10)
	v_cvt_f64_f32_e32 v[52:53], v24
	s_waitcnt vmcnt(9)
	v_cvt_f64_f32_e32 v[60:61], v28
	v_cvt_f64_f32_e32 v[62:63], v29
	s_waitcnt vmcnt(7)
	v_cvt_f64_f32_e32 v[80:81], v38
	s_waitcnt vmcnt(6)
	v_cvt_f64_f32_e32 v[88:89], v42
	v_cvt_f64_f32_e32 v[82:83], v39
	;; [unrolled: 1-line block ×3, first 2 shown]
	s_waitcnt vmcnt(3)
	v_subrev_u32_e32 v1, s12, v1
	v_lshlrev_b32_e32 v42, 2, v1
	v_ashrrev_i32_e32 v43, 31, v42
	v_cvt_f64_f32_e32 v[64:65], v30
	v_cvt_f64_f32_e32 v[66:67], v31
	;; [unrolled: 1-line block ×4, first 2 shown]
	s_waitcnt lgkmcnt(0)
	v_lshl_add_u64 v[50:51], v[42:43], 3, s[4:5]
	v_cvt_f64_f32_e32 v[72:73], v34
	v_cvt_f64_f32_e32 v[74:75], v35
	;; [unrolled: 1-line block ×6, first 2 shown]
	global_load_dwordx4 v[42:45], v[50:51], off
	v_cvt_f64_f32_e32 v[54:55], v25
	v_cvt_f64_f32_e32 v[56:57], v26
	;; [unrolled: 1-line block ×11, first 2 shown]
	global_load_dwordx4 v[46:49], v[14:15], off offset:2096
	s_waitcnt vmcnt(4)
	v_subrev_u32_e32 v1, s12, v11
	s_waitcnt vmcnt(1)
	v_fmac_f64_e32 v[20:21], v[52:53], v[42:43]
	v_add_co_u32_e32 v52, vcc, s13, v14
	v_fmac_f64_e32 v[18:19], v[54:55], v[42:43]
	v_fmac_f64_e32 v[16:17], v[56:57], v[42:43]
	;; [unrolled: 1-line block ×3, first 2 shown]
	v_addc_co_u32_e32 v53, vcc, 0, v15, vcc
	v_fmac_f64_e32 v[20:21], v[60:61], v[44:45]
	v_fmac_f64_e32 v[18:19], v[62:63], v[44:45]
	v_lshl_add_u64 v[54:55], v[14:15], 0, s[10:11]
	v_fmac_f64_e32 v[16:17], v[64:65], v[44:45]
	v_fmac_f64_e32 v[4:5], v[66:67], v[44:45]
	s_waitcnt vmcnt(0)
	v_cvt_f64_f32_e32 v[56:57], v46
	v_cvt_f64_f32_e32 v[58:59], v47
	;; [unrolled: 1-line block ×4, first 2 shown]
	global_load_dwordx4 v[42:45], v[52:53], off
	global_load_dwordx4 v[46:49], v[54:55], off offset:2096
	v_cmp_ge_i64_e32 vcc, v[6:7], v[12:13]
	v_lshl_add_u64 v[14:15], v[14:15], 0, s[18:19]
	s_or_b64 s[8:9], vcc, s[8:9]
	s_waitcnt vmcnt(1)
	v_cvt_f64_f32_e32 v[64:65], v42
	v_cvt_f64_f32_e32 v[66:67], v43
	;; [unrolled: 1-line block ×4, first 2 shown]
	global_load_dwordx4 v[42:45], v[50:51], off offset:16
	s_waitcnt vmcnt(1)
	v_cvt_f64_f32_e32 v[96:97], v46
	global_load_dwordx4 v[50:53], v[54:55], off offset:16
	v_cvt_f64_f32_e32 v[46:47], v47
	v_cvt_f64_f32_e32 v[98:99], v48
	;; [unrolled: 1-line block ×3, first 2 shown]
	s_waitcnt vmcnt(1)
	v_fmac_f64_e32 v[20:21], v[68:69], v[42:43]
	v_fmac_f64_e32 v[18:19], v[70:71], v[42:43]
	;; [unrolled: 1-line block ×4, first 2 shown]
	v_lshlrev_b32_e32 v42, 2, v1
	v_ashrrev_i32_e32 v43, 31, v42
	v_fmac_f64_e32 v[20:21], v[76:77], v[44:45]
	v_lshl_add_u64 v[76:77], v[42:43], 3, s[4:5]
	v_fmac_f64_e32 v[18:19], v[78:79], v[44:45]
	v_fmac_f64_e32 v[16:17], v[80:81], v[44:45]
	;; [unrolled: 1-line block ×3, first 2 shown]
	global_load_dwordx4 v[42:45], v[76:77], off
	v_subrev_u32_e32 v1, s12, v100
	s_waitcnt vmcnt(0)
	v_fmac_f64_e32 v[20:21], v[84:85], v[42:43]
	v_fmac_f64_e32 v[18:19], v[86:87], v[42:43]
	;; [unrolled: 1-line block ×5, first 2 shown]
	global_load_dwordx4 v[38:41], v[54:55], off offset:48
	v_cvt_f64_f32_e32 v[68:69], v50
	v_cvt_f64_f32_e32 v[70:71], v51
	;; [unrolled: 1-line block ×4, first 2 shown]
	global_load_dwordx4 v[50:53], v[54:55], off offset:32
	v_fmac_f64_e32 v[18:19], v[34:35], v[44:45]
	v_fmac_f64_e32 v[16:17], v[36:37], v[44:45]
	global_load_dwordx4 v[34:37], v[54:55], off offset:2048
	v_fmac_f64_e32 v[4:5], v[32:33], v[44:45]
	s_waitcnt vmcnt(2)
	v_cvt_f64_f32_e32 v[78:79], v38
	v_cvt_f64_f32_e32 v[38:39], v39
	;; [unrolled: 1-line block ×4, first 2 shown]
	s_waitcnt vmcnt(1)
	v_cvt_f64_f32_e32 v[42:43], v50
	v_cvt_f64_f32_e32 v[44:45], v51
	;; [unrolled: 1-line block ×3, first 2 shown]
	s_waitcnt vmcnt(0)
	v_cvt_f64_f32_e32 v[82:83], v34
	v_cvt_f64_f32_e32 v[84:85], v35
	global_load_dwordx4 v[32:35], v[76:77], off offset:16
	v_cvt_f64_f32_e32 v[52:53], v53
	v_cvt_f64_f32_e32 v[86:87], v36
	;; [unrolled: 1-line block ×3, first 2 shown]
	s_waitcnt vmcnt(0)
	v_fmac_f64_e32 v[20:21], v[24:25], v[32:33]
	v_fmac_f64_e32 v[18:19], v[26:27], v[32:33]
	global_load_dwordx4 v[24:27], v[54:55], off offset:2064
	v_fmac_f64_e32 v[16:17], v[28:29], v[32:33]
	v_fmac_f64_e32 v[4:5], v[30:31], v[32:33]
	global_load_dwordx4 v[28:31], v[54:55], off offset:2080
	v_fmac_f64_e32 v[20:21], v[56:57], v[34:35]
	v_fmac_f64_e32 v[4:5], v[62:63], v[34:35]
	;; [unrolled: 1-line block ×4, first 2 shown]
	s_waitcnt vmcnt(1)
	v_cvt_f64_f32_e32 v[54:55], v24
	v_lshlrev_b32_e32 v24, 2, v1
	v_cvt_f64_f32_e32 v[56:57], v25
	v_ashrrev_i32_e32 v25, 31, v24
	s_waitcnt vmcnt(0)
	v_cvt_f64_f32_e32 v[62:63], v28
	v_cvt_f64_f32_e32 v[76:77], v29
	v_lshl_add_u64 v[28:29], v[24:25], 3, s[4:5]
	v_cvt_f64_f32_e32 v[58:59], v26
	v_cvt_f64_f32_e32 v[60:61], v27
	global_load_dwordx4 v[24:27], v[28:29], off
	v_subrev_u32_e32 v1, s12, v101
	v_cvt_f64_f32_e32 v[88:89], v30
	v_cvt_f64_f32_e32 v[94:95], v31
	global_load_dwordx4 v[28:31], v[28:29], off offset:16
	s_waitcnt vmcnt(1)
	v_fmac_f64_e32 v[20:21], v[64:65], v[24:25]
	v_fmac_f64_e32 v[18:19], v[66:67], v[24:25]
	v_fmac_f64_e32 v[16:17], v[90:91], v[24:25]
	v_fmac_f64_e32 v[4:5], v[92:93], v[24:25]
	v_lshlrev_b32_e32 v24, 2, v1
	v_ashrrev_i32_e32 v25, 31, v24
	v_lshl_add_u64 v[64:65], v[24:25], 3, s[4:5]
	v_fmac_f64_e32 v[20:21], v[68:69], v[26:27]
	v_fmac_f64_e32 v[18:19], v[70:71], v[26:27]
	;; [unrolled: 1-line block ×4, first 2 shown]
	global_load_dwordx4 v[24:27], v[64:65], off
	global_load_dwordx4 v[32:35], v[64:65], off offset:16
	s_waitcnt vmcnt(2)
	v_fmac_f64_e32 v[20:21], v[42:43], v[28:29]
	v_fmac_f64_e32 v[18:19], v[44:45], v[28:29]
	v_fmac_f64_e32 v[16:17], v[50:51], v[28:29]
	v_fmac_f64_e32 v[4:5], v[52:53], v[28:29]
	v_fmac_f64_e32 v[20:21], v[78:79], v[30:31]
	v_fmac_f64_e32 v[18:19], v[38:39], v[30:31]
	v_fmac_f64_e32 v[16:17], v[80:81], v[30:31]
	v_fmac_f64_e32 v[4:5], v[40:41], v[30:31]
	s_waitcnt vmcnt(1)
	v_fmac_f64_e32 v[20:21], v[82:83], v[24:25]
	v_fmac_f64_e32 v[18:19], v[84:85], v[24:25]
	v_fmac_f64_e32 v[16:17], v[86:87], v[24:25]
	v_fmac_f64_e32 v[4:5], v[36:37], v[24:25]
	v_fmac_f64_e32 v[20:21], v[54:55], v[26:27]
	v_fmac_f64_e32 v[18:19], v[56:57], v[26:27]
	v_fmac_f64_e32 v[16:17], v[58:59], v[26:27]
	v_fmac_f64_e32 v[4:5], v[60:61], v[26:27]
	;; [unrolled: 9-line block ×3, first 2 shown]
	s_andn2_b64 exec, exec, s[8:9]
	s_cbranch_execnz .LBB158_33
; %bb.34:
	s_or_b64 exec, exec, s[8:9]
.LBB158_35:
	s_or_b64 exec, exec, s[2:3]
.LBB158_36:
	s_or_b64 exec, exec, s[6:7]
.LBB158_37:
	v_mov_b32_dpp v6, v20 row_shr:1 row_mask:0xf bank_mask:0xf
	v_mov_b32_dpp v7, v21 row_shr:1 row_mask:0xf bank_mask:0xf
	v_add_f64 v[6:7], v[20:21], v[6:7]
	v_mov_b32_dpp v14, v18 row_shr:1 row_mask:0xf bank_mask:0xf
	v_mov_b32_dpp v15, v19 row_shr:1 row_mask:0xf bank_mask:0xf
	;; [unrolled: 1-line block ×6, first 2 shown]
	v_add_f64 v[14:15], v[18:19], v[14:15]
	v_add_f64 v[16:17], v[16:17], v[20:21]
	v_add_f64 v[4:5], v[4:5], v[22:23]
	v_mov_b32_dpp v12, v6 row_shr:2 row_mask:0xf bank_mask:0xf
	v_mov_b32_dpp v13, v7 row_shr:2 row_mask:0xf bank_mask:0xf
	v_mov_b32_dpp v18, v14 row_shr:2 row_mask:0xf bank_mask:0xf
	v_mov_b32_dpp v19, v15 row_shr:2 row_mask:0xf bank_mask:0xf
	v_mov_b32_dpp v20, v16 row_shr:2 row_mask:0xf bank_mask:0xf
	v_mov_b32_dpp v21, v17 row_shr:2 row_mask:0xf bank_mask:0xf
	v_mov_b32_dpp v22, v4 row_shr:2 row_mask:0xf bank_mask:0xf
	v_mov_b32_dpp v23, v5 row_shr:2 row_mask:0xf bank_mask:0xf
	v_add_f64 v[6:7], v[6:7], v[12:13]
	v_add_f64 v[14:15], v[14:15], v[18:19]
	v_add_f64 v[16:17], v[16:17], v[20:21]
	v_add_f64 v[4:5], v[4:5], v[22:23]
	v_mov_b32_dpp v12, v6 row_shr:4 row_mask:0xf bank_mask:0xe
	v_mov_b32_dpp v13, v7 row_shr:4 row_mask:0xf bank_mask:0xe
	v_mov_b32_dpp v18, v14 row_shr:4 row_mask:0xf bank_mask:0xe
	v_mov_b32_dpp v19, v15 row_shr:4 row_mask:0xf bank_mask:0xe
	v_mov_b32_dpp v20, v16 row_shr:4 row_mask:0xf bank_mask:0xe
	v_mov_b32_dpp v21, v17 row_shr:4 row_mask:0xf bank_mask:0xe
	v_mov_b32_dpp v22, v4 row_shr:4 row_mask:0xf bank_mask:0xe
	v_mov_b32_dpp v23, v5 row_shr:4 row_mask:0xf bank_mask:0xe
	v_add_f64 v[6:7], v[6:7], v[12:13]
	;; [unrolled: 12-line block ×3, first 2 shown]
	v_add_f64 v[14:15], v[14:15], v[18:19]
	v_add_f64 v[16:17], v[16:17], v[20:21]
	;; [unrolled: 1-line block ×3, first 2 shown]
	v_mov_b32_dpp v12, v6 row_bcast:15 row_mask:0xa bank_mask:0xf
	v_mov_b32_dpp v13, v7 row_bcast:15 row_mask:0xa bank_mask:0xf
	;; [unrolled: 1-line block ×8, first 2 shown]
	v_cmp_eq_u32_e32 vcc, 31, v0
	s_and_b64 exec, exec, vcc
	s_cbranch_execz .LBB158_10
; %bb.38:
	s_load_dwordx2 s[0:1], s[0:1], 0x50
	v_add_f64 v[0:1], v[6:7], v[12:13]
	v_add_f64 v[6:7], v[14:15], v[18:19]
	v_add_f64 v[12:13], v[16:17], v[20:21]
	v_add_f64 v[14:15], v[4:5], v[22:23]
	v_cmp_eq_f64_e32 vcc, 0, v[8:9]
	v_mul_f64 v[4:5], v[2:3], v[0:1]
	v_mul_f64 v[6:7], v[2:3], v[6:7]
	;; [unrolled: 1-line block ×4, first 2 shown]
	v_lshlrev_b32_e32 v10, 2, v10
	s_and_saveexec_b64 s[2:3], vcc
	s_xor_b64 s[2:3], exec, s[2:3]
	s_cbranch_execz .LBB158_40
; %bb.39:
	v_ashrrev_i32_e32 v11, 31, v10
	s_waitcnt lgkmcnt(0)
	v_lshl_add_u64 v[8:9], v[10:11], 3, s[0:1]
	global_store_dwordx4 v[8:9], v[4:7], off
	global_store_dwordx4 v[8:9], v[0:3], off offset:16
                                        ; implicit-def: $vgpr10
                                        ; implicit-def: $vgpr8_vgpr9
                                        ; implicit-def: $vgpr4_vgpr5
                                        ; implicit-def: $vgpr0_vgpr1
.LBB158_40:
	s_andn2_saveexec_b64 s[2:3], s[2:3]
	s_cbranch_execz .LBB158_10
; %bb.41:
	v_ashrrev_i32_e32 v11, 31, v10
	s_waitcnt lgkmcnt(0)
	v_lshl_add_u64 v[18:19], v[10:11], 3, s[0:1]
	global_load_dwordx4 v[10:13], v[18:19], off
	global_load_dwordx4 v[14:17], v[18:19], off offset:16
	s_waitcnt vmcnt(1)
	v_fmac_f64_e32 v[4:5], v[8:9], v[10:11]
	v_fmac_f64_e32 v[6:7], v[8:9], v[12:13]
	s_waitcnt vmcnt(0)
	v_fmac_f64_e32 v[0:1], v[8:9], v[14:15]
	v_fmac_f64_e32 v[2:3], v[8:9], v[16:17]
	global_store_dwordx4 v[18:19], v[4:7], off
	global_store_dwordx4 v[18:19], v[0:3], off offset:16
	s_endpgm
	.section	.rodata,"a",@progbits
	.p2align	6, 0x0
	.amdhsa_kernel _ZN9rocsparseL18bsrxmvn_4x4_kernelILj128ELj32EdlifddEEvT3_20rocsparse_direction_NS_24const_host_device_scalarIT1_EES1_PKS1_PKT2_SA_S7_PKT4_PKT5_S5_PT6_21rocsparse_index_base_b
		.amdhsa_group_segment_fixed_size 0
		.amdhsa_private_segment_fixed_size 0
		.amdhsa_kernarg_size 96
		.amdhsa_user_sgpr_count 2
		.amdhsa_user_sgpr_dispatch_ptr 0
		.amdhsa_user_sgpr_queue_ptr 0
		.amdhsa_user_sgpr_kernarg_segment_ptr 1
		.amdhsa_user_sgpr_dispatch_id 0
		.amdhsa_user_sgpr_kernarg_preload_length 0
		.amdhsa_user_sgpr_kernarg_preload_offset 0
		.amdhsa_user_sgpr_private_segment_size 0
		.amdhsa_uses_dynamic_stack 0
		.amdhsa_enable_private_segment 0
		.amdhsa_system_sgpr_workgroup_id_x 1
		.amdhsa_system_sgpr_workgroup_id_y 0
		.amdhsa_system_sgpr_workgroup_id_z 0
		.amdhsa_system_sgpr_workgroup_info 0
		.amdhsa_system_vgpr_workitem_id 0
		.amdhsa_next_free_vgpr 112
		.amdhsa_next_free_sgpr 24
		.amdhsa_accum_offset 112
		.amdhsa_reserve_vcc 1
		.amdhsa_float_round_mode_32 0
		.amdhsa_float_round_mode_16_64 0
		.amdhsa_float_denorm_mode_32 3
		.amdhsa_float_denorm_mode_16_64 3
		.amdhsa_dx10_clamp 1
		.amdhsa_ieee_mode 1
		.amdhsa_fp16_overflow 0
		.amdhsa_tg_split 0
		.amdhsa_exception_fp_ieee_invalid_op 0
		.amdhsa_exception_fp_denorm_src 0
		.amdhsa_exception_fp_ieee_div_zero 0
		.amdhsa_exception_fp_ieee_overflow 0
		.amdhsa_exception_fp_ieee_underflow 0
		.amdhsa_exception_fp_ieee_inexact 0
		.amdhsa_exception_int_div_zero 0
	.end_amdhsa_kernel
	.section	.text._ZN9rocsparseL18bsrxmvn_4x4_kernelILj128ELj32EdlifddEEvT3_20rocsparse_direction_NS_24const_host_device_scalarIT1_EES1_PKS1_PKT2_SA_S7_PKT4_PKT5_S5_PT6_21rocsparse_index_base_b,"axG",@progbits,_ZN9rocsparseL18bsrxmvn_4x4_kernelILj128ELj32EdlifddEEvT3_20rocsparse_direction_NS_24const_host_device_scalarIT1_EES1_PKS1_PKT2_SA_S7_PKT4_PKT5_S5_PT6_21rocsparse_index_base_b,comdat
.Lfunc_end158:
	.size	_ZN9rocsparseL18bsrxmvn_4x4_kernelILj128ELj32EdlifddEEvT3_20rocsparse_direction_NS_24const_host_device_scalarIT1_EES1_PKS1_PKT2_SA_S7_PKT4_PKT5_S5_PT6_21rocsparse_index_base_b, .Lfunc_end158-_ZN9rocsparseL18bsrxmvn_4x4_kernelILj128ELj32EdlifddEEvT3_20rocsparse_direction_NS_24const_host_device_scalarIT1_EES1_PKS1_PKT2_SA_S7_PKT4_PKT5_S5_PT6_21rocsparse_index_base_b
                                        ; -- End function
	.set _ZN9rocsparseL18bsrxmvn_4x4_kernelILj128ELj32EdlifddEEvT3_20rocsparse_direction_NS_24const_host_device_scalarIT1_EES1_PKS1_PKT2_SA_S7_PKT4_PKT5_S5_PT6_21rocsparse_index_base_b.num_vgpr, 112
	.set _ZN9rocsparseL18bsrxmvn_4x4_kernelILj128ELj32EdlifddEEvT3_20rocsparse_direction_NS_24const_host_device_scalarIT1_EES1_PKS1_PKT2_SA_S7_PKT4_PKT5_S5_PT6_21rocsparse_index_base_b.num_agpr, 0
	.set _ZN9rocsparseL18bsrxmvn_4x4_kernelILj128ELj32EdlifddEEvT3_20rocsparse_direction_NS_24const_host_device_scalarIT1_EES1_PKS1_PKT2_SA_S7_PKT4_PKT5_S5_PT6_21rocsparse_index_base_b.numbered_sgpr, 24
	.set _ZN9rocsparseL18bsrxmvn_4x4_kernelILj128ELj32EdlifddEEvT3_20rocsparse_direction_NS_24const_host_device_scalarIT1_EES1_PKS1_PKT2_SA_S7_PKT4_PKT5_S5_PT6_21rocsparse_index_base_b.num_named_barrier, 0
	.set _ZN9rocsparseL18bsrxmvn_4x4_kernelILj128ELj32EdlifddEEvT3_20rocsparse_direction_NS_24const_host_device_scalarIT1_EES1_PKS1_PKT2_SA_S7_PKT4_PKT5_S5_PT6_21rocsparse_index_base_b.private_seg_size, 0
	.set _ZN9rocsparseL18bsrxmvn_4x4_kernelILj128ELj32EdlifddEEvT3_20rocsparse_direction_NS_24const_host_device_scalarIT1_EES1_PKS1_PKT2_SA_S7_PKT4_PKT5_S5_PT6_21rocsparse_index_base_b.uses_vcc, 1
	.set _ZN9rocsparseL18bsrxmvn_4x4_kernelILj128ELj32EdlifddEEvT3_20rocsparse_direction_NS_24const_host_device_scalarIT1_EES1_PKS1_PKT2_SA_S7_PKT4_PKT5_S5_PT6_21rocsparse_index_base_b.uses_flat_scratch, 0
	.set _ZN9rocsparseL18bsrxmvn_4x4_kernelILj128ELj32EdlifddEEvT3_20rocsparse_direction_NS_24const_host_device_scalarIT1_EES1_PKS1_PKT2_SA_S7_PKT4_PKT5_S5_PT6_21rocsparse_index_base_b.has_dyn_sized_stack, 0
	.set _ZN9rocsparseL18bsrxmvn_4x4_kernelILj128ELj32EdlifddEEvT3_20rocsparse_direction_NS_24const_host_device_scalarIT1_EES1_PKS1_PKT2_SA_S7_PKT4_PKT5_S5_PT6_21rocsparse_index_base_b.has_recursion, 0
	.set _ZN9rocsparseL18bsrxmvn_4x4_kernelILj128ELj32EdlifddEEvT3_20rocsparse_direction_NS_24const_host_device_scalarIT1_EES1_PKS1_PKT2_SA_S7_PKT4_PKT5_S5_PT6_21rocsparse_index_base_b.has_indirect_call, 0
	.section	.AMDGPU.csdata,"",@progbits
; Kernel info:
; codeLenInByte = 4304
; TotalNumSgprs: 30
; NumVgprs: 112
; NumAgprs: 0
; TotalNumVgprs: 112
; ScratchSize: 0
; MemoryBound: 0
; FloatMode: 240
; IeeeMode: 1
; LDSByteSize: 0 bytes/workgroup (compile time only)
; SGPRBlocks: 3
; VGPRBlocks: 13
; NumSGPRsForWavesPerEU: 30
; NumVGPRsForWavesPerEU: 112
; AccumOffset: 112
; Occupancy: 4
; WaveLimiterHint : 1
; COMPUTE_PGM_RSRC2:SCRATCH_EN: 0
; COMPUTE_PGM_RSRC2:USER_SGPR: 2
; COMPUTE_PGM_RSRC2:TRAP_HANDLER: 0
; COMPUTE_PGM_RSRC2:TGID_X_EN: 1
; COMPUTE_PGM_RSRC2:TGID_Y_EN: 0
; COMPUTE_PGM_RSRC2:TGID_Z_EN: 0
; COMPUTE_PGM_RSRC2:TIDIG_COMP_CNT: 0
; COMPUTE_PGM_RSRC3_GFX90A:ACCUM_OFFSET: 27
; COMPUTE_PGM_RSRC3_GFX90A:TG_SPLIT: 0
	.section	.text._ZN9rocsparseL18bsrxmvn_4x4_kernelILj128ELj64EdlifddEEvT3_20rocsparse_direction_NS_24const_host_device_scalarIT1_EES1_PKS1_PKT2_SA_S7_PKT4_PKT5_S5_PT6_21rocsparse_index_base_b,"axG",@progbits,_ZN9rocsparseL18bsrxmvn_4x4_kernelILj128ELj64EdlifddEEvT3_20rocsparse_direction_NS_24const_host_device_scalarIT1_EES1_PKS1_PKT2_SA_S7_PKT4_PKT5_S5_PT6_21rocsparse_index_base_b,comdat
	.globl	_ZN9rocsparseL18bsrxmvn_4x4_kernelILj128ELj64EdlifddEEvT3_20rocsparse_direction_NS_24const_host_device_scalarIT1_EES1_PKS1_PKT2_SA_S7_PKT4_PKT5_S5_PT6_21rocsparse_index_base_b ; -- Begin function _ZN9rocsparseL18bsrxmvn_4x4_kernelILj128ELj64EdlifddEEvT3_20rocsparse_direction_NS_24const_host_device_scalarIT1_EES1_PKS1_PKT2_SA_S7_PKT4_PKT5_S5_PT6_21rocsparse_index_base_b
	.p2align	8
	.type	_ZN9rocsparseL18bsrxmvn_4x4_kernelILj128ELj64EdlifddEEvT3_20rocsparse_direction_NS_24const_host_device_scalarIT1_EES1_PKS1_PKT2_SA_S7_PKT4_PKT5_S5_PT6_21rocsparse_index_base_b,@function
_ZN9rocsparseL18bsrxmvn_4x4_kernelILj128ELj64EdlifddEEvT3_20rocsparse_direction_NS_24const_host_device_scalarIT1_EES1_PKS1_PKT2_SA_S7_PKT4_PKT5_S5_PT6_21rocsparse_index_base_b: ; @_ZN9rocsparseL18bsrxmvn_4x4_kernelILj128ELj64EdlifddEEvT3_20rocsparse_direction_NS_24const_host_device_scalarIT1_EES1_PKS1_PKT2_SA_S7_PKT4_PKT5_S5_PT6_21rocsparse_index_base_b
; %bb.0:
	s_load_dwordx2 s[12:13], s[0:1], 0x58
	s_load_dwordx2 s[8:9], s[0:1], 0x8
	;; [unrolled: 1-line block ×3, first 2 shown]
	s_waitcnt lgkmcnt(0)
	s_bitcmp1_b32 s13, 0
	s_cselect_b64 s[10:11], -1, 0
	s_xor_b64 s[6:7], s[10:11], -1
	s_and_b64 vcc, exec, s[10:11]
	v_mov_b64_e32 v[18:19], s[8:9]
	s_cbranch_vccnz .LBB159_2
; %bb.1:
	v_mov_b64_e32 v[2:3], s[8:9]
	flat_load_dwordx2 v[18:19], v[2:3]
.LBB159_2:
	s_andn2_b64 vcc, exec, s[6:7]
	v_mov_b64_e32 v[16:17], s[4:5]
	s_cbranch_vccnz .LBB159_4
; %bb.3:
	v_mov_b64_e32 v[2:3], s[4:5]
	flat_load_dwordx2 v[16:17], v[2:3]
.LBB159_4:
	s_waitcnt vmcnt(0) lgkmcnt(0)
	v_cmp_neq_f64_e32 vcc, 0, v[18:19]
	v_cmp_neq_f64_e64 s[4:5], 1.0, v[16:17]
	s_mov_b64 s[6:7], 0
	s_or_b64 s[4:5], vcc, s[4:5]
	s_and_saveexec_b64 s[8:9], s[4:5]
	s_cbranch_execz .LBB159_10
; %bb.5:
	s_load_dwordx2 s[4:5], s[0:1], 0x18
	s_load_dwordx2 s[14:15], s[0:1], 0x0
	v_lshrrev_b32_e32 v1, 6, v0
	v_lshl_or_b32 v20, s2, 1, v1
	s_mov_b64 s[2:3], 0
	s_waitcnt lgkmcnt(0)
	s_cmp_lg_u64 s[4:5], 0
	s_cbranch_scc0 .LBB159_11
; %bb.6:
	s_load_dword s6, s[0:1], 0x10
                                        ; implicit-def: $vgpr1
	s_waitcnt lgkmcnt(0)
	v_cmp_gt_i32_e32 vcc, s6, v20
	s_and_saveexec_b64 s[6:7], vcc
	s_xor_b64 s[6:7], exec, s[6:7]
	s_cbranch_execz .LBB159_8
; %bb.7:
	v_ashrrev_i32_e32 v21, 31, v20
	v_lshl_add_u64 v[2:3], v[20:21], 2, s[4:5]
	global_load_dword v1, v[2:3], off
	s_mov_b64 s[2:3], exec
	s_waitcnt vmcnt(0)
	v_subrev_u32_e32 v1, s12, v1
.LBB159_8:
	s_or_b64 exec, exec, s[6:7]
	s_mov_b64 s[6:7], s[2:3]
	s_branch .LBB159_12
.LBB159_9:
	v_cmp_gt_i32_e32 vcc, s14, v20
	s_andn2_b64 s[2:3], s[6:7], exec
	s_and_b64 s[4:5], vcc, exec
	s_or_b64 s[6:7], s[2:3], s[4:5]
	s_and_b64 exec, exec, s[6:7]
	s_cbranch_execnz .LBB159_13
.LBB159_10:
	s_endpgm
.LBB159_11:
                                        ; implicit-def: $vgpr1
	s_cbranch_execnz .LBB159_9
.LBB159_12:
	v_mov_b32_e32 v20, v1
	s_and_b64 exec, exec, s[6:7]
	s_cbranch_execz .LBB159_10
.LBB159_13:
	s_load_dwordx8 s[4:11], s[0:1], 0x20
	v_ashrrev_i32_e32 v21, 31, v20
	v_lshlrev_b64 v[2:3], 3, v[20:21]
	v_and_b32_e32 v22, 63, v0
	v_mov_b32_e32 v23, 0
	s_waitcnt lgkmcnt(0)
	v_lshl_add_u64 v[4:5], s[4:5], 0, v[2:3]
	s_cmp_eq_u64 s[6:7], 0
	v_lshl_add_u64 v[2:3], s[6:7], 0, v[2:3]
	global_load_dwordx2 v[38:39], v[4:5], off
	v_lshl_add_u64 v[4:5], v[4:5], 0, 8
	s_cselect_b64 vcc, -1, 0
	v_cndmask_b32_e32 v3, v3, v5, vcc
	v_cndmask_b32_e32 v2, v2, v4, vcc
	global_load_dwordx2 v[2:3], v[2:3], off
	s_load_dwordx2 s[4:5], s[0:1], 0x40
	s_cmp_eq_u32 s15, 1
	s_waitcnt vmcnt(1)
	v_subrev_co_u32_e32 v0, vcc, s12, v38
	s_nop 1
	v_subbrev_co_u32_e32 v1, vcc, 0, v39, vcc
	v_lshl_add_u64 v[26:27], v[0:1], 0, v[22:23]
	s_waitcnt vmcnt(0)
	v_subrev_co_u32_e32 v28, vcc, s12, v2
	v_lshlrev_b64 v[0:1], 6, v[26:27]
	s_nop 0
	v_subbrev_co_u32_e32 v29, vcc, 0, v3, vcc
	v_lshl_add_u64 v[30:31], s[10:11], 0, v[0:1]
	v_cmp_lt_i64_e64 s[2:3], v[26:27], v[28:29]
	s_cbranch_scc1 .LBB159_25
; %bb.14:
	v_mov_b64_e32 v[24:25], 0
	v_mov_b64_e32 v[32:33], 0
	;; [unrolled: 1-line block ×4, first 2 shown]
	s_and_saveexec_b64 s[6:7], s[2:3]
	s_cbranch_execz .LBB159_24
; %bb.15:
	v_or_b32_e32 v0, 64, v22
	v_subrev_co_u32_e32 v0, vcc, s12, v0
	v_not_b32_e32 v3, v39
	s_nop 0
	v_subb_co_u32_e64 v1, s[10:11], 0, 0, vcc
	v_lshl_add_u64 v[0:1], v[0:1], 0, v[38:39]
	v_cmp_gt_i64_e32 vcc, v[0:1], v[28:29]
	v_not_b32_e32 v2, v38
	v_mov_b64_e32 v[36:37], 0
	v_cndmask_b32_e32 v1, v29, v1, vcc
	v_cndmask_b32_e32 v0, v28, v0, vcc
	v_sub_co_u32_e32 v4, vcc, s12, v22
	v_mov_b64_e32 v[34:35], 0
	s_nop 0
	v_subb_co_u32_e64 v5, s[10:11], 0, 0, vcc
	v_lshl_add_u64 v[2:3], v[4:5], 0, v[2:3]
	v_lshl_add_u64 v[0:1], v[2:3], 0, v[0:1]
	v_and_b32_e32 v2, 0xc0, v0
	v_mov_b32_e32 v3, 0
	s_mov_b64 s[10:11], 0xc0
	v_cmp_ne_u64_e32 vcc, s[10:11], v[2:3]
	v_mov_b64_e32 v[32:33], 0
	v_mov_b64_e32 v[24:25], 0
	;; [unrolled: 1-line block ×4, first 2 shown]
	s_and_saveexec_b64 s[10:11], vcc
	s_cbranch_execz .LBB159_19
; %bb.16:
	v_lshrrev_b32_e32 v2, 6, v0
	v_add_u32_e32 v2, 1, v2
	v_and_b32_e32 v4, 3, v2
	v_sub_co_u32_e32 v4, vcc, 0, v4
	v_lshl_add_u64 v[2:3], v[26:27], 2, s[8:9]
	s_nop 0
	v_subb_co_u32_e64 v5, s[16:17], 0, 0, vcc
	s_mov_b64 s[14:15], 0
	v_mov_b64_e32 v[24:25], 0
	s_mov_b64 s[16:17], 0x1000
	s_mov_b64 s[18:19], 0x100
	v_mov_b64_e32 v[42:43], v[30:31]
	v_mov_b64_e32 v[40:41], v[26:27]
	;; [unrolled: 1-line block ×5, first 2 shown]
.LBB159_17:                             ; =>This Inner Loop Header: Depth=1
	global_load_dword v14, v[2:3], off
	global_load_dwordx4 v[6:9], v[42:43], off
	global_load_dwordx4 v[10:13], v[42:43], off offset:16
	global_load_dwordx4 v[44:47], v[42:43], off offset:32
	;; [unrolled: 1-line block ×3, first 2 shown]
	v_lshl_add_u64 v[4:5], v[4:5], 0, 1
	v_cmp_eq_u64_e32 vcc, 0, v[4:5]
	v_lshl_add_u64 v[42:43], v[42:43], 0, s[16:17]
	v_lshl_add_u64 v[40:41], v[40:41], 0, 64
	;; [unrolled: 1-line block ×3, first 2 shown]
	s_or_b64 s[14:15], vcc, s[14:15]
	s_waitcnt vmcnt(4)
	v_subrev_u32_e32 v14, s12, v14
	v_lshlrev_b32_e32 v14, 2, v14
	v_ashrrev_i32_e32 v15, 31, v14
	s_waitcnt lgkmcnt(0)
	v_lshl_add_u64 v[14:15], v[14:15], 3, s[4:5]
	global_load_dwordx4 v[52:55], v[14:15], off
	global_load_dwordx4 v[56:59], v[14:15], off offset:16
	s_waitcnt vmcnt(5)
	v_cvt_f64_f32_e32 v[14:15], v6
	s_waitcnt vmcnt(4)
	v_cvt_f64_f32_e32 v[62:63], v10
	;; [unrolled: 2-line block ×4, first 2 shown]
	v_cvt_f64_f32_e32 v[6:7], v7
	v_cvt_f64_f32_e32 v[10:11], v11
	;; [unrolled: 1-line block ×12, first 2 shown]
	s_waitcnt vmcnt(1)
	v_fmac_f64_e32 v[36:37], v[14:15], v[52:53]
	v_fmac_f64_e32 v[34:35], v[62:63], v[52:53]
	;; [unrolled: 1-line block ×8, first 2 shown]
	s_waitcnt vmcnt(0)
	v_fmac_f64_e32 v[36:37], v[60:61], v[56:57]
	v_fmac_f64_e32 v[34:35], v[64:65], v[56:57]
	;; [unrolled: 1-line block ×8, first 2 shown]
	s_andn2_b64 exec, exec, s[14:15]
	s_cbranch_execnz .LBB159_17
; %bb.18:
	s_or_b64 exec, exec, s[14:15]
.LBB159_19:
	s_or_b64 exec, exec, s[10:11]
	s_mov_b64 s[10:11], 0xbf
	v_cmp_lt_u64_e32 vcc, s[10:11], v[0:1]
	s_and_saveexec_b64 s[10:11], vcc
	s_cbranch_execz .LBB159_23
; %bb.20:
	v_lshl_add_u64 v[0:1], v[40:41], 2, s[8:9]
	s_mov_b64 s[14:15], 0x200
	v_lshl_add_u64 v[44:45], v[0:1], 0, s[14:15]
	s_mov_b64 s[14:15], 0
	s_mov_b64 s[16:17], 0x1000
	;; [unrolled: 1-line block ×3, first 2 shown]
	s_movk_i32 s13, 0x2000
	s_mov_b64 s[20:21], 0x3000
	s_movk_i32 s28, 0x3000
	s_mov_b64 s[22:23], 0x100
	s_mov_b64 s[24:25], 0x400
	;; [unrolled: 1-line block ×3, first 2 shown]
.LBB159_21:                             ; =>This Inner Loop Header: Depth=1
	global_load_dwordx4 v[12:15], v[42:43], off
	global_load_dwordx4 v[8:11], v[42:43], off offset:16
	global_load_dwordx4 v[4:7], v[42:43], off offset:32
	;; [unrolled: 1-line block ×3, first 2 shown]
	v_lshl_add_u64 v[62:63], v[42:43], 0, s[16:17]
	v_lshl_add_u64 v[64:65], v[42:43], 0, s[18:19]
	global_load_dwordx4 v[46:49], v[62:63], off offset:16
	global_load_dwordx4 v[50:53], v[62:63], off offset:32
	;; [unrolled: 1-line block ×4, first 2 shown]
	v_lshl_add_u64 v[40:41], v[40:41], 0, s[22:23]
	global_load_dword v21, v[44:45], off offset:-256
	s_waitcnt vmcnt(8)
	v_cvt_f64_f32_e32 v[68:69], v14
	v_cvt_f64_f32_e32 v[70:71], v15
	s_waitcnt vmcnt(7)
	v_cvt_f64_f32_e32 v[14:15], v8
	v_cvt_f64_f32_e32 v[72:73], v9
	;; [unrolled: 1-line block ×4, first 2 shown]
	global_load_dwordx4 v[8:11], v[64:65], off offset:32
	s_waitcnt vmcnt(7)
	v_cvt_f64_f32_e32 v[82:83], v6
	v_cvt_f64_f32_e32 v[90:91], v7
	s_waitcnt vmcnt(3)
	v_cvt_f64_f32_e32 v[112:113], v54
	v_cvt_f64_f32_e32 v[114:115], v55
	;; [unrolled: 1-line block ×4, first 2 shown]
	global_load_dwordx4 v[54:57], v[64:65], off offset:48
	v_cvt_f64_f32_e32 v[78:79], v4
	v_cvt_f64_f32_e32 v[80:81], v5
	v_cvt_f64_f32_e32 v[100:101], v46
	v_cvt_f64_f32_e32 v[102:103], v47
	v_cvt_f64_f32_e32 v[110:111], v52
	v_cvt_f64_f32_e32 v[86:87], v53
	s_waitcnt vmcnt(3)
	v_cvt_f64_f32_e32 v[52:53], v58
	v_cvt_f64_f32_e32 v[46:47], v59
	;; [unrolled: 1-line block ×14, first 2 shown]
	s_waitcnt vmcnt(2)
	v_subrev_u32_e32 v21, s12, v21
	s_waitcnt vmcnt(1)
	v_cvt_f64_f32_e32 v[6:7], v10
	global_load_dword v10, v[44:45], off offset:-512
	v_cvt_f64_f32_e32 v[4:5], v11
	v_cvt_f64_f32_e32 v[48:49], v8
	;; [unrolled: 1-line block ×3, first 2 shown]
	s_waitcnt vmcnt(1)
	v_cvt_f64_f32_e32 v[50:51], v54
	s_waitcnt vmcnt(0)
	v_subrev_u32_e32 v10, s12, v10
	v_lshlrev_b32_e32 v10, 2, v10
	v_ashrrev_i32_e32 v11, 31, v10
	s_waitcnt lgkmcnt(0)
	v_lshl_add_u64 v[58:59], v[10:11], 3, s[4:5]
	global_load_dwordx4 v[10:13], v[58:59], off
	s_waitcnt vmcnt(0)
	v_fmac_f64_e32 v[36:37], v[62:63], v[10:11]
	v_fmac_f64_e32 v[34:35], v[14:15], v[10:11]
	;; [unrolled: 1-line block ×8, first 2 shown]
	v_cvt_f64_f32_e32 v[14:15], v55
	v_cvt_f64_f32_e32 v[12:13], v56
	;; [unrolled: 1-line block ×3, first 2 shown]
	global_load_dwordx4 v[54:57], v[58:59], off offset:16
	v_lshl_add_u64 v[66:67], v[42:43], 0, s[20:21]
	global_load_dwordx4 v[62:65], v[66:67], off offset:16
	v_add_co_u32_e32 v92, vcc, s13, v42
	s_waitcnt vmcnt(1)
	v_fmac_f64_e32 v[36:37], v[68:69], v[54:55]
	v_lshlrev_b32_e32 v68, 2, v21
	v_fmac_f64_e32 v[34:35], v[74:75], v[54:55]
	v_addc_co_u32_e32 v93, vcc, 0, v43, vcc
	v_ashrrev_i32_e32 v69, 31, v68
	v_fmac_f64_e32 v[32:33], v[82:83], v[54:55]
	v_fmac_f64_e32 v[24:25], v[96:97], v[54:55]
	;; [unrolled: 1-line block ×3, first 2 shown]
	global_load_dwordx4 v[76:79], v[92:93], off offset:-4096
	v_lshl_add_u64 v[94:95], v[68:69], 3, s[4:5]
	v_fmac_f64_e32 v[36:37], v[70:71], v[56:57]
	v_fmac_f64_e32 v[32:33], v[90:91], v[56:57]
	v_fmac_f64_e32 v[24:25], v[98:99], v[56:57]
	global_load_dwordx4 v[80:83], v[66:67], off offset:48
	s_waitcnt vmcnt(2)
	v_cvt_f64_f32_e32 v[60:61], v62
	v_cvt_f64_f32_e32 v[58:59], v63
	;; [unrolled: 1-line block ×4, first 2 shown]
	global_load_dwordx4 v[62:65], v[94:95], off
	global_load_dword v21, v[44:45], off
	s_waitcnt vmcnt(3)
	v_cvt_f64_f32_e32 v[70:71], v76
	v_cvt_f64_f32_e32 v[68:69], v77
	global_load_dwordx4 v[90:93], v[92:93], off
	v_cvt_f64_f32_e32 v[96:97], v78
	v_cvt_f64_f32_e32 v[98:99], v79
	s_waitcnt vmcnt(3)
	v_cvt_f64_f32_e32 v[76:77], v80
	v_cvt_f64_f32_e32 v[74:75], v81
	s_waitcnt vmcnt(2)
	v_fmac_f64_e32 v[36:37], v[70:71], v[62:63]
	v_fmac_f64_e32 v[36:37], v[68:69], v[64:65]
	global_load_dwordx4 v[68:71], v[66:67], off offset:32
	v_fmac_f64_e32 v[34:35], v[100:101], v[62:63]
	v_fmac_f64_e32 v[32:33], v[106:107], v[62:63]
	;; [unrolled: 1-line block ×6, first 2 shown]
	v_cvt_f64_f32_e32 v[66:67], v83
	s_waitcnt vmcnt(2)
	v_subrev_u32_e32 v21, s12, v21
	s_waitcnt vmcnt(1)
	v_cvt_f64_f32_e32 v[100:101], v90
	v_cvt_f64_f32_e32 v[80:81], v92
	;; [unrolled: 1-line block ×3, first 2 shown]
	s_waitcnt vmcnt(0)
	v_cvt_f64_f32_e32 v[64:65], v70
	v_cvt_f64_f32_e32 v[62:63], v71
	;; [unrolled: 1-line block ×4, first 2 shown]
	global_load_dwordx4 v[90:93], v[94:95], off offset:16
	v_cvt_f64_f32_e32 v[72:73], v68
	v_cvt_f64_f32_e32 v[68:69], v69
	s_waitcnt vmcnt(0)
	v_fmac_f64_e32 v[34:35], v[104:105], v[90:91]
	v_fmac_f64_e32 v[34:35], v[84:85], v[92:93]
	v_lshlrev_b32_e32 v84, 2, v21
	v_fmac_f64_e32 v[24:25], v[116:117], v[90:91]
	v_ashrrev_i32_e32 v85, 31, v84
	v_fmac_f64_e32 v[32:33], v[110:111], v[90:91]
	v_fmac_f64_e32 v[24:25], v[88:89], v[92:93]
	v_lshl_add_u64 v[88:89], v[84:85], 3, s[4:5]
	global_load_dword v21, v[44:45], off offset:256
	v_fmac_f64_e32 v[32:33], v[86:87], v[92:93]
	global_load_dwordx4 v[84:87], v[88:89], off
	v_fmac_f64_e32 v[36:37], v[96:97], v[90:91]
	v_add_co_u32_e32 v90, vcc, s28, v42
	v_fmac_f64_e32 v[36:37], v[98:99], v[92:93]
	s_nop 0
	v_addc_co_u32_e32 v91, vcc, 0, v43, vcc
	global_load_dwordx4 v[94:97], v[90:91], off
	v_cmp_ge_i64_e32 vcc, v[40:41], v[28:29]
	global_load_dwordx4 v[88:91], v[88:89], off offset:16
	v_lshl_add_u64 v[44:45], v[44:45], 0, s[24:25]
	v_lshl_add_u64 v[42:43], v[42:43], 0, s[26:27]
	s_or_b64 s[14:15], vcc, s[14:15]
	s_waitcnt vmcnt(3)
	v_subrev_u32_e32 v21, s12, v21
	s_waitcnt vmcnt(2)
	v_fmac_f64_e32 v[34:35], v[52:53], v[84:85]
	v_lshlrev_b32_e32 v52, 2, v21
	v_ashrrev_i32_e32 v53, 31, v52
	v_lshl_add_u64 v[52:53], v[52:53], 3, s[4:5]
	v_fmac_f64_e32 v[32:33], v[48:49], v[84:85]
	v_fmac_f64_e32 v[24:25], v[50:51], v[84:85]
	global_load_dwordx4 v[48:51], v[52:53], off
	v_fmac_f64_e32 v[36:37], v[100:101], v[84:85]
	v_fmac_f64_e32 v[36:37], v[82:83], v[86:87]
	global_load_dwordx4 v[82:85], v[52:53], off offset:16
	v_fmac_f64_e32 v[34:35], v[46:47], v[86:87]
	v_fmac_f64_e32 v[32:33], v[8:9], v[86:87]
	;; [unrolled: 1-line block ×3, first 2 shown]
	s_waitcnt vmcnt(2)
	v_fmac_f64_e32 v[36:37], v[80:81], v[88:89]
	v_fmac_f64_e32 v[34:35], v[2:3], v[88:89]
	;; [unrolled: 1-line block ×4, first 2 shown]
	v_cvt_f64_f32_e32 v[92:93], v94
	v_fmac_f64_e32 v[36:37], v[78:79], v[90:91]
	v_fmac_f64_e32 v[34:35], v[0:1], v[90:91]
	;; [unrolled: 1-line block ×4, first 2 shown]
	v_cvt_f64_f32_e32 v[94:95], v95
	v_cvt_f64_f32_e32 v[98:99], v96
	;; [unrolled: 1-line block ×3, first 2 shown]
	s_waitcnt vmcnt(1)
	v_fmac_f64_e32 v[36:37], v[92:93], v[48:49]
	v_fmac_f64_e32 v[34:35], v[60:61], v[48:49]
	;; [unrolled: 1-line block ×8, first 2 shown]
	s_waitcnt vmcnt(0)
	v_fmac_f64_e32 v[36:37], v[98:99], v[82:83]
	v_fmac_f64_e32 v[34:35], v[56:57], v[82:83]
	;; [unrolled: 1-line block ×8, first 2 shown]
	s_andn2_b64 exec, exec, s[14:15]
	s_cbranch_execnz .LBB159_21
; %bb.22:
	s_or_b64 exec, exec, s[14:15]
.LBB159_23:
	s_or_b64 exec, exec, s[10:11]
.LBB159_24:
	s_or_b64 exec, exec, s[6:7]
	s_cbranch_execz .LBB159_26
	s_branch .LBB159_37
.LBB159_25:
                                        ; implicit-def: $vgpr24_vgpr25
                                        ; implicit-def: $vgpr32_vgpr33
                                        ; implicit-def: $vgpr34_vgpr35
                                        ; implicit-def: $vgpr36_vgpr37
.LBB159_26:
	v_mov_b64_e32 v[24:25], 0
	v_mov_b64_e32 v[32:33], 0
	;; [unrolled: 1-line block ×4, first 2 shown]
	s_and_saveexec_b64 s[6:7], s[2:3]
	s_cbranch_execz .LBB159_36
; %bb.27:
	v_or_b32_e32 v0, 64, v22
	v_subrev_co_u32_e32 v0, vcc, s12, v0
	v_not_b32_e32 v3, v39
	s_nop 0
	v_subb_co_u32_e64 v1, s[2:3], 0, 0, vcc
	v_lshl_add_u64 v[0:1], v[0:1], 0, v[38:39]
	v_cmp_gt_i64_e32 vcc, v[0:1], v[28:29]
	v_not_b32_e32 v2, v38
	v_mov_b64_e32 v[36:37], 0
	v_cndmask_b32_e32 v1, v29, v1, vcc
	v_cndmask_b32_e32 v0, v28, v0, vcc
	v_sub_co_u32_e32 v4, vcc, s12, v22
	v_mov_b64_e32 v[34:35], 0
	s_nop 0
	v_subb_co_u32_e64 v5, s[2:3], 0, 0, vcc
	v_lshl_add_u64 v[2:3], v[4:5], 0, v[2:3]
	v_lshl_add_u64 v[0:1], v[2:3], 0, v[0:1]
	v_and_b32_e32 v2, 0xc0, v0
	v_mov_b32_e32 v3, 0
	s_mov_b64 s[2:3], 0xc0
	v_cmp_ne_u64_e32 vcc, s[2:3], v[2:3]
	v_mov_b64_e32 v[32:33], 0
	v_mov_b64_e32 v[24:25], 0
	s_and_saveexec_b64 s[2:3], vcc
	s_cbranch_execz .LBB159_31
; %bb.28:
	v_lshrrev_b32_e32 v2, 6, v0
	v_add_u32_e32 v2, 1, v2
	v_and_b32_e32 v4, 3, v2
	v_sub_co_u32_e32 v4, vcc, 0, v4
	v_lshl_add_u64 v[2:3], v[26:27], 2, s[8:9]
	s_nop 0
	v_subb_co_u32_e64 v5, s[14:15], 0, 0, vcc
	s_mov_b64 s[10:11], 0
	v_mov_b64_e32 v[24:25], 0
	s_mov_b64 s[14:15], 0x1000
	s_mov_b64 s[16:17], 0x100
	v_mov_b64_e32 v[32:33], 0
	v_mov_b64_e32 v[34:35], 0
	;; [unrolled: 1-line block ×3, first 2 shown]
.LBB159_29:                             ; =>This Inner Loop Header: Depth=1
	global_load_dword v14, v[2:3], off
	global_load_dwordx4 v[6:9], v[30:31], off
	global_load_dwordx4 v[10:13], v[30:31], off offset:16
	global_load_dwordx4 v[38:41], v[30:31], off offset:32
	v_lshl_add_u64 v[4:5], v[4:5], 0, 1
	v_cmp_eq_u64_e32 vcc, 0, v[4:5]
	v_lshl_add_u64 v[26:27], v[26:27], 0, 64
	v_lshl_add_u64 v[2:3], v[2:3], 0, s[16:17]
	s_or_b64 s[10:11], vcc, s[10:11]
	s_waitcnt vmcnt(3)
	v_subrev_u32_e32 v14, s12, v14
	v_lshlrev_b32_e32 v14, 2, v14
	v_ashrrev_i32_e32 v15, 31, v14
	s_waitcnt lgkmcnt(0)
	v_lshl_add_u64 v[14:15], v[14:15], 3, s[4:5]
	global_load_dwordx4 v[42:45], v[14:15], off offset:16
	global_load_dwordx4 v[46:49], v[14:15], off
	global_load_dwordx4 v[50:53], v[30:31], off offset:48
	s_waitcnt vmcnt(5)
	v_cvt_f64_f32_e32 v[14:15], v6
	v_cvt_f64_f32_e32 v[6:7], v7
	v_cvt_f64_f32_e32 v[54:55], v8
	v_cvt_f64_f32_e32 v[8:9], v9
	s_waitcnt vmcnt(4)
	v_cvt_f64_f32_e32 v[56:57], v10
	v_cvt_f64_f32_e32 v[10:11], v11
	v_cvt_f64_f32_e32 v[58:59], v12
	v_cvt_f64_f32_e32 v[12:13], v13
	;; [unrolled: 5-line block ×3, first 2 shown]
	v_lshl_add_u64 v[30:31], v[30:31], 0, s[14:15]
	s_waitcnt vmcnt(1)
	v_fmac_f64_e32 v[36:37], v[14:15], v[46:47]
	v_fmac_f64_e32 v[34:35], v[6:7], v[46:47]
	;; [unrolled: 1-line block ×8, first 2 shown]
	s_waitcnt vmcnt(0)
	v_cvt_f64_f32_e32 v[64:65], v50
	v_cvt_f64_f32_e32 v[50:51], v51
	;; [unrolled: 1-line block ×4, first 2 shown]
	v_fmac_f64_e32 v[36:37], v[60:61], v[42:43]
	v_fmac_f64_e32 v[34:35], v[38:39], v[42:43]
	;; [unrolled: 1-line block ×8, first 2 shown]
	s_andn2_b64 exec, exec, s[10:11]
	s_cbranch_execnz .LBB159_29
; %bb.30:
	s_or_b64 exec, exec, s[10:11]
.LBB159_31:
	s_or_b64 exec, exec, s[2:3]
	s_mov_b64 s[2:3], 0xbf
	v_cmp_lt_u64_e32 vcc, s[2:3], v[0:1]
	s_and_saveexec_b64 s[2:3], vcc
	s_cbranch_execz .LBB159_35
; %bb.32:
	v_lshl_add_u64 v[0:1], v[26:27], 2, s[8:9]
	s_mov_b64 s[8:9], 0x200
	v_lshl_add_u64 v[0:1], v[0:1], 0, s[8:9]
	s_mov_b64 s[8:9], 0
	s_mov_b64 s[10:11], 0x1000
	;; [unrolled: 1-line block ×3, first 2 shown]
	s_movk_i32 s13, 0x2000
	s_mov_b64 s[16:17], 0x3000
	s_movk_i32 s24, 0x3000
	s_mov_b64 s[18:19], 0x100
	s_mov_b64 s[20:21], 0x400
	;; [unrolled: 1-line block ×3, first 2 shown]
.LBB159_33:                             ; =>This Inner Loop Header: Depth=1
	global_load_dwordx4 v[2:5], v[30:31], off
	global_load_dwordx4 v[6:9], v[30:31], off offset:16
	global_load_dwordx4 v[10:13], v[30:31], off offset:32
	;; [unrolled: 1-line block ×3, first 2 shown]
	v_add_co_u32_e32 v50, vcc, s13, v30
	v_lshl_add_u64 v[14:15], v[30:31], 0, s[10:11]
	s_nop 0
	v_addc_co_u32_e32 v51, vcc, 0, v31, vcc
	global_load_dwordx4 v[42:45], v[50:51], off offset:-4096
	global_load_dwordx4 v[46:49], v[14:15], off offset:16
	global_load_dwordx4 v[64:67], v[14:15], off offset:32
	global_load_dwordx4 v[68:71], v[50:51], off
	global_load_dword v21, v[0:1], off offset:-512
	global_load_dword v23, v[0:1], off offset:-256
	global_load_dword v102, v[0:1], off
	global_load_dword v103, v[0:1], off offset:256
	v_lshl_add_u64 v[26:27], v[26:27], 0, s[18:19]
	v_lshl_add_u64 v[0:1], v[0:1], 0, s[20:21]
	s_waitcnt vmcnt(11)
	v_cvt_f64_f32_e32 v[50:51], v2
	v_cvt_f64_f32_e32 v[72:73], v3
	;; [unrolled: 1-line block ×3, first 2 shown]
	s_waitcnt vmcnt(8)
	v_cvt_f64_f32_e32 v[94:95], v38
	v_cvt_f64_f32_e32 v[96:97], v39
	;; [unrolled: 1-line block ×4, first 2 shown]
	s_waitcnt vmcnt(3)
	v_subrev_u32_e32 v21, s12, v21
	v_lshlrev_b32_e32 v38, 2, v21
	v_ashrrev_i32_e32 v39, 31, v38
	v_cvt_f64_f32_e32 v[2:3], v64
	v_cvt_f64_f32_e32 v[4:5], v65
	s_waitcnt lgkmcnt(0)
	v_lshl_add_u64 v[64:65], v[38:39], 3, s[4:5]
	v_cvt_f64_f32_e32 v[100:101], v41
	global_load_dwordx4 v[38:41], v[64:65], off
	v_cvt_f64_f32_e32 v[56:57], v42
	v_cvt_f64_f32_e32 v[58:59], v43
	;; [unrolled: 1-line block ×4, first 2 shown]
	global_load_dwordx4 v[42:45], v[14:15], off offset:48
	v_cvt_f64_f32_e32 v[80:81], v7
	v_cvt_f64_f32_e32 v[78:79], v6
	v_cvt_f64_f32_e32 v[82:83], v8
	v_cvt_f64_f32_e32 v[84:85], v9
	v_cvt_f64_f32_e32 v[6:7], v66
	v_cvt_f64_f32_e32 v[8:9], v67
	v_cvt_f64_f32_e32 v[86:87], v10
	v_cvt_f64_f32_e32 v[88:89], v11
	v_cvt_f64_f32_e32 v[90:91], v12
	v_cvt_f64_f32_e32 v[92:93], v13
	v_cvt_f64_f32_e32 v[54:55], v46
	v_cvt_f64_f32_e32 v[52:53], v47
	v_cvt_f64_f32_e32 v[12:13], v48
	v_cvt_f64_f32_e32 v[10:11], v49
	v_cvt_f64_f32_e32 v[46:47], v69
	v_cvt_f64_f32_e32 v[48:49], v70
	s_waitcnt vmcnt(4)
	v_subrev_u32_e32 v21, s12, v23
	s_waitcnt vmcnt(1)
	v_fmac_f64_e32 v[34:35], v[72:73], v[38:39]
	v_fmac_f64_e32 v[36:37], v[50:51], v[38:39]
	;; [unrolled: 1-line block ×5, first 2 shown]
	v_lshl_add_u64 v[80:81], v[30:31], 0, s[14:15]
	v_fmac_f64_e32 v[36:37], v[78:79], v[40:41]
	v_fmac_f64_e32 v[32:33], v[82:83], v[40:41]
	;; [unrolled: 1-line block ×3, first 2 shown]
	global_load_dwordx4 v[38:41], v[64:65], off offset:16
	s_waitcnt vmcnt(1)
	v_cvt_f64_f32_e32 v[76:77], v44
	global_load_dwordx4 v[64:67], v[80:81], off offset:16
	v_cvt_f64_f32_e32 v[78:79], v45
	v_cvt_f64_f32_e32 v[44:45], v68
	;; [unrolled: 1-line block ×3, first 2 shown]
	global_load_dwordx4 v[68:71], v[80:81], off offset:32
	v_cvt_f64_f32_e32 v[72:73], v42
	v_cvt_f64_f32_e32 v[74:75], v43
	s_waitcnt vmcnt(2)
	v_fmac_f64_e32 v[36:37], v[86:87], v[38:39]
	v_fmac_f64_e32 v[34:35], v[88:89], v[38:39]
	s_waitcnt vmcnt(1)
	v_cvt_f64_f32_e32 v[86:87], v66
	v_lshlrev_b32_e32 v66, 2, v21
	v_fmac_f64_e32 v[32:33], v[90:91], v[38:39]
	v_fmac_f64_e32 v[24:25], v[92:93], v[38:39]
	v_cvt_f64_f32_e32 v[82:83], v64
	v_cvt_f64_f32_e32 v[84:85], v65
	;; [unrolled: 1-line block ×3, first 2 shown]
	v_ashrrev_i32_e32 v67, 31, v66
	v_fmac_f64_e32 v[36:37], v[94:95], v[40:41]
	v_fmac_f64_e32 v[34:35], v[96:97], v[40:41]
	;; [unrolled: 1-line block ×4, first 2 shown]
	s_waitcnt vmcnt(0)
	v_cvt_f64_f32_e32 v[40:41], v70
	v_cvt_f64_f32_e32 v[42:43], v71
	v_lshl_add_u64 v[70:71], v[66:67], 3, s[4:5]
	v_cvt_f64_f32_e32 v[14:15], v68
	v_cvt_f64_f32_e32 v[38:39], v69
	global_load_dwordx4 v[66:69], v[70:71], off
	s_waitcnt vmcnt(0)
	v_fmac_f64_e32 v[36:37], v[56:57], v[66:67]
	v_fmac_f64_e32 v[34:35], v[58:59], v[66:67]
	;; [unrolled: 1-line block ×4, first 2 shown]
	global_load_dwordx4 v[52:55], v[80:81], off offset:48
	v_fmac_f64_e32 v[32:33], v[60:61], v[66:67]
	v_fmac_f64_e32 v[24:25], v[62:63], v[66:67]
	;; [unrolled: 1-line block ×4, first 2 shown]
	v_add_co_u32_e32 v56, vcc, s24, v30
	v_lshl_add_u64 v[60:61], v[30:31], 0, s[16:17]
	s_nop 0
	v_addc_co_u32_e32 v57, vcc, 0, v31, vcc
	global_load_dwordx4 v[56:59], v[56:57], off
	v_cmp_ge_i64_e32 vcc, v[26:27], v[28:29]
	global_load_dwordx4 v[10:13], v[60:61], off offset:48
	v_lshl_add_u64 v[30:31], v[30:31], 0, s[22:23]
	s_or_b64 s[8:9], vcc, s[8:9]
	s_waitcnt vmcnt(2)
	v_cvt_f64_f32_e32 v[62:63], v52
	v_cvt_f64_f32_e32 v[66:67], v53
	v_cvt_f64_f32_e32 v[68:69], v54
	v_cvt_f64_f32_e32 v[80:81], v55
	global_load_dwordx4 v[52:55], v[70:71], off offset:16
	s_waitcnt vmcnt(0)
	v_fmac_f64_e32 v[36:37], v[2:3], v[52:53]
	v_fmac_f64_e32 v[34:35], v[4:5], v[52:53]
	global_load_dwordx4 v[2:5], v[60:61], off offset:16
	v_fmac_f64_e32 v[32:33], v[6:7], v[52:53]
	v_fmac_f64_e32 v[24:25], v[8:9], v[52:53]
	global_load_dwordx4 v[6:9], v[60:61], off offset:32
	v_fmac_f64_e32 v[36:37], v[72:73], v[54:55]
	v_fmac_f64_e32 v[34:35], v[74:75], v[54:55]
	v_fmac_f64_e32 v[32:33], v[76:77], v[54:55]
	v_fmac_f64_e32 v[24:25], v[78:79], v[54:55]
	v_cvt_f64_f32_e32 v[92:93], v10
	v_cvt_f64_f32_e32 v[94:95], v11
	;; [unrolled: 1-line block ×8, first 2 shown]
	s_waitcnt vmcnt(1)
	v_cvt_f64_f32_e32 v[52:53], v2
	v_subrev_u32_e32 v2, s12, v102
	v_lshlrev_b32_e32 v2, 2, v2
	v_cvt_f64_f32_e32 v[54:55], v3
	v_ashrrev_i32_e32 v3, 31, v2
	s_waitcnt vmcnt(0)
	v_cvt_f64_f32_e32 v[72:73], v6
	v_cvt_f64_f32_e32 v[74:75], v7
	v_lshl_add_u64 v[6:7], v[2:3], 3, s[4:5]
	v_cvt_f64_f32_e32 v[60:61], v4
	v_cvt_f64_f32_e32 v[70:71], v5
	global_load_dwordx4 v[2:5], v[6:7], off
	v_cvt_f64_f32_e32 v[76:77], v8
	v_cvt_f64_f32_e32 v[78:79], v9
	global_load_dwordx4 v[6:9], v[6:7], off offset:16
	s_waitcnt vmcnt(1)
	v_fmac_f64_e32 v[36:37], v[44:45], v[2:3]
	v_fmac_f64_e32 v[34:35], v[46:47], v[2:3]
	;; [unrolled: 1-line block ×4, first 2 shown]
	v_subrev_u32_e32 v2, s12, v103
	v_lshlrev_b32_e32 v2, 2, v2
	v_ashrrev_i32_e32 v3, 31, v2
	v_lshl_add_u64 v[44:45], v[2:3], 3, s[4:5]
	v_fmac_f64_e32 v[36:37], v[82:83], v[4:5]
	v_fmac_f64_e32 v[34:35], v[84:85], v[4:5]
	;; [unrolled: 1-line block ×4, first 2 shown]
	global_load_dwordx4 v[2:5], v[44:45], off
	global_load_dwordx4 v[10:13], v[44:45], off offset:16
	s_waitcnt vmcnt(2)
	v_fmac_f64_e32 v[36:37], v[14:15], v[6:7]
	v_fmac_f64_e32 v[34:35], v[38:39], v[6:7]
	v_fmac_f64_e32 v[32:33], v[40:41], v[6:7]
	v_fmac_f64_e32 v[24:25], v[42:43], v[6:7]
	v_fmac_f64_e32 v[36:37], v[62:63], v[8:9]
	v_fmac_f64_e32 v[34:35], v[66:67], v[8:9]
	v_fmac_f64_e32 v[32:33], v[68:69], v[8:9]
	v_fmac_f64_e32 v[24:25], v[80:81], v[8:9]
	s_waitcnt vmcnt(1)
	v_fmac_f64_e32 v[36:37], v[88:89], v[2:3]
	v_fmac_f64_e32 v[34:35], v[56:57], v[2:3]
	v_fmac_f64_e32 v[32:33], v[90:91], v[2:3]
	v_fmac_f64_e32 v[24:25], v[58:59], v[2:3]
	v_fmac_f64_e32 v[36:37], v[52:53], v[4:5]
	v_fmac_f64_e32 v[34:35], v[54:55], v[4:5]
	v_fmac_f64_e32 v[32:33], v[60:61], v[4:5]
	v_fmac_f64_e32 v[24:25], v[70:71], v[4:5]
	;; [unrolled: 9-line block ×3, first 2 shown]
	s_andn2_b64 exec, exec, s[8:9]
	s_cbranch_execnz .LBB159_33
; %bb.34:
	s_or_b64 exec, exec, s[8:9]
.LBB159_35:
	s_or_b64 exec, exec, s[2:3]
.LBB159_36:
	s_or_b64 exec, exec, s[6:7]
.LBB159_37:
	v_mov_b32_dpp v0, v36 row_shr:1 row_mask:0xf bank_mask:0xf
	v_mov_b32_dpp v1, v37 row_shr:1 row_mask:0xf bank_mask:0xf
	v_mov_b32_dpp v4, v34 row_shr:1 row_mask:0xf bank_mask:0xf
	v_mov_b32_dpp v5, v35 row_shr:1 row_mask:0xf bank_mask:0xf
	v_mov_b32_dpp v8, v32 row_shr:1 row_mask:0xf bank_mask:0xf
	v_mov_b32_dpp v9, v33 row_shr:1 row_mask:0xf bank_mask:0xf
	v_mov_b32_dpp v12, v24 row_shr:1 row_mask:0xf bank_mask:0xf
	v_mov_b32_dpp v13, v25 row_shr:1 row_mask:0xf bank_mask:0xf
	v_add_f64 v[0:1], v[36:37], v[0:1]
	v_add_f64 v[4:5], v[34:35], v[4:5]
	v_add_f64 v[8:9], v[32:33], v[8:9]
	v_add_f64 v[12:13], v[24:25], v[12:13]
	v_mov_b32_dpp v2, v0 row_shr:2 row_mask:0xf bank_mask:0xf
	v_mov_b32_dpp v3, v1 row_shr:2 row_mask:0xf bank_mask:0xf
	v_mov_b32_dpp v6, v4 row_shr:2 row_mask:0xf bank_mask:0xf
	v_mov_b32_dpp v7, v5 row_shr:2 row_mask:0xf bank_mask:0xf
	v_mov_b32_dpp v10, v8 row_shr:2 row_mask:0xf bank_mask:0xf
	v_mov_b32_dpp v11, v9 row_shr:2 row_mask:0xf bank_mask:0xf
	v_mov_b32_dpp v14, v12 row_shr:2 row_mask:0xf bank_mask:0xf
	v_mov_b32_dpp v15, v13 row_shr:2 row_mask:0xf bank_mask:0xf
	v_add_f64 v[0:1], v[0:1], v[2:3]
	v_add_f64 v[4:5], v[4:5], v[6:7]
	v_add_f64 v[8:9], v[8:9], v[10:11]
	v_add_f64 v[12:13], v[12:13], v[14:15]
	;; [unrolled: 12-line block ×4, first 2 shown]
	v_mov_b32_dpp v2, v0 row_bcast:15 row_mask:0xa bank_mask:0xf
	v_mov_b32_dpp v3, v1 row_bcast:15 row_mask:0xa bank_mask:0xf
	;; [unrolled: 1-line block ×8, first 2 shown]
	v_add_f64 v[0:1], v[0:1], v[2:3]
	v_add_f64 v[4:5], v[4:5], v[6:7]
	;; [unrolled: 1-line block ×4, first 2 shown]
	v_mov_b32_dpp v2, v0 row_bcast:31 row_mask:0xc bank_mask:0xf
	v_mov_b32_dpp v3, v1 row_bcast:31 row_mask:0xc bank_mask:0xf
	v_mov_b32_dpp v6, v4 row_bcast:31 row_mask:0xc bank_mask:0xf
	v_mov_b32_dpp v7, v5 row_bcast:31 row_mask:0xc bank_mask:0xf
	v_mov_b32_dpp v10, v8 row_bcast:31 row_mask:0xc bank_mask:0xf
	v_mov_b32_dpp v11, v9 row_bcast:31 row_mask:0xc bank_mask:0xf
	v_mov_b32_dpp v14, v12 row_bcast:31 row_mask:0xc bank_mask:0xf
	v_mov_b32_dpp v15, v13 row_bcast:31 row_mask:0xc bank_mask:0xf
	v_cmp_eq_u32_e32 vcc, 63, v22
	s_and_b64 exec, exec, vcc
	s_cbranch_execz .LBB159_10
; %bb.38:
	s_load_dwordx2 s[0:1], s[0:1], 0x50
	v_add_f64 v[0:1], v[0:1], v[2:3]
	v_add_f64 v[2:3], v[4:5], v[6:7]
	;; [unrolled: 1-line block ×4, first 2 shown]
	v_cmp_eq_f64_e32 vcc, 0, v[16:17]
	v_mul_f64 v[4:5], v[18:19], v[0:1]
	v_mul_f64 v[6:7], v[18:19], v[2:3]
	;; [unrolled: 1-line block ×4, first 2 shown]
	v_lshlrev_b32_e32 v8, 2, v20
	s_and_saveexec_b64 s[2:3], vcc
	s_xor_b64 s[2:3], exec, s[2:3]
	s_cbranch_execz .LBB159_40
; %bb.39:
	v_ashrrev_i32_e32 v9, 31, v8
	s_waitcnt lgkmcnt(0)
	v_lshl_add_u64 v[8:9], v[8:9], 3, s[0:1]
	global_store_dwordx4 v[8:9], v[4:7], off
	global_store_dwordx4 v[8:9], v[0:3], off offset:16
                                        ; implicit-def: $vgpr8
                                        ; implicit-def: $vgpr16_vgpr17
                                        ; implicit-def: $vgpr4_vgpr5
                                        ; implicit-def: $vgpr0_vgpr1
.LBB159_40:
	s_andn2_saveexec_b64 s[2:3], s[2:3]
	s_cbranch_execz .LBB159_10
; %bb.41:
	v_ashrrev_i32_e32 v9, 31, v8
	s_waitcnt lgkmcnt(0)
	v_lshl_add_u64 v[18:19], v[8:9], 3, s[0:1]
	global_load_dwordx4 v[8:11], v[18:19], off
	global_load_dwordx4 v[12:15], v[18:19], off offset:16
	s_waitcnt vmcnt(1)
	v_fmac_f64_e32 v[4:5], v[16:17], v[8:9]
	v_fmac_f64_e32 v[6:7], v[16:17], v[10:11]
	s_waitcnt vmcnt(0)
	v_fmac_f64_e32 v[0:1], v[16:17], v[12:13]
	v_fmac_f64_e32 v[2:3], v[16:17], v[14:15]
	global_store_dwordx4 v[18:19], v[4:7], off
	global_store_dwordx4 v[18:19], v[0:3], off offset:16
	s_endpgm
	.section	.rodata,"a",@progbits
	.p2align	6, 0x0
	.amdhsa_kernel _ZN9rocsparseL18bsrxmvn_4x4_kernelILj128ELj64EdlifddEEvT3_20rocsparse_direction_NS_24const_host_device_scalarIT1_EES1_PKS1_PKT2_SA_S7_PKT4_PKT5_S5_PT6_21rocsparse_index_base_b
		.amdhsa_group_segment_fixed_size 0
		.amdhsa_private_segment_fixed_size 0
		.amdhsa_kernarg_size 96
		.amdhsa_user_sgpr_count 2
		.amdhsa_user_sgpr_dispatch_ptr 0
		.amdhsa_user_sgpr_queue_ptr 0
		.amdhsa_user_sgpr_kernarg_segment_ptr 1
		.amdhsa_user_sgpr_dispatch_id 0
		.amdhsa_user_sgpr_kernarg_preload_length 0
		.amdhsa_user_sgpr_kernarg_preload_offset 0
		.amdhsa_user_sgpr_private_segment_size 0
		.amdhsa_uses_dynamic_stack 0
		.amdhsa_enable_private_segment 0
		.amdhsa_system_sgpr_workgroup_id_x 1
		.amdhsa_system_sgpr_workgroup_id_y 0
		.amdhsa_system_sgpr_workgroup_id_z 0
		.amdhsa_system_sgpr_workgroup_info 0
		.amdhsa_system_vgpr_workitem_id 0
		.amdhsa_next_free_vgpr 118
		.amdhsa_next_free_sgpr 29
		.amdhsa_accum_offset 120
		.amdhsa_reserve_vcc 1
		.amdhsa_float_round_mode_32 0
		.amdhsa_float_round_mode_16_64 0
		.amdhsa_float_denorm_mode_32 3
		.amdhsa_float_denorm_mode_16_64 3
		.amdhsa_dx10_clamp 1
		.amdhsa_ieee_mode 1
		.amdhsa_fp16_overflow 0
		.amdhsa_tg_split 0
		.amdhsa_exception_fp_ieee_invalid_op 0
		.amdhsa_exception_fp_denorm_src 0
		.amdhsa_exception_fp_ieee_div_zero 0
		.amdhsa_exception_fp_ieee_overflow 0
		.amdhsa_exception_fp_ieee_underflow 0
		.amdhsa_exception_fp_ieee_inexact 0
		.amdhsa_exception_int_div_zero 0
	.end_amdhsa_kernel
	.section	.text._ZN9rocsparseL18bsrxmvn_4x4_kernelILj128ELj64EdlifddEEvT3_20rocsparse_direction_NS_24const_host_device_scalarIT1_EES1_PKS1_PKT2_SA_S7_PKT4_PKT5_S5_PT6_21rocsparse_index_base_b,"axG",@progbits,_ZN9rocsparseL18bsrxmvn_4x4_kernelILj128ELj64EdlifddEEvT3_20rocsparse_direction_NS_24const_host_device_scalarIT1_EES1_PKS1_PKT2_SA_S7_PKT4_PKT5_S5_PT6_21rocsparse_index_base_b,comdat
.Lfunc_end159:
	.size	_ZN9rocsparseL18bsrxmvn_4x4_kernelILj128ELj64EdlifddEEvT3_20rocsparse_direction_NS_24const_host_device_scalarIT1_EES1_PKS1_PKT2_SA_S7_PKT4_PKT5_S5_PT6_21rocsparse_index_base_b, .Lfunc_end159-_ZN9rocsparseL18bsrxmvn_4x4_kernelILj128ELj64EdlifddEEvT3_20rocsparse_direction_NS_24const_host_device_scalarIT1_EES1_PKS1_PKT2_SA_S7_PKT4_PKT5_S5_PT6_21rocsparse_index_base_b
                                        ; -- End function
	.set _ZN9rocsparseL18bsrxmvn_4x4_kernelILj128ELj64EdlifddEEvT3_20rocsparse_direction_NS_24const_host_device_scalarIT1_EES1_PKS1_PKT2_SA_S7_PKT4_PKT5_S5_PT6_21rocsparse_index_base_b.num_vgpr, 118
	.set _ZN9rocsparseL18bsrxmvn_4x4_kernelILj128ELj64EdlifddEEvT3_20rocsparse_direction_NS_24const_host_device_scalarIT1_EES1_PKS1_PKT2_SA_S7_PKT4_PKT5_S5_PT6_21rocsparse_index_base_b.num_agpr, 0
	.set _ZN9rocsparseL18bsrxmvn_4x4_kernelILj128ELj64EdlifddEEvT3_20rocsparse_direction_NS_24const_host_device_scalarIT1_EES1_PKS1_PKT2_SA_S7_PKT4_PKT5_S5_PT6_21rocsparse_index_base_b.numbered_sgpr, 29
	.set _ZN9rocsparseL18bsrxmvn_4x4_kernelILj128ELj64EdlifddEEvT3_20rocsparse_direction_NS_24const_host_device_scalarIT1_EES1_PKS1_PKT2_SA_S7_PKT4_PKT5_S5_PT6_21rocsparse_index_base_b.num_named_barrier, 0
	.set _ZN9rocsparseL18bsrxmvn_4x4_kernelILj128ELj64EdlifddEEvT3_20rocsparse_direction_NS_24const_host_device_scalarIT1_EES1_PKS1_PKT2_SA_S7_PKT4_PKT5_S5_PT6_21rocsparse_index_base_b.private_seg_size, 0
	.set _ZN9rocsparseL18bsrxmvn_4x4_kernelILj128ELj64EdlifddEEvT3_20rocsparse_direction_NS_24const_host_device_scalarIT1_EES1_PKS1_PKT2_SA_S7_PKT4_PKT5_S5_PT6_21rocsparse_index_base_b.uses_vcc, 1
	.set _ZN9rocsparseL18bsrxmvn_4x4_kernelILj128ELj64EdlifddEEvT3_20rocsparse_direction_NS_24const_host_device_scalarIT1_EES1_PKS1_PKT2_SA_S7_PKT4_PKT5_S5_PT6_21rocsparse_index_base_b.uses_flat_scratch, 0
	.set _ZN9rocsparseL18bsrxmvn_4x4_kernelILj128ELj64EdlifddEEvT3_20rocsparse_direction_NS_24const_host_device_scalarIT1_EES1_PKS1_PKT2_SA_S7_PKT4_PKT5_S5_PT6_21rocsparse_index_base_b.has_dyn_sized_stack, 0
	.set _ZN9rocsparseL18bsrxmvn_4x4_kernelILj128ELj64EdlifddEEvT3_20rocsparse_direction_NS_24const_host_device_scalarIT1_EES1_PKS1_PKT2_SA_S7_PKT4_PKT5_S5_PT6_21rocsparse_index_base_b.has_recursion, 0
	.set _ZN9rocsparseL18bsrxmvn_4x4_kernelILj128ELj64EdlifddEEvT3_20rocsparse_direction_NS_24const_host_device_scalarIT1_EES1_PKS1_PKT2_SA_S7_PKT4_PKT5_S5_PT6_21rocsparse_index_base_b.has_indirect_call, 0
	.section	.AMDGPU.csdata,"",@progbits
; Kernel info:
; codeLenInByte = 4476
; TotalNumSgprs: 35
; NumVgprs: 118
; NumAgprs: 0
; TotalNumVgprs: 118
; ScratchSize: 0
; MemoryBound: 0
; FloatMode: 240
; IeeeMode: 1
; LDSByteSize: 0 bytes/workgroup (compile time only)
; SGPRBlocks: 4
; VGPRBlocks: 14
; NumSGPRsForWavesPerEU: 35
; NumVGPRsForWavesPerEU: 118
; AccumOffset: 120
; Occupancy: 4
; WaveLimiterHint : 1
; COMPUTE_PGM_RSRC2:SCRATCH_EN: 0
; COMPUTE_PGM_RSRC2:USER_SGPR: 2
; COMPUTE_PGM_RSRC2:TRAP_HANDLER: 0
; COMPUTE_PGM_RSRC2:TGID_X_EN: 1
; COMPUTE_PGM_RSRC2:TGID_Y_EN: 0
; COMPUTE_PGM_RSRC2:TGID_Z_EN: 0
; COMPUTE_PGM_RSRC2:TIDIG_COMP_CNT: 0
; COMPUTE_PGM_RSRC3_GFX90A:ACCUM_OFFSET: 29
; COMPUTE_PGM_RSRC3_GFX90A:TG_SPLIT: 0
	.section	.text._ZN9rocsparseL18bsrxmvn_4x4_kernelILj128ELj4EdllfddEEvT3_20rocsparse_direction_NS_24const_host_device_scalarIT1_EES1_PKS1_PKT2_SA_S7_PKT4_PKT5_S5_PT6_21rocsparse_index_base_b,"axG",@progbits,_ZN9rocsparseL18bsrxmvn_4x4_kernelILj128ELj4EdllfddEEvT3_20rocsparse_direction_NS_24const_host_device_scalarIT1_EES1_PKS1_PKT2_SA_S7_PKT4_PKT5_S5_PT6_21rocsparse_index_base_b,comdat
	.globl	_ZN9rocsparseL18bsrxmvn_4x4_kernelILj128ELj4EdllfddEEvT3_20rocsparse_direction_NS_24const_host_device_scalarIT1_EES1_PKS1_PKT2_SA_S7_PKT4_PKT5_S5_PT6_21rocsparse_index_base_b ; -- Begin function _ZN9rocsparseL18bsrxmvn_4x4_kernelILj128ELj4EdllfddEEvT3_20rocsparse_direction_NS_24const_host_device_scalarIT1_EES1_PKS1_PKT2_SA_S7_PKT4_PKT5_S5_PT6_21rocsparse_index_base_b
	.p2align	8
	.type	_ZN9rocsparseL18bsrxmvn_4x4_kernelILj128ELj4EdllfddEEvT3_20rocsparse_direction_NS_24const_host_device_scalarIT1_EES1_PKS1_PKT2_SA_S7_PKT4_PKT5_S5_PT6_21rocsparse_index_base_b,@function
_ZN9rocsparseL18bsrxmvn_4x4_kernelILj128ELj4EdllfddEEvT3_20rocsparse_direction_NS_24const_host_device_scalarIT1_EES1_PKS1_PKT2_SA_S7_PKT4_PKT5_S5_PT6_21rocsparse_index_base_b: ; @_ZN9rocsparseL18bsrxmvn_4x4_kernelILj128ELj4EdllfddEEvT3_20rocsparse_direction_NS_24const_host_device_scalarIT1_EES1_PKS1_PKT2_SA_S7_PKT4_PKT5_S5_PT6_21rocsparse_index_base_b
; %bb.0:
	s_load_dwordx2 s[8:9], s[0:1], 0x60
	s_load_dwordx4 s[4:7], s[0:1], 0x10
	s_load_dwordx2 s[10:11], s[0:1], 0x50
	s_waitcnt lgkmcnt(0)
	s_bitcmp1_b32 s9, 0
	s_cselect_b64 s[14:15], -1, 0
	s_xor_b64 s[12:13], s[14:15], -1
	s_and_b64 vcc, exec, s[14:15]
	v_mov_b64_e32 v[14:15], s[4:5]
	s_cbranch_vccnz .LBB160_2
; %bb.1:
	v_mov_b64_e32 v[2:3], s[4:5]
	flat_load_dwordx2 v[14:15], v[2:3]
.LBB160_2:
	s_andn2_b64 vcc, exec, s[12:13]
	v_mov_b64_e32 v[12:13], s[10:11]
	s_cbranch_vccnz .LBB160_4
; %bb.3:
	v_mov_b64_e32 v[2:3], s[10:11]
	flat_load_dwordx2 v[12:13], v[2:3]
.LBB160_4:
	s_waitcnt vmcnt(0) lgkmcnt(0)
	v_cmp_neq_f64_e32 vcc, 0, v[14:15]
	v_cmp_neq_f64_e64 s[4:5], 1.0, v[12:13]
	s_mov_b64 s[10:11], 0
	s_or_b64 s[4:5], vcc, s[4:5]
	s_and_saveexec_b64 s[12:13], s[4:5]
	s_cbranch_execz .LBB160_10
; %bb.5:
	s_load_dwordx2 s[4:5], s[0:1], 0x20
	v_lshrrev_b32_e32 v1, 2, v0
	v_lshl_or_b32 v2, s2, 5, v1
	v_mov_b32_e32 v3, 0
	s_mov_b64 s[2:3], 0
	s_waitcnt lgkmcnt(0)
	s_cmp_lg_u64 s[4:5], 0
	s_cbranch_scc0 .LBB160_11
; %bb.6:
	v_cmp_gt_i64_e32 vcc, s[6:7], v[2:3]
                                        ; implicit-def: $vgpr16_vgpr17
                                        ; implicit-def: $vgpr18_vgpr19
	s_and_saveexec_b64 s[6:7], vcc
	s_xor_b64 s[6:7], exec, s[6:7]
	s_cbranch_execz .LBB160_8
; %bb.7:
	v_lshl_add_u64 v[4:5], v[2:3], 3, s[4:5]
	global_load_dwordx2 v[4:5], v[4:5], off
	s_mov_b32 s9, 0
	s_mov_b64 s[2:3], exec
	v_mov_b64_e32 v[18:19], s[8:9]
	s_waitcnt vmcnt(0)
	v_subrev_co_u32_e32 v16, vcc, s8, v4
	s_nop 1
	v_subbrev_co_u32_e32 v17, vcc, 0, v5, vcc
.LBB160_8:
	s_or_b64 exec, exec, s[6:7]
	s_mov_b64 s[10:11], s[2:3]
.LBB160_9:
	s_and_b64 exec, exec, s[10:11]
	s_cbranch_execnz .LBB160_15
.LBB160_10:
	s_endpgm
.LBB160_11:
                                        ; implicit-def: $vgpr16_vgpr17
                                        ; implicit-def: $vgpr18_vgpr19
	s_cbranch_execz .LBB160_9
; %bb.12:
	s_load_dwordx2 s[2:3], s[0:1], 0x0
	s_waitcnt lgkmcnt(0)
	v_cmp_gt_i64_e32 vcc, s[2:3], v[2:3]
	s_and_saveexec_b64 s[2:3], vcc
; %bb.13:
	s_mov_b32 s9, 0
	s_or_b64 s[10:11], s[10:11], exec
; %bb.14:
	s_or_b64 exec, exec, s[2:3]
	v_mov_b64_e32 v[18:19], s[8:9]
	v_mov_b64_e32 v[16:17], v[2:3]
	s_and_b64 exec, exec, s[10:11]
	s_cbranch_execz .LBB160_10
.LBB160_15:
	s_load_dwordx8 s[4:11], s[0:1], 0x28
	v_lshlrev_b64 v[2:3], 3, v[16:17]
	v_and_b32_e32 v20, 3, v0
	v_mov_b32_e32 v21, 0
	s_waitcnt lgkmcnt(0)
	v_lshl_add_u64 v[4:5], s[4:5], 0, v[2:3]
	s_cmp_eq_u64 s[6:7], 0
	v_lshl_add_u64 v[6:7], s[6:7], 0, v[2:3]
	global_load_dwordx2 v[2:3], v[4:5], off
	v_lshl_add_u64 v[4:5], v[4:5], 0, 8
	s_cselect_b64 vcc, -1, 0
	v_cndmask_b32_e32 v5, v7, v5, vcc
	v_cndmask_b32_e32 v4, v6, v4, vcc
	global_load_dwordx2 v[4:5], v[4:5], off
	s_load_dword s2, s[0:1], 0x8
	s_load_dwordx2 s[4:5], s[0:1], 0x48
	s_waitcnt lgkmcnt(0)
	s_cmp_eq_u32 s2, 1
	s_waitcnt vmcnt(1)
	v_sub_co_u32_e32 v0, vcc, v2, v18
	s_nop 1
	v_subb_co_u32_e32 v1, vcc, v3, v19, vcc
	v_lshl_add_u64 v[22:23], v[0:1], 0, v[20:21]
	s_waitcnt vmcnt(0)
	v_sub_co_u32_e32 v24, vcc, v4, v18
	v_lshlrev_b64 v[0:1], 6, v[22:23]
	s_nop 0
	v_subb_co_u32_e32 v25, vcc, v5, v19, vcc
	v_lshl_add_u64 v[26:27], s[10:11], 0, v[0:1]
	v_cmp_lt_i64_e64 s[2:3], v[22:23], v[24:25]
	s_cbranch_scc1 .LBB160_27
; %bb.16:
	v_mov_b64_e32 v[28:29], 0
	v_mov_b64_e32 v[30:31], 0
	;; [unrolled: 1-line block ×4, first 2 shown]
	s_and_saveexec_b64 s[6:7], s[2:3]
	s_cbranch_execz .LBB160_26
; %bb.17:
	v_or_b32_e32 v0, 4, v20
	v_sub_co_u32_e32 v0, vcc, v0, v18
	v_not_b32_e32 v5, v3
	s_nop 0
	v_subb_co_u32_e32 v1, vcc, 0, v19, vcc
	v_lshl_add_u64 v[0:1], v[0:1], 0, v[2:3]
	v_cmp_gt_i64_e32 vcc, v[0:1], v[24:25]
	v_not_b32_e32 v4, v2
	v_mov_b64_e32 v[34:35], 0
	v_cndmask_b32_e32 v1, v25, v1, vcc
	v_cndmask_b32_e32 v0, v24, v0, vcc
	v_sub_co_u32_e32 v6, vcc, v18, v20
	v_mov_b64_e32 v[32:33], 0
	s_nop 0
	v_subbrev_co_u32_e32 v7, vcc, 0, v19, vcc
	v_lshl_add_u64 v[4:5], v[6:7], 0, v[4:5]
	v_lshl_add_u64 v[6:7], v[4:5], 0, v[0:1]
	v_and_b32_e32 v0, 12, v6
	v_mov_b32_e32 v1, 0
	v_cmp_ne_u64_e32 vcc, 12, v[0:1]
	v_mov_b64_e32 v[30:31], 0
	v_mov_b64_e32 v[28:29], 0
	;; [unrolled: 1-line block ×4, first 2 shown]
	s_and_saveexec_b64 s[10:11], vcc
	s_cbranch_execz .LBB160_21
; %bb.18:
	v_lshrrev_b32_e32 v0, 2, v6
	v_add_u32_e32 v0, 1, v0
	v_and_b32_e32 v0, 3, v0
	v_sub_co_u32_e32 v10, vcc, 0, v0
	v_lshl_add_u64 v[8:9], v[22:23], 3, s[8:9]
	s_nop 0
	v_subb_co_u32_e64 v11, s[14:15], 0, 0, vcc
	s_mov_b64 s[12:13], 0
	v_mov_b64_e32 v[28:29], 0
	s_mov_b64 s[14:15], 0x100
	v_mov_b64_e32 v[4:5], v[26:27]
	v_mov_b64_e32 v[0:1], v[22:23]
	;; [unrolled: 1-line block ×5, first 2 shown]
.LBB160_19:                             ; =>This Inner Loop Header: Depth=1
	global_load_dwordx2 v[52:53], v[8:9], off
	global_load_dwordx4 v[36:39], v[4:5], off
	global_load_dwordx4 v[40:43], v[4:5], off offset:16
	global_load_dwordx4 v[44:47], v[4:5], off offset:32
	;; [unrolled: 1-line block ×3, first 2 shown]
	v_lshl_add_u64 v[10:11], v[10:11], 0, 1
	v_lshl_add_u64 v[4:5], v[4:5], 0, s[14:15]
	;; [unrolled: 1-line block ×4, first 2 shown]
	s_waitcnt vmcnt(4)
	v_sub_co_u32_e32 v52, vcc, v52, v18
	s_nop 1
	v_subb_co_u32_e32 v53, vcc, v53, v19, vcc
	v_lshlrev_b64 v[52:53], 5, v[52:53]
	v_lshl_add_u64 v[60:61], s[4:5], 0, v[52:53]
	global_load_dwordx4 v[52:55], v[60:61], off
	global_load_dwordx4 v[56:59], v[60:61], off offset:16
	s_waitcnt vmcnt(5)
	v_cvt_f64_f32_e32 v[60:61], v36
	s_waitcnt vmcnt(4)
	v_cvt_f64_f32_e32 v[64:65], v40
	;; [unrolled: 2-line block ×4, first 2 shown]
	v_cvt_f64_f32_e32 v[36:37], v37
	v_cvt_f64_f32_e32 v[40:41], v41
	;; [unrolled: 1-line block ×8, first 2 shown]
	v_cmp_eq_u64_e32 vcc, 0, v[10:11]
	v_cvt_f64_f32_e32 v[38:39], v39
	v_cvt_f64_f32_e32 v[42:43], v43
	v_cvt_f64_f32_e32 v[46:47], v47
	v_cvt_f64_f32_e32 v[50:51], v51
	s_or_b64 s[12:13], vcc, s[12:13]
	s_waitcnt vmcnt(1)
	v_fmac_f64_e32 v[34:35], v[60:61], v[52:53]
	v_fmac_f64_e32 v[32:33], v[64:65], v[52:53]
	;; [unrolled: 1-line block ×8, first 2 shown]
	s_waitcnt vmcnt(0)
	v_fmac_f64_e32 v[34:35], v[62:63], v[56:57]
	v_fmac_f64_e32 v[32:33], v[66:67], v[56:57]
	;; [unrolled: 1-line block ×8, first 2 shown]
	s_andn2_b64 exec, exec, s[12:13]
	s_cbranch_execnz .LBB160_19
; %bb.20:
	s_or_b64 exec, exec, s[12:13]
.LBB160_21:
	s_or_b64 exec, exec, s[10:11]
	v_cmp_lt_u64_e32 vcc, 11, v[6:7]
	s_and_saveexec_b64 s[10:11], vcc
	s_cbranch_execz .LBB160_25
; %bb.22:
	v_lshl_add_u64 v[6:7], v[0:1], 3, s[8:9]
	v_lshl_add_u64 v[6:7], v[6:7], 0, 64
	s_mov_b64 s[12:13], 0
	s_mov_b64 s[14:15], 0x400
	;; [unrolled: 1-line block ×3, first 2 shown]
.LBB160_23:                             ; =>This Inner Loop Header: Depth=1
	global_load_dwordx2 v[8:9], v[6:7], off offset:-64
	v_lshl_add_u64 v[0:1], v[0:1], 0, 16
	s_waitcnt vmcnt(0)
	v_sub_co_u32_e32 v48, vcc, v8, v18
	s_nop 1
	v_subb_co_u32_e32 v49, vcc, v9, v19, vcc
	v_lshlrev_b64 v[48:49], 5, v[48:49]
	global_load_dwordx4 v[8:11], v[4:5], off offset:48
	global_load_dwordx4 v[36:39], v[4:5], off offset:32
	;; [unrolled: 1-line block ×3, first 2 shown]
	global_load_dwordx4 v[44:47], v[4:5], off
	v_lshl_add_u64 v[58:59], s[4:5], 0, v[48:49]
	global_load_dwordx4 v[48:51], v[58:59], off offset:16
	global_load_dwordx4 v[52:55], v[58:59], off
	s_waitcnt vmcnt(2)
	v_cvt_f64_f32_e32 v[56:57], v44
	v_cvt_f64_f32_e32 v[44:45], v45
	s_waitcnt vmcnt(0)
	v_fmac_f64_e32 v[34:35], v[56:57], v[52:53]
	v_fmac_f64_e32 v[34:35], v[44:45], v[54:55]
	v_cvt_f64_f32_e32 v[44:45], v46
	v_fmac_f64_e32 v[34:35], v[44:45], v[48:49]
	v_cvt_f64_f32_e32 v[44:45], v47
	;; [unrolled: 2-line block ×14, first 2 shown]
	v_fmac_f64_e32 v[28:29], v[8:9], v[50:51]
	global_load_dwordx2 v[8:9], v[6:7], off offset:-32
	s_waitcnt vmcnt(0)
	v_sub_co_u32_e32 v48, vcc, v8, v18
	s_nop 1
	v_subb_co_u32_e32 v49, vcc, v9, v19, vcc
	v_lshlrev_b64 v[48:49], 5, v[48:49]
	global_load_dwordx4 v[8:11], v[4:5], off offset:304
	global_load_dwordx4 v[36:39], v[4:5], off offset:288
	;; [unrolled: 1-line block ×4, first 2 shown]
	v_lshl_add_u64 v[58:59], s[4:5], 0, v[48:49]
	global_load_dwordx4 v[48:51], v[58:59], off offset:16
	global_load_dwordx4 v[52:55], v[58:59], off
	s_waitcnt vmcnt(2)
	v_cvt_f64_f32_e32 v[56:57], v44
	v_cvt_f64_f32_e32 v[44:45], v45
	s_waitcnt vmcnt(0)
	v_fmac_f64_e32 v[34:35], v[56:57], v[52:53]
	v_fmac_f64_e32 v[34:35], v[44:45], v[54:55]
	v_cvt_f64_f32_e32 v[44:45], v46
	v_fmac_f64_e32 v[34:35], v[44:45], v[48:49]
	v_cvt_f64_f32_e32 v[44:45], v47
	v_fmac_f64_e32 v[34:35], v[44:45], v[50:51]
	v_cvt_f64_f32_e32 v[44:45], v40
	v_fmac_f64_e32 v[32:33], v[44:45], v[52:53]
	v_cvt_f64_f32_e32 v[40:41], v41
	v_fmac_f64_e32 v[32:33], v[40:41], v[54:55]
	v_cvt_f64_f32_e32 v[40:41], v42
	v_fmac_f64_e32 v[32:33], v[40:41], v[48:49]
	v_cvt_f64_f32_e32 v[40:41], v43
	v_fmac_f64_e32 v[32:33], v[40:41], v[50:51]
	v_cvt_f64_f32_e32 v[40:41], v36
	v_fmac_f64_e32 v[30:31], v[40:41], v[52:53]
	v_cvt_f64_f32_e32 v[36:37], v37
	v_fmac_f64_e32 v[30:31], v[36:37], v[54:55]
	v_cvt_f64_f32_e32 v[36:37], v38
	v_fmac_f64_e32 v[30:31], v[36:37], v[48:49]
	v_cvt_f64_f32_e32 v[36:37], v39
	v_fmac_f64_e32 v[30:31], v[36:37], v[50:51]
	v_cvt_f64_f32_e32 v[36:37], v8
	v_fmac_f64_e32 v[28:29], v[36:37], v[52:53]
	v_cvt_f64_f32_e32 v[8:9], v9
	v_fmac_f64_e32 v[28:29], v[8:9], v[54:55]
	v_cvt_f64_f32_e32 v[8:9], v10
	v_fmac_f64_e32 v[28:29], v[8:9], v[48:49]
	v_cvt_f64_f32_e32 v[8:9], v11
	v_fmac_f64_e32 v[28:29], v[8:9], v[50:51]
	global_load_dwordx2 v[8:9], v[6:7], off
	s_waitcnt vmcnt(0)
	v_sub_co_u32_e32 v48, vcc, v8, v18
	s_nop 1
	v_subb_co_u32_e32 v49, vcc, v9, v19, vcc
	v_lshlrev_b64 v[48:49], 5, v[48:49]
	global_load_dwordx4 v[8:11], v[4:5], off offset:560
	global_load_dwordx4 v[36:39], v[4:5], off offset:544
	;; [unrolled: 1-line block ×4, first 2 shown]
	v_lshl_add_u64 v[58:59], s[4:5], 0, v[48:49]
	global_load_dwordx4 v[48:51], v[58:59], off offset:16
	global_load_dwordx4 v[52:55], v[58:59], off
	s_waitcnt vmcnt(2)
	v_cvt_f64_f32_e32 v[56:57], v44
	v_cvt_f64_f32_e32 v[44:45], v45
	s_waitcnt vmcnt(0)
	v_fmac_f64_e32 v[34:35], v[56:57], v[52:53]
	v_fmac_f64_e32 v[34:35], v[44:45], v[54:55]
	v_cvt_f64_f32_e32 v[44:45], v46
	v_fmac_f64_e32 v[34:35], v[44:45], v[48:49]
	v_cvt_f64_f32_e32 v[44:45], v47
	;; [unrolled: 2-line block ×14, first 2 shown]
	v_fmac_f64_e32 v[28:29], v[8:9], v[50:51]
	global_load_dwordx2 v[8:9], v[6:7], off offset:32
	v_lshl_add_u64 v[6:7], v[6:7], 0, s[16:17]
	s_waitcnt vmcnt(0)
	v_sub_co_u32_e32 v48, vcc, v8, v18
	s_nop 1
	v_subb_co_u32_e32 v49, vcc, v9, v19, vcc
	v_lshlrev_b64 v[48:49], 5, v[48:49]
	global_load_dwordx4 v[8:11], v[4:5], off offset:816
	global_load_dwordx4 v[36:39], v[4:5], off offset:800
	;; [unrolled: 1-line block ×4, first 2 shown]
	v_lshl_add_u64 v[58:59], s[4:5], 0, v[48:49]
	global_load_dwordx4 v[48:51], v[58:59], off offset:16
	global_load_dwordx4 v[52:55], v[58:59], off
	v_cmp_ge_i64_e32 vcc, v[0:1], v[24:25]
	v_lshl_add_u64 v[4:5], v[4:5], 0, s[14:15]
	s_or_b64 s[12:13], vcc, s[12:13]
	s_waitcnt vmcnt(2)
	v_cvt_f64_f32_e32 v[56:57], v44
	v_cvt_f64_f32_e32 v[44:45], v45
	s_waitcnt vmcnt(0)
	v_fmac_f64_e32 v[34:35], v[56:57], v[52:53]
	v_fmac_f64_e32 v[34:35], v[44:45], v[54:55]
	v_cvt_f64_f32_e32 v[44:45], v46
	v_fmac_f64_e32 v[34:35], v[44:45], v[48:49]
	v_cvt_f64_f32_e32 v[44:45], v47
	;; [unrolled: 2-line block ×14, first 2 shown]
	v_fmac_f64_e32 v[28:29], v[8:9], v[50:51]
	s_andn2_b64 exec, exec, s[12:13]
	s_cbranch_execnz .LBB160_23
; %bb.24:
	s_or_b64 exec, exec, s[12:13]
.LBB160_25:
	s_or_b64 exec, exec, s[10:11]
.LBB160_26:
	s_or_b64 exec, exec, s[6:7]
	s_cbranch_execz .LBB160_28
	s_branch .LBB160_39
.LBB160_27:
                                        ; implicit-def: $vgpr28_vgpr29
                                        ; implicit-def: $vgpr30_vgpr31
                                        ; implicit-def: $vgpr32_vgpr33
                                        ; implicit-def: $vgpr34_vgpr35
.LBB160_28:
	v_mov_b64_e32 v[28:29], 0
	v_mov_b64_e32 v[30:31], 0
	;; [unrolled: 1-line block ×4, first 2 shown]
	s_and_saveexec_b64 s[6:7], s[2:3]
	s_cbranch_execz .LBB160_38
; %bb.29:
	v_or_b32_e32 v0, 4, v20
	v_sub_co_u32_e32 v0, vcc, v0, v18
	v_mov_b64_e32 v[34:35], 0
	s_nop 0
	v_subb_co_u32_e32 v1, vcc, 0, v19, vcc
	v_lshl_add_u64 v[0:1], v[0:1], 0, v[2:3]
	v_cmp_gt_i64_e32 vcc, v[0:1], v[24:25]
	v_not_b32_e32 v3, v3
	v_not_b32_e32 v2, v2
	v_cndmask_b32_e32 v1, v25, v1, vcc
	v_cndmask_b32_e32 v0, v24, v0, vcc
	v_sub_co_u32_e32 v4, vcc, v18, v20
	v_mov_b64_e32 v[32:33], 0
	s_nop 0
	v_subbrev_co_u32_e32 v5, vcc, 0, v19, vcc
	v_lshl_add_u64 v[2:3], v[4:5], 0, v[2:3]
	v_lshl_add_u64 v[0:1], v[2:3], 0, v[0:1]
	v_and_b32_e32 v2, 12, v0
	v_mov_b32_e32 v3, 0
	v_cmp_ne_u64_e32 vcc, 12, v[2:3]
	v_mov_b64_e32 v[30:31], 0
	v_mov_b64_e32 v[28:29], 0
	s_and_saveexec_b64 s[2:3], vcc
	s_cbranch_execz .LBB160_33
; %bb.30:
	v_lshrrev_b32_e32 v2, 2, v0
	v_add_u32_e32 v2, 1, v2
	v_and_b32_e32 v4, 3, v2
	v_sub_co_u32_e32 v4, vcc, 0, v4
	v_lshl_add_u64 v[2:3], v[22:23], 3, s[8:9]
	s_nop 0
	v_subb_co_u32_e64 v5, s[12:13], 0, 0, vcc
	s_mov_b64 s[10:11], 0
	v_mov_b64_e32 v[28:29], 0
	s_mov_b64 s[12:13], 0x100
	v_mov_b64_e32 v[30:31], 0
	v_mov_b64_e32 v[32:33], 0
	;; [unrolled: 1-line block ×3, first 2 shown]
.LBB160_31:                             ; =>This Inner Loop Header: Depth=1
	global_load_dwordx2 v[10:11], v[2:3], off
	global_load_dwordx4 v[6:9], v[26:27], off
	global_load_dwordx4 v[36:39], v[26:27], off offset:16
	global_load_dwordx4 v[40:43], v[26:27], off offset:32
	v_lshl_add_u64 v[4:5], v[4:5], 0, 1
	v_lshl_add_u64 v[22:23], v[22:23], 0, 4
	;; [unrolled: 1-line block ×3, first 2 shown]
	s_waitcnt vmcnt(3)
	v_sub_co_u32_e32 v10, vcc, v10, v18
	s_nop 1
	v_subb_co_u32_e32 v11, vcc, v11, v19, vcc
	v_lshlrev_b64 v[10:11], 5, v[10:11]
	v_lshl_add_u64 v[10:11], s[4:5], 0, v[10:11]
	global_load_dwordx4 v[44:47], v[10:11], off offset:16
	global_load_dwordx4 v[48:51], v[10:11], off
	global_load_dwordx4 v[52:55], v[26:27], off offset:48
	s_waitcnt vmcnt(5)
	v_cvt_f64_f32_e32 v[10:11], v6
	v_cvt_f64_f32_e32 v[6:7], v7
	v_cvt_f64_f32_e32 v[56:57], v8
	v_cvt_f64_f32_e32 v[8:9], v9
	s_waitcnt vmcnt(4)
	v_cvt_f64_f32_e32 v[58:59], v36
	v_cvt_f64_f32_e32 v[36:37], v37
	v_cvt_f64_f32_e32 v[60:61], v38
	v_cvt_f64_f32_e32 v[38:39], v39
	;; [unrolled: 5-line block ×3, first 2 shown]
	v_cmp_eq_u64_e32 vcc, 0, v[4:5]
	v_lshl_add_u64 v[26:27], v[26:27], 0, s[12:13]
	s_or_b64 s[10:11], vcc, s[10:11]
	s_waitcnt vmcnt(1)
	v_fmac_f64_e32 v[34:35], v[10:11], v[48:49]
	v_fmac_f64_e32 v[32:33], v[6:7], v[48:49]
	;; [unrolled: 1-line block ×8, first 2 shown]
	s_waitcnt vmcnt(0)
	v_cvt_f64_f32_e32 v[66:67], v52
	v_cvt_f64_f32_e32 v[52:53], v53
	;; [unrolled: 1-line block ×4, first 2 shown]
	v_fmac_f64_e32 v[34:35], v[62:63], v[44:45]
	v_fmac_f64_e32 v[32:33], v[40:41], v[44:45]
	;; [unrolled: 1-line block ×8, first 2 shown]
	s_andn2_b64 exec, exec, s[10:11]
	s_cbranch_execnz .LBB160_31
; %bb.32:
	s_or_b64 exec, exec, s[10:11]
.LBB160_33:
	s_or_b64 exec, exec, s[2:3]
	v_cmp_lt_u64_e32 vcc, 11, v[0:1]
	s_and_saveexec_b64 s[2:3], vcc
	s_cbranch_execz .LBB160_37
; %bb.34:
	v_lshl_add_u64 v[0:1], v[22:23], 3, s[8:9]
	v_lshl_add_u64 v[36:37], v[0:1], 0, 64
	s_mov_b64 s[8:9], 0
	s_mov_b64 s[10:11], 0x400
	;; [unrolled: 1-line block ×3, first 2 shown]
.LBB160_35:                             ; =>This Inner Loop Header: Depth=1
	global_load_dwordx4 v[38:41], v[26:27], off
	global_load_dwordx4 v[8:11], v[26:27], off offset:16
	global_load_dwordx4 v[4:7], v[26:27], off offset:32
	;; [unrolled: 1-line block ×7, first 2 shown]
	v_lshl_add_u64 v[22:23], v[22:23], 0, 16
	s_waitcnt vmcnt(7)
	v_cvt_f64_f32_e32 v[58:59], v38
	v_cvt_f64_f32_e32 v[60:61], v40
	s_waitcnt vmcnt(5)
	v_cvt_f64_f32_e32 v[66:67], v4
	s_waitcnt vmcnt(4)
	v_cvt_f64_f32_e32 v[74:75], v0
	v_cvt_f64_f32_e32 v[76:77], v1
	global_load_dwordx2 v[0:1], v[36:37], off offset:-64
	s_waitcnt vmcnt(3)
	v_cvt_f64_f32_e32 v[94:95], v48
	v_cvt_f64_f32_e32 v[96:97], v49
	;; [unrolled: 1-line block ×11, first 2 shown]
	global_load_dwordx4 v[4:7], v[26:27], off offset:512
	global_load_dwordx4 v[44:47], v[26:27], off offset:528
	v_cvt_f64_f32_e32 v[40:41], v41
	v_cvt_f64_f32_e32 v[38:39], v39
	;; [unrolled: 1-line block ×8, first 2 shown]
	s_waitcnt vmcnt(4)
	v_cvt_f64_f32_e32 v[98:99], v50
	v_cvt_f64_f32_e32 v[100:101], v51
	;; [unrolled: 1-line block ×3, first 2 shown]
	s_waitcnt vmcnt(3)
	v_cvt_f64_f32_e32 v[106:107], v54
	v_cvt_f64_f32_e32 v[104:105], v53
	;; [unrolled: 1-line block ×5, first 2 shown]
	s_waitcnt vmcnt(2)
	v_sub_co_u32_e32 v0, vcc, v0, v18
	s_nop 1
	v_subb_co_u32_e32 v1, vcc, v1, v19, vcc
	v_lshlrev_b64 v[0:1], 5, v[0:1]
	v_lshl_add_u64 v[48:49], s[4:5], 0, v[0:1]
	global_load_dwordx4 v[0:3], v[48:49], off
	s_waitcnt vmcnt(2)
	v_cvt_f64_f32_e32 v[52:53], v4
	v_cvt_f64_f32_e32 v[54:55], v5
	v_cvt_f64_f32_e32 v[56:57], v6
	v_cvt_f64_f32_e32 v[42:43], v7
	s_waitcnt vmcnt(0)
	v_fmac_f64_e32 v[34:35], v[58:59], v[0:1]
	global_load_dwordx2 v[58:59], v[36:37], off offset:-32
	v_fmac_f64_e32 v[28:29], v[40:41], v[0:1]
	v_fmac_f64_e32 v[32:33], v[38:39], v[0:1]
	;; [unrolled: 1-line block ×4, first 2 shown]
	v_cvt_f64_f32_e32 v[38:39], v44
	v_cvt_f64_f32_e32 v[40:41], v45
	;; [unrolled: 1-line block ×4, first 2 shown]
	global_load_dwordx4 v[44:47], v[48:49], off offset:16
	v_fmac_f64_e32 v[34:35], v[62:63], v[2:3]
	v_fmac_f64_e32 v[32:33], v[8:9], v[2:3]
	;; [unrolled: 1-line block ×3, first 2 shown]
	global_load_dwordx4 v[6:9], v[26:27], off offset:544
	global_load_dwordx4 v[62:65], v[26:27], off offset:768
	s_waitcnt vmcnt(3)
	v_sub_co_u32_e32 v58, vcc, v58, v18
	s_nop 1
	v_subb_co_u32_e32 v59, vcc, v59, v19, vcc
	v_lshlrev_b64 v[58:59], 5, v[58:59]
	v_lshl_add_u64 v[114:115], s[4:5], 0, v[58:59]
	global_load_dwordx4 v[58:61], v[114:115], off
	global_load_dwordx4 v[48:51], v[26:27], off offset:560
	s_waitcnt vmcnt(4)
	v_fmac_f64_e32 v[34:35], v[66:67], v[44:45]
	v_fmac_f64_e32 v[34:35], v[74:75], v[46:47]
	;; [unrolled: 1-line block ×8, first 2 shown]
	global_load_dwordx4 v[70:73], v[26:27], off offset:784
	global_load_dwordx4 v[78:81], v[26:27], off offset:800
	s_waitcnt vmcnt(5)
	v_cvt_f64_f32_e32 v[2:3], v6
	v_cvt_f64_f32_e32 v[4:5], v7
	v_cvt_f64_f32_e32 v[6:7], v8
	v_cvt_f64_f32_e32 v[8:9], v9
	s_waitcnt vmcnt(3)
	v_fmac_f64_e32 v[34:35], v[82:83], v[58:59]
	v_fmac_f64_e32 v[34:35], v[90:91], v[60:61]
	global_load_dwordx2 v[90:91], v[36:37], off
	v_fmac_f64_e32 v[32:33], v[84:85], v[58:59]
	v_fmac_f64_e32 v[32:33], v[92:93], v[60:61]
	global_load_dwordx2 v[92:93], v[36:37], off offset:32
	v_fmac_f64_e32 v[30:31], v[86:87], v[58:59]
	v_fmac_f64_e32 v[28:29], v[88:89], v[58:59]
	global_load_dwordx4 v[82:85], v[114:115], off offset:16
	v_fmac_f64_e32 v[30:31], v[94:95], v[60:61]
	v_fmac_f64_e32 v[28:29], v[96:97], v[60:61]
	global_load_dwordx4 v[86:89], v[26:27], off offset:816
	s_waitcnt vmcnt(6)
	v_cvt_f64_f32_e32 v[44:45], v48
	v_cvt_f64_f32_e32 v[46:47], v49
	;; [unrolled: 1-line block ×8, first 2 shown]
	s_waitcnt vmcnt(5)
	v_cvt_f64_f32_e32 v[66:67], v70
	v_cvt_f64_f32_e32 v[68:69], v71
	v_cvt_f64_f32_e32 v[70:71], v72
	v_cvt_f64_f32_e32 v[72:73], v73
	s_waitcnt vmcnt(4)
	v_cvt_f64_f32_e32 v[74:75], v78
	v_cvt_f64_f32_e32 v[76:77], v79
	;; [unrolled: 1-line block ×4, first 2 shown]
	v_lshl_add_u64 v[26:27], v[26:27], 0, s[10:11]
	v_lshl_add_u64 v[36:37], v[36:37], 0, s[12:13]
	s_waitcnt vmcnt(3)
	v_sub_co_u32_e32 v90, vcc, v90, v18
	s_nop 1
	v_subb_co_u32_e32 v91, vcc, v91, v19, vcc
	v_lshlrev_b64 v[90:91], 5, v[90:91]
	s_waitcnt vmcnt(2)
	v_sub_co_u32_e32 v94, vcc, v92, v18
	v_lshl_add_u64 v[96:97], s[4:5], 0, v[90:91]
	s_nop 0
	v_subb_co_u32_e32 v95, vcc, v93, v19, vcc
	global_load_dwordx4 v[90:93], v[96:97], off
	s_waitcnt vmcnt(2)
	v_fmac_f64_e32 v[34:35], v[98:99], v[82:83]
	v_fmac_f64_e32 v[32:33], v[100:101], v[82:83]
	;; [unrolled: 1-line block ×8, first 2 shown]
	s_waitcnt vmcnt(1)
	v_cvt_f64_f32_e32 v[82:83], v86
	v_cvt_f64_f32_e32 v[84:85], v87
	;; [unrolled: 1-line block ×4, first 2 shown]
	v_cmp_ge_i64_e32 vcc, v[22:23], v[24:25]
	s_or_b64 s[8:9], vcc, s[8:9]
	s_waitcnt vmcnt(0)
	v_fmac_f64_e32 v[34:35], v[52:53], v[90:91]
	v_lshlrev_b64 v[52:53], 5, v[94:95]
	v_fmac_f64_e32 v[32:33], v[54:55], v[90:91]
	v_fmac_f64_e32 v[30:31], v[56:57], v[90:91]
	v_lshl_add_u64 v[56:57], s[4:5], 0, v[52:53]
	global_load_dwordx4 v[52:55], v[96:97], off offset:16
	v_fmac_f64_e32 v[34:35], v[38:39], v[92:93]
	v_fmac_f64_e32 v[32:33], v[40:41], v[92:93]
	global_load_dwordx4 v[38:41], v[56:57], off
	global_load_dwordx4 v[94:97], v[56:57], off offset:16
	v_fmac_f64_e32 v[28:29], v[42:43], v[90:91]
	v_fmac_f64_e32 v[30:31], v[10:11], v[92:93]
	v_fmac_f64_e32 v[28:29], v[0:1], v[92:93]
	s_waitcnt vmcnt(2)
	v_fmac_f64_e32 v[34:35], v[2:3], v[52:53]
	v_fmac_f64_e32 v[32:33], v[4:5], v[52:53]
	v_fmac_f64_e32 v[30:31], v[6:7], v[52:53]
	v_fmac_f64_e32 v[28:29], v[8:9], v[52:53]
	v_fmac_f64_e32 v[34:35], v[44:45], v[54:55]
	v_fmac_f64_e32 v[32:33], v[46:47], v[54:55]
	v_fmac_f64_e32 v[30:31], v[48:49], v[54:55]
	v_fmac_f64_e32 v[28:29], v[50:51], v[54:55]
	s_waitcnt vmcnt(1)
	v_fmac_f64_e32 v[34:35], v[58:59], v[38:39]
	v_fmac_f64_e32 v[32:33], v[60:61], v[38:39]
	v_fmac_f64_e32 v[30:31], v[62:63], v[38:39]
	v_fmac_f64_e32 v[28:29], v[64:65], v[38:39]
	v_fmac_f64_e32 v[34:35], v[66:67], v[40:41]
	;; [unrolled: 9-line block ×3, first 2 shown]
	v_fmac_f64_e32 v[32:33], v[84:85], v[96:97]
	v_fmac_f64_e32 v[30:31], v[86:87], v[96:97]
	;; [unrolled: 1-line block ×3, first 2 shown]
	s_andn2_b64 exec, exec, s[8:9]
	s_cbranch_execnz .LBB160_35
; %bb.36:
	s_or_b64 exec, exec, s[8:9]
.LBB160_37:
	s_or_b64 exec, exec, s[2:3]
.LBB160_38:
	s_or_b64 exec, exec, s[6:7]
.LBB160_39:
	v_mov_b32_dpp v0, v34 row_shr:1 row_mask:0xf bank_mask:0xf
	v_mov_b32_dpp v1, v35 row_shr:1 row_mask:0xf bank_mask:0xf
	;; [unrolled: 1-line block ×8, first 2 shown]
	v_add_f64 v[0:1], v[34:35], v[0:1]
	v_add_f64 v[4:5], v[32:33], v[4:5]
	;; [unrolled: 1-line block ×4, first 2 shown]
	v_mov_b32_dpp v2, v0 row_shr:2 row_mask:0xf bank_mask:0xf
	v_mov_b32_dpp v3, v1 row_shr:2 row_mask:0xf bank_mask:0xf
	;; [unrolled: 1-line block ×8, first 2 shown]
	v_cmp_eq_u32_e32 vcc, 3, v20
	s_and_b64 exec, exec, vcc
	s_cbranch_execz .LBB160_10
; %bb.40:
	s_load_dwordx2 s[0:1], s[0:1], 0x58
	v_add_f64 v[0:1], v[0:1], v[2:3]
	v_add_f64 v[2:3], v[4:5], v[6:7]
	;; [unrolled: 1-line block ×4, first 2 shown]
	v_cmp_eq_f64_e32 vcc, 0, v[12:13]
	v_mul_f64 v[4:5], v[14:15], v[0:1]
	v_mul_f64 v[6:7], v[14:15], v[2:3]
	;; [unrolled: 1-line block ×4, first 2 shown]
	v_lshlrev_b64 v[8:9], 5, v[16:17]
	s_and_saveexec_b64 s[2:3], vcc
	s_xor_b64 s[2:3], exec, s[2:3]
	s_cbranch_execz .LBB160_42
; %bb.41:
	s_waitcnt lgkmcnt(0)
	v_lshl_add_u64 v[8:9], s[0:1], 0, v[8:9]
	global_store_dwordx4 v[8:9], v[4:7], off
	global_store_dwordx4 v[8:9], v[0:3], off offset:16
                                        ; implicit-def: $vgpr8_vgpr9
                                        ; implicit-def: $vgpr12_vgpr13
                                        ; implicit-def: $vgpr4_vgpr5
                                        ; implicit-def: $vgpr0_vgpr1
.LBB160_42:
	s_andn2_saveexec_b64 s[2:3], s[2:3]
	s_cbranch_execz .LBB160_10
; %bb.43:
	s_waitcnt lgkmcnt(0)
	v_lshl_add_u64 v[18:19], s[0:1], 0, v[8:9]
	global_load_dwordx4 v[8:11], v[18:19], off
	global_load_dwordx4 v[14:17], v[18:19], off offset:16
	s_waitcnt vmcnt(1)
	v_fmac_f64_e32 v[4:5], v[12:13], v[8:9]
	v_fmac_f64_e32 v[6:7], v[12:13], v[10:11]
	s_waitcnt vmcnt(0)
	v_fmac_f64_e32 v[0:1], v[12:13], v[14:15]
	v_fmac_f64_e32 v[2:3], v[12:13], v[16:17]
	global_store_dwordx4 v[18:19], v[4:7], off
	global_store_dwordx4 v[18:19], v[0:3], off offset:16
	s_endpgm
	.section	.rodata,"a",@progbits
	.p2align	6, 0x0
	.amdhsa_kernel _ZN9rocsparseL18bsrxmvn_4x4_kernelILj128ELj4EdllfddEEvT3_20rocsparse_direction_NS_24const_host_device_scalarIT1_EES1_PKS1_PKT2_SA_S7_PKT4_PKT5_S5_PT6_21rocsparse_index_base_b
		.amdhsa_group_segment_fixed_size 0
		.amdhsa_private_segment_fixed_size 0
		.amdhsa_kernarg_size 104
		.amdhsa_user_sgpr_count 2
		.amdhsa_user_sgpr_dispatch_ptr 0
		.amdhsa_user_sgpr_queue_ptr 0
		.amdhsa_user_sgpr_kernarg_segment_ptr 1
		.amdhsa_user_sgpr_dispatch_id 0
		.amdhsa_user_sgpr_kernarg_preload_length 0
		.amdhsa_user_sgpr_kernarg_preload_offset 0
		.amdhsa_user_sgpr_private_segment_size 0
		.amdhsa_uses_dynamic_stack 0
		.amdhsa_enable_private_segment 0
		.amdhsa_system_sgpr_workgroup_id_x 1
		.amdhsa_system_sgpr_workgroup_id_y 0
		.amdhsa_system_sgpr_workgroup_id_z 0
		.amdhsa_system_sgpr_workgroup_info 0
		.amdhsa_system_vgpr_workitem_id 0
		.amdhsa_next_free_vgpr 116
		.amdhsa_next_free_sgpr 18
		.amdhsa_accum_offset 116
		.amdhsa_reserve_vcc 1
		.amdhsa_float_round_mode_32 0
		.amdhsa_float_round_mode_16_64 0
		.amdhsa_float_denorm_mode_32 3
		.amdhsa_float_denorm_mode_16_64 3
		.amdhsa_dx10_clamp 1
		.amdhsa_ieee_mode 1
		.amdhsa_fp16_overflow 0
		.amdhsa_tg_split 0
		.amdhsa_exception_fp_ieee_invalid_op 0
		.amdhsa_exception_fp_denorm_src 0
		.amdhsa_exception_fp_ieee_div_zero 0
		.amdhsa_exception_fp_ieee_overflow 0
		.amdhsa_exception_fp_ieee_underflow 0
		.amdhsa_exception_fp_ieee_inexact 0
		.amdhsa_exception_int_div_zero 0
	.end_amdhsa_kernel
	.section	.text._ZN9rocsparseL18bsrxmvn_4x4_kernelILj128ELj4EdllfddEEvT3_20rocsparse_direction_NS_24const_host_device_scalarIT1_EES1_PKS1_PKT2_SA_S7_PKT4_PKT5_S5_PT6_21rocsparse_index_base_b,"axG",@progbits,_ZN9rocsparseL18bsrxmvn_4x4_kernelILj128ELj4EdllfddEEvT3_20rocsparse_direction_NS_24const_host_device_scalarIT1_EES1_PKS1_PKT2_SA_S7_PKT4_PKT5_S5_PT6_21rocsparse_index_base_b,comdat
.Lfunc_end160:
	.size	_ZN9rocsparseL18bsrxmvn_4x4_kernelILj128ELj4EdllfddEEvT3_20rocsparse_direction_NS_24const_host_device_scalarIT1_EES1_PKS1_PKT2_SA_S7_PKT4_PKT5_S5_PT6_21rocsparse_index_base_b, .Lfunc_end160-_ZN9rocsparseL18bsrxmvn_4x4_kernelILj128ELj4EdllfddEEvT3_20rocsparse_direction_NS_24const_host_device_scalarIT1_EES1_PKS1_PKT2_SA_S7_PKT4_PKT5_S5_PT6_21rocsparse_index_base_b
                                        ; -- End function
	.set _ZN9rocsparseL18bsrxmvn_4x4_kernelILj128ELj4EdllfddEEvT3_20rocsparse_direction_NS_24const_host_device_scalarIT1_EES1_PKS1_PKT2_SA_S7_PKT4_PKT5_S5_PT6_21rocsparse_index_base_b.num_vgpr, 116
	.set _ZN9rocsparseL18bsrxmvn_4x4_kernelILj128ELj4EdllfddEEvT3_20rocsparse_direction_NS_24const_host_device_scalarIT1_EES1_PKS1_PKT2_SA_S7_PKT4_PKT5_S5_PT6_21rocsparse_index_base_b.num_agpr, 0
	.set _ZN9rocsparseL18bsrxmvn_4x4_kernelILj128ELj4EdllfddEEvT3_20rocsparse_direction_NS_24const_host_device_scalarIT1_EES1_PKS1_PKT2_SA_S7_PKT4_PKT5_S5_PT6_21rocsparse_index_base_b.numbered_sgpr, 18
	.set _ZN9rocsparseL18bsrxmvn_4x4_kernelILj128ELj4EdllfddEEvT3_20rocsparse_direction_NS_24const_host_device_scalarIT1_EES1_PKS1_PKT2_SA_S7_PKT4_PKT5_S5_PT6_21rocsparse_index_base_b.num_named_barrier, 0
	.set _ZN9rocsparseL18bsrxmvn_4x4_kernelILj128ELj4EdllfddEEvT3_20rocsparse_direction_NS_24const_host_device_scalarIT1_EES1_PKS1_PKT2_SA_S7_PKT4_PKT5_S5_PT6_21rocsparse_index_base_b.private_seg_size, 0
	.set _ZN9rocsparseL18bsrxmvn_4x4_kernelILj128ELj4EdllfddEEvT3_20rocsparse_direction_NS_24const_host_device_scalarIT1_EES1_PKS1_PKT2_SA_S7_PKT4_PKT5_S5_PT6_21rocsparse_index_base_b.uses_vcc, 1
	.set _ZN9rocsparseL18bsrxmvn_4x4_kernelILj128ELj4EdllfddEEvT3_20rocsparse_direction_NS_24const_host_device_scalarIT1_EES1_PKS1_PKT2_SA_S7_PKT4_PKT5_S5_PT6_21rocsparse_index_base_b.uses_flat_scratch, 0
	.set _ZN9rocsparseL18bsrxmvn_4x4_kernelILj128ELj4EdllfddEEvT3_20rocsparse_direction_NS_24const_host_device_scalarIT1_EES1_PKS1_PKT2_SA_S7_PKT4_PKT5_S5_PT6_21rocsparse_index_base_b.has_dyn_sized_stack, 0
	.set _ZN9rocsparseL18bsrxmvn_4x4_kernelILj128ELj4EdllfddEEvT3_20rocsparse_direction_NS_24const_host_device_scalarIT1_EES1_PKS1_PKT2_SA_S7_PKT4_PKT5_S5_PT6_21rocsparse_index_base_b.has_recursion, 0
	.set _ZN9rocsparseL18bsrxmvn_4x4_kernelILj128ELj4EdllfddEEvT3_20rocsparse_direction_NS_24const_host_device_scalarIT1_EES1_PKS1_PKT2_SA_S7_PKT4_PKT5_S5_PT6_21rocsparse_index_base_b.has_indirect_call, 0
	.section	.AMDGPU.csdata,"",@progbits
; Kernel info:
; codeLenInByte = 3888
; TotalNumSgprs: 24
; NumVgprs: 116
; NumAgprs: 0
; TotalNumVgprs: 116
; ScratchSize: 0
; MemoryBound: 0
; FloatMode: 240
; IeeeMode: 1
; LDSByteSize: 0 bytes/workgroup (compile time only)
; SGPRBlocks: 2
; VGPRBlocks: 14
; NumSGPRsForWavesPerEU: 24
; NumVGPRsForWavesPerEU: 116
; AccumOffset: 116
; Occupancy: 4
; WaveLimiterHint : 1
; COMPUTE_PGM_RSRC2:SCRATCH_EN: 0
; COMPUTE_PGM_RSRC2:USER_SGPR: 2
; COMPUTE_PGM_RSRC2:TRAP_HANDLER: 0
; COMPUTE_PGM_RSRC2:TGID_X_EN: 1
; COMPUTE_PGM_RSRC2:TGID_Y_EN: 0
; COMPUTE_PGM_RSRC2:TGID_Z_EN: 0
; COMPUTE_PGM_RSRC2:TIDIG_COMP_CNT: 0
; COMPUTE_PGM_RSRC3_GFX90A:ACCUM_OFFSET: 28
; COMPUTE_PGM_RSRC3_GFX90A:TG_SPLIT: 0
	.section	.text._ZN9rocsparseL18bsrxmvn_4x4_kernelILj128ELj8EdllfddEEvT3_20rocsparse_direction_NS_24const_host_device_scalarIT1_EES1_PKS1_PKT2_SA_S7_PKT4_PKT5_S5_PT6_21rocsparse_index_base_b,"axG",@progbits,_ZN9rocsparseL18bsrxmvn_4x4_kernelILj128ELj8EdllfddEEvT3_20rocsparse_direction_NS_24const_host_device_scalarIT1_EES1_PKS1_PKT2_SA_S7_PKT4_PKT5_S5_PT6_21rocsparse_index_base_b,comdat
	.globl	_ZN9rocsparseL18bsrxmvn_4x4_kernelILj128ELj8EdllfddEEvT3_20rocsparse_direction_NS_24const_host_device_scalarIT1_EES1_PKS1_PKT2_SA_S7_PKT4_PKT5_S5_PT6_21rocsparse_index_base_b ; -- Begin function _ZN9rocsparseL18bsrxmvn_4x4_kernelILj128ELj8EdllfddEEvT3_20rocsparse_direction_NS_24const_host_device_scalarIT1_EES1_PKS1_PKT2_SA_S7_PKT4_PKT5_S5_PT6_21rocsparse_index_base_b
	.p2align	8
	.type	_ZN9rocsparseL18bsrxmvn_4x4_kernelILj128ELj8EdllfddEEvT3_20rocsparse_direction_NS_24const_host_device_scalarIT1_EES1_PKS1_PKT2_SA_S7_PKT4_PKT5_S5_PT6_21rocsparse_index_base_b,@function
_ZN9rocsparseL18bsrxmvn_4x4_kernelILj128ELj8EdllfddEEvT3_20rocsparse_direction_NS_24const_host_device_scalarIT1_EES1_PKS1_PKT2_SA_S7_PKT4_PKT5_S5_PT6_21rocsparse_index_base_b: ; @_ZN9rocsparseL18bsrxmvn_4x4_kernelILj128ELj8EdllfddEEvT3_20rocsparse_direction_NS_24const_host_device_scalarIT1_EES1_PKS1_PKT2_SA_S7_PKT4_PKT5_S5_PT6_21rocsparse_index_base_b
; %bb.0:
	s_load_dwordx2 s[8:9], s[0:1], 0x60
	s_load_dwordx4 s[4:7], s[0:1], 0x10
	s_load_dwordx2 s[10:11], s[0:1], 0x50
	s_waitcnt lgkmcnt(0)
	s_bitcmp1_b32 s9, 0
	s_cselect_b64 s[14:15], -1, 0
	s_xor_b64 s[12:13], s[14:15], -1
	s_and_b64 vcc, exec, s[14:15]
	v_mov_b64_e32 v[14:15], s[4:5]
	s_cbranch_vccnz .LBB161_2
; %bb.1:
	v_mov_b64_e32 v[2:3], s[4:5]
	flat_load_dwordx2 v[14:15], v[2:3]
.LBB161_2:
	s_andn2_b64 vcc, exec, s[12:13]
	v_mov_b64_e32 v[12:13], s[10:11]
	s_cbranch_vccnz .LBB161_4
; %bb.3:
	v_mov_b64_e32 v[2:3], s[10:11]
	flat_load_dwordx2 v[12:13], v[2:3]
.LBB161_4:
	s_waitcnt vmcnt(0) lgkmcnt(0)
	v_cmp_neq_f64_e32 vcc, 0, v[14:15]
	v_cmp_neq_f64_e64 s[4:5], 1.0, v[12:13]
	s_mov_b64 s[10:11], 0
	s_or_b64 s[4:5], vcc, s[4:5]
	s_and_saveexec_b64 s[12:13], s[4:5]
	s_cbranch_execz .LBB161_10
; %bb.5:
	s_load_dwordx2 s[4:5], s[0:1], 0x20
	v_lshrrev_b32_e32 v1, 3, v0
	v_lshl_or_b32 v2, s2, 4, v1
	v_mov_b32_e32 v3, 0
	s_mov_b64 s[2:3], 0
	s_waitcnt lgkmcnt(0)
	s_cmp_lg_u64 s[4:5], 0
	s_cbranch_scc0 .LBB161_11
; %bb.6:
	v_cmp_gt_i64_e32 vcc, s[6:7], v[2:3]
                                        ; implicit-def: $vgpr16_vgpr17
                                        ; implicit-def: $vgpr18_vgpr19
	s_and_saveexec_b64 s[6:7], vcc
	s_xor_b64 s[6:7], exec, s[6:7]
	s_cbranch_execz .LBB161_8
; %bb.7:
	v_lshl_add_u64 v[4:5], v[2:3], 3, s[4:5]
	global_load_dwordx2 v[4:5], v[4:5], off
	s_mov_b32 s9, 0
	s_mov_b64 s[2:3], exec
	v_mov_b64_e32 v[18:19], s[8:9]
	s_waitcnt vmcnt(0)
	v_subrev_co_u32_e32 v16, vcc, s8, v4
	s_nop 1
	v_subbrev_co_u32_e32 v17, vcc, 0, v5, vcc
.LBB161_8:
	s_or_b64 exec, exec, s[6:7]
	s_mov_b64 s[10:11], s[2:3]
.LBB161_9:
	s_and_b64 exec, exec, s[10:11]
	s_cbranch_execnz .LBB161_15
.LBB161_10:
	s_endpgm
.LBB161_11:
                                        ; implicit-def: $vgpr16_vgpr17
                                        ; implicit-def: $vgpr18_vgpr19
	s_cbranch_execz .LBB161_9
; %bb.12:
	s_load_dwordx2 s[2:3], s[0:1], 0x0
	s_waitcnt lgkmcnt(0)
	v_cmp_gt_i64_e32 vcc, s[2:3], v[2:3]
	s_and_saveexec_b64 s[2:3], vcc
; %bb.13:
	s_mov_b32 s9, 0
	s_or_b64 s[10:11], s[10:11], exec
; %bb.14:
	s_or_b64 exec, exec, s[2:3]
	v_mov_b64_e32 v[18:19], s[8:9]
	v_mov_b64_e32 v[16:17], v[2:3]
	s_and_b64 exec, exec, s[10:11]
	s_cbranch_execz .LBB161_10
.LBB161_15:
	s_load_dwordx8 s[4:11], s[0:1], 0x28
	v_lshlrev_b64 v[2:3], 3, v[16:17]
	v_and_b32_e32 v20, 7, v0
	v_mov_b32_e32 v21, 0
	s_waitcnt lgkmcnt(0)
	v_lshl_add_u64 v[4:5], s[4:5], 0, v[2:3]
	s_cmp_eq_u64 s[6:7], 0
	v_lshl_add_u64 v[6:7], s[6:7], 0, v[2:3]
	global_load_dwordx2 v[2:3], v[4:5], off
	v_lshl_add_u64 v[4:5], v[4:5], 0, 8
	s_cselect_b64 vcc, -1, 0
	v_cndmask_b32_e32 v5, v7, v5, vcc
	v_cndmask_b32_e32 v4, v6, v4, vcc
	global_load_dwordx2 v[4:5], v[4:5], off
	s_load_dword s2, s[0:1], 0x8
	s_load_dwordx2 s[4:5], s[0:1], 0x48
	s_waitcnt lgkmcnt(0)
	s_cmp_eq_u32 s2, 1
	s_waitcnt vmcnt(1)
	v_sub_co_u32_e32 v0, vcc, v2, v18
	s_nop 1
	v_subb_co_u32_e32 v1, vcc, v3, v19, vcc
	v_lshl_add_u64 v[22:23], v[0:1], 0, v[20:21]
	s_waitcnt vmcnt(0)
	v_sub_co_u32_e32 v24, vcc, v4, v18
	v_lshlrev_b64 v[0:1], 6, v[22:23]
	s_nop 0
	v_subb_co_u32_e32 v25, vcc, v5, v19, vcc
	v_lshl_add_u64 v[26:27], s[10:11], 0, v[0:1]
	v_cmp_lt_i64_e64 s[2:3], v[22:23], v[24:25]
	s_cbranch_scc1 .LBB161_27
; %bb.16:
	v_mov_b64_e32 v[28:29], 0
	v_mov_b64_e32 v[30:31], 0
	;; [unrolled: 1-line block ×4, first 2 shown]
	s_and_saveexec_b64 s[6:7], s[2:3]
	s_cbranch_execz .LBB161_26
; %bb.17:
	v_or_b32_e32 v0, 8, v20
	v_sub_co_u32_e32 v0, vcc, v0, v18
	v_not_b32_e32 v5, v3
	s_nop 0
	v_subb_co_u32_e32 v1, vcc, 0, v19, vcc
	v_lshl_add_u64 v[0:1], v[0:1], 0, v[2:3]
	v_cmp_gt_i64_e32 vcc, v[0:1], v[24:25]
	v_not_b32_e32 v4, v2
	v_mov_b64_e32 v[34:35], 0
	v_cndmask_b32_e32 v1, v25, v1, vcc
	v_cndmask_b32_e32 v0, v24, v0, vcc
	v_sub_co_u32_e32 v6, vcc, v18, v20
	v_mov_b64_e32 v[32:33], 0
	s_nop 0
	v_subbrev_co_u32_e32 v7, vcc, 0, v19, vcc
	v_lshl_add_u64 v[4:5], v[6:7], 0, v[4:5]
	v_lshl_add_u64 v[6:7], v[4:5], 0, v[0:1]
	v_and_b32_e32 v0, 24, v6
	v_mov_b32_e32 v1, 0
	v_cmp_ne_u64_e32 vcc, 24, v[0:1]
	v_mov_b64_e32 v[30:31], 0
	v_mov_b64_e32 v[28:29], 0
	;; [unrolled: 1-line block ×4, first 2 shown]
	s_and_saveexec_b64 s[10:11], vcc
	s_cbranch_execz .LBB161_21
; %bb.18:
	v_lshrrev_b32_e32 v0, 3, v6
	v_add_u32_e32 v0, 1, v0
	v_and_b32_e32 v0, 3, v0
	v_sub_co_u32_e32 v10, vcc, 0, v0
	v_lshl_add_u64 v[8:9], v[22:23], 3, s[8:9]
	s_nop 0
	v_subb_co_u32_e64 v11, s[14:15], 0, 0, vcc
	s_mov_b64 s[12:13], 0
	v_mov_b64_e32 v[28:29], 0
	s_mov_b64 s[14:15], 0x200
	v_mov_b64_e32 v[4:5], v[26:27]
	v_mov_b64_e32 v[0:1], v[22:23]
	;; [unrolled: 1-line block ×5, first 2 shown]
.LBB161_19:                             ; =>This Inner Loop Header: Depth=1
	global_load_dwordx2 v[52:53], v[8:9], off
	global_load_dwordx4 v[36:39], v[4:5], off
	global_load_dwordx4 v[40:43], v[4:5], off offset:16
	global_load_dwordx4 v[44:47], v[4:5], off offset:32
	;; [unrolled: 1-line block ×3, first 2 shown]
	v_lshl_add_u64 v[10:11], v[10:11], 0, 1
	v_lshl_add_u64 v[4:5], v[4:5], 0, s[14:15]
	;; [unrolled: 1-line block ×4, first 2 shown]
	s_waitcnt vmcnt(4)
	v_sub_co_u32_e32 v52, vcc, v52, v18
	s_nop 1
	v_subb_co_u32_e32 v53, vcc, v53, v19, vcc
	v_lshlrev_b64 v[52:53], 5, v[52:53]
	v_lshl_add_u64 v[60:61], s[4:5], 0, v[52:53]
	global_load_dwordx4 v[52:55], v[60:61], off
	global_load_dwordx4 v[56:59], v[60:61], off offset:16
	s_waitcnt vmcnt(5)
	v_cvt_f64_f32_e32 v[60:61], v36
	s_waitcnt vmcnt(4)
	v_cvt_f64_f32_e32 v[64:65], v40
	;; [unrolled: 2-line block ×4, first 2 shown]
	v_cvt_f64_f32_e32 v[36:37], v37
	v_cvt_f64_f32_e32 v[40:41], v41
	;; [unrolled: 1-line block ×8, first 2 shown]
	v_cmp_eq_u64_e32 vcc, 0, v[10:11]
	v_cvt_f64_f32_e32 v[38:39], v39
	v_cvt_f64_f32_e32 v[42:43], v43
	;; [unrolled: 1-line block ×4, first 2 shown]
	s_or_b64 s[12:13], vcc, s[12:13]
	s_waitcnt vmcnt(1)
	v_fmac_f64_e32 v[34:35], v[60:61], v[52:53]
	v_fmac_f64_e32 v[32:33], v[64:65], v[52:53]
	;; [unrolled: 1-line block ×8, first 2 shown]
	s_waitcnt vmcnt(0)
	v_fmac_f64_e32 v[34:35], v[62:63], v[56:57]
	v_fmac_f64_e32 v[32:33], v[66:67], v[56:57]
	;; [unrolled: 1-line block ×8, first 2 shown]
	s_andn2_b64 exec, exec, s[12:13]
	s_cbranch_execnz .LBB161_19
; %bb.20:
	s_or_b64 exec, exec, s[12:13]
.LBB161_21:
	s_or_b64 exec, exec, s[10:11]
	v_cmp_lt_u64_e32 vcc, 23, v[6:7]
	s_and_saveexec_b64 s[10:11], vcc
	s_cbranch_execz .LBB161_25
; %bb.22:
	v_lshl_add_u64 v[6:7], v[0:1], 3, s[8:9]
	s_mov_b64 s[12:13], 0x80
	v_lshl_add_u64 v[6:7], v[6:7], 0, s[12:13]
	s_mov_b64 s[12:13], 0
	s_mov_b64 s[14:15], 0x800
	;; [unrolled: 1-line block ×3, first 2 shown]
.LBB161_23:                             ; =>This Inner Loop Header: Depth=1
	global_load_dwordx2 v[8:9], v[6:7], off offset:-128
	v_lshl_add_u64 v[0:1], v[0:1], 0, 32
	s_waitcnt vmcnt(0)
	v_sub_co_u32_e32 v48, vcc, v8, v18
	s_nop 1
	v_subb_co_u32_e32 v49, vcc, v9, v19, vcc
	v_lshlrev_b64 v[48:49], 5, v[48:49]
	global_load_dwordx4 v[8:11], v[4:5], off offset:48
	global_load_dwordx4 v[36:39], v[4:5], off offset:32
	;; [unrolled: 1-line block ×3, first 2 shown]
	global_load_dwordx4 v[44:47], v[4:5], off
	v_lshl_add_u64 v[58:59], s[4:5], 0, v[48:49]
	global_load_dwordx4 v[48:51], v[58:59], off offset:16
	global_load_dwordx4 v[52:55], v[58:59], off
	s_waitcnt vmcnt(2)
	v_cvt_f64_f32_e32 v[56:57], v44
	v_cvt_f64_f32_e32 v[44:45], v45
	s_waitcnt vmcnt(0)
	v_fmac_f64_e32 v[34:35], v[56:57], v[52:53]
	v_fmac_f64_e32 v[34:35], v[44:45], v[54:55]
	v_cvt_f64_f32_e32 v[44:45], v46
	v_fmac_f64_e32 v[34:35], v[44:45], v[48:49]
	v_cvt_f64_f32_e32 v[44:45], v47
	;; [unrolled: 2-line block ×14, first 2 shown]
	v_fmac_f64_e32 v[28:29], v[8:9], v[50:51]
	global_load_dwordx2 v[8:9], v[6:7], off offset:-64
	s_waitcnt vmcnt(0)
	v_sub_co_u32_e32 v48, vcc, v8, v18
	s_nop 1
	v_subb_co_u32_e32 v49, vcc, v9, v19, vcc
	v_lshlrev_b64 v[48:49], 5, v[48:49]
	global_load_dwordx4 v[8:11], v[4:5], off offset:560
	global_load_dwordx4 v[36:39], v[4:5], off offset:544
	global_load_dwordx4 v[40:43], v[4:5], off offset:528
	global_load_dwordx4 v[44:47], v[4:5], off offset:512
	v_lshl_add_u64 v[58:59], s[4:5], 0, v[48:49]
	global_load_dwordx4 v[48:51], v[58:59], off offset:16
	global_load_dwordx4 v[52:55], v[58:59], off
	s_waitcnt vmcnt(2)
	v_cvt_f64_f32_e32 v[56:57], v44
	v_cvt_f64_f32_e32 v[44:45], v45
	s_waitcnt vmcnt(0)
	v_fmac_f64_e32 v[34:35], v[56:57], v[52:53]
	v_fmac_f64_e32 v[34:35], v[44:45], v[54:55]
	v_cvt_f64_f32_e32 v[44:45], v46
	v_fmac_f64_e32 v[34:35], v[44:45], v[48:49]
	v_cvt_f64_f32_e32 v[44:45], v47
	;; [unrolled: 2-line block ×14, first 2 shown]
	v_fmac_f64_e32 v[28:29], v[8:9], v[50:51]
	global_load_dwordx2 v[8:9], v[6:7], off
	s_waitcnt vmcnt(0)
	v_sub_co_u32_e32 v48, vcc, v8, v18
	s_nop 1
	v_subb_co_u32_e32 v49, vcc, v9, v19, vcc
	v_lshlrev_b64 v[48:49], 5, v[48:49]
	global_load_dwordx4 v[8:11], v[4:5], off offset:1072
	global_load_dwordx4 v[36:39], v[4:5], off offset:1056
	;; [unrolled: 1-line block ×4, first 2 shown]
	v_lshl_add_u64 v[58:59], s[4:5], 0, v[48:49]
	global_load_dwordx4 v[48:51], v[58:59], off offset:16
	global_load_dwordx4 v[52:55], v[58:59], off
	s_waitcnt vmcnt(2)
	v_cvt_f64_f32_e32 v[56:57], v44
	v_cvt_f64_f32_e32 v[44:45], v45
	s_waitcnt vmcnt(0)
	v_fmac_f64_e32 v[34:35], v[56:57], v[52:53]
	v_fmac_f64_e32 v[34:35], v[44:45], v[54:55]
	v_cvt_f64_f32_e32 v[44:45], v46
	v_fmac_f64_e32 v[34:35], v[44:45], v[48:49]
	v_cvt_f64_f32_e32 v[44:45], v47
	;; [unrolled: 2-line block ×14, first 2 shown]
	v_fmac_f64_e32 v[28:29], v[8:9], v[50:51]
	global_load_dwordx2 v[8:9], v[6:7], off offset:64
	v_lshl_add_u64 v[6:7], v[6:7], 0, s[16:17]
	s_waitcnt vmcnt(0)
	v_sub_co_u32_e32 v48, vcc, v8, v18
	s_nop 1
	v_subb_co_u32_e32 v49, vcc, v9, v19, vcc
	v_lshlrev_b64 v[48:49], 5, v[48:49]
	global_load_dwordx4 v[8:11], v[4:5], off offset:1584
	global_load_dwordx4 v[36:39], v[4:5], off offset:1568
	;; [unrolled: 1-line block ×4, first 2 shown]
	v_lshl_add_u64 v[58:59], s[4:5], 0, v[48:49]
	global_load_dwordx4 v[48:51], v[58:59], off offset:16
	global_load_dwordx4 v[52:55], v[58:59], off
	v_cmp_ge_i64_e32 vcc, v[0:1], v[24:25]
	v_lshl_add_u64 v[4:5], v[4:5], 0, s[14:15]
	s_or_b64 s[12:13], vcc, s[12:13]
	s_waitcnt vmcnt(2)
	v_cvt_f64_f32_e32 v[56:57], v44
	v_cvt_f64_f32_e32 v[44:45], v45
	s_waitcnt vmcnt(0)
	v_fmac_f64_e32 v[34:35], v[56:57], v[52:53]
	v_fmac_f64_e32 v[34:35], v[44:45], v[54:55]
	v_cvt_f64_f32_e32 v[44:45], v46
	v_fmac_f64_e32 v[34:35], v[44:45], v[48:49]
	v_cvt_f64_f32_e32 v[44:45], v47
	v_fmac_f64_e32 v[34:35], v[44:45], v[50:51]
	v_cvt_f64_f32_e32 v[44:45], v40
	v_fmac_f64_e32 v[32:33], v[44:45], v[52:53]
	v_cvt_f64_f32_e32 v[40:41], v41
	v_fmac_f64_e32 v[32:33], v[40:41], v[54:55]
	v_cvt_f64_f32_e32 v[40:41], v42
	v_fmac_f64_e32 v[32:33], v[40:41], v[48:49]
	v_cvt_f64_f32_e32 v[40:41], v43
	v_fmac_f64_e32 v[32:33], v[40:41], v[50:51]
	v_cvt_f64_f32_e32 v[40:41], v36
	v_fmac_f64_e32 v[30:31], v[40:41], v[52:53]
	v_cvt_f64_f32_e32 v[36:37], v37
	v_fmac_f64_e32 v[30:31], v[36:37], v[54:55]
	v_cvt_f64_f32_e32 v[36:37], v38
	v_fmac_f64_e32 v[30:31], v[36:37], v[48:49]
	v_cvt_f64_f32_e32 v[36:37], v39
	v_fmac_f64_e32 v[30:31], v[36:37], v[50:51]
	v_cvt_f64_f32_e32 v[36:37], v8
	v_fmac_f64_e32 v[28:29], v[36:37], v[52:53]
	v_cvt_f64_f32_e32 v[8:9], v9
	v_fmac_f64_e32 v[28:29], v[8:9], v[54:55]
	v_cvt_f64_f32_e32 v[8:9], v10
	v_fmac_f64_e32 v[28:29], v[8:9], v[48:49]
	v_cvt_f64_f32_e32 v[8:9], v11
	v_fmac_f64_e32 v[28:29], v[8:9], v[50:51]
	s_andn2_b64 exec, exec, s[12:13]
	s_cbranch_execnz .LBB161_23
; %bb.24:
	s_or_b64 exec, exec, s[12:13]
.LBB161_25:
	s_or_b64 exec, exec, s[10:11]
.LBB161_26:
	s_or_b64 exec, exec, s[6:7]
	s_cbranch_execz .LBB161_28
	s_branch .LBB161_39
.LBB161_27:
                                        ; implicit-def: $vgpr28_vgpr29
                                        ; implicit-def: $vgpr30_vgpr31
                                        ; implicit-def: $vgpr32_vgpr33
                                        ; implicit-def: $vgpr34_vgpr35
.LBB161_28:
	v_mov_b64_e32 v[28:29], 0
	v_mov_b64_e32 v[30:31], 0
	;; [unrolled: 1-line block ×4, first 2 shown]
	s_and_saveexec_b64 s[6:7], s[2:3]
	s_cbranch_execz .LBB161_38
; %bb.29:
	v_or_b32_e32 v0, 8, v20
	v_sub_co_u32_e32 v0, vcc, v0, v18
	v_mov_b64_e32 v[34:35], 0
	s_nop 0
	v_subb_co_u32_e32 v1, vcc, 0, v19, vcc
	v_lshl_add_u64 v[0:1], v[0:1], 0, v[2:3]
	v_cmp_gt_i64_e32 vcc, v[0:1], v[24:25]
	v_not_b32_e32 v3, v3
	v_not_b32_e32 v2, v2
	v_cndmask_b32_e32 v1, v25, v1, vcc
	v_cndmask_b32_e32 v0, v24, v0, vcc
	v_sub_co_u32_e32 v4, vcc, v18, v20
	v_mov_b64_e32 v[32:33], 0
	s_nop 0
	v_subbrev_co_u32_e32 v5, vcc, 0, v19, vcc
	v_lshl_add_u64 v[2:3], v[4:5], 0, v[2:3]
	v_lshl_add_u64 v[0:1], v[2:3], 0, v[0:1]
	v_and_b32_e32 v2, 24, v0
	v_mov_b32_e32 v3, 0
	v_cmp_ne_u64_e32 vcc, 24, v[2:3]
	v_mov_b64_e32 v[30:31], 0
	v_mov_b64_e32 v[28:29], 0
	s_and_saveexec_b64 s[2:3], vcc
	s_cbranch_execz .LBB161_33
; %bb.30:
	v_lshrrev_b32_e32 v2, 3, v0
	v_add_u32_e32 v2, 1, v2
	v_and_b32_e32 v4, 3, v2
	v_sub_co_u32_e32 v4, vcc, 0, v4
	v_lshl_add_u64 v[2:3], v[22:23], 3, s[8:9]
	s_nop 0
	v_subb_co_u32_e64 v5, s[12:13], 0, 0, vcc
	s_mov_b64 s[10:11], 0
	v_mov_b64_e32 v[28:29], 0
	s_mov_b64 s[12:13], 0x200
	v_mov_b64_e32 v[30:31], 0
	v_mov_b64_e32 v[32:33], 0
	;; [unrolled: 1-line block ×3, first 2 shown]
.LBB161_31:                             ; =>This Inner Loop Header: Depth=1
	global_load_dwordx2 v[10:11], v[2:3], off
	global_load_dwordx4 v[6:9], v[26:27], off
	global_load_dwordx4 v[36:39], v[26:27], off offset:16
	global_load_dwordx4 v[40:43], v[26:27], off offset:32
	v_lshl_add_u64 v[4:5], v[4:5], 0, 1
	v_lshl_add_u64 v[22:23], v[22:23], 0, 8
	;; [unrolled: 1-line block ×3, first 2 shown]
	s_waitcnt vmcnt(3)
	v_sub_co_u32_e32 v10, vcc, v10, v18
	s_nop 1
	v_subb_co_u32_e32 v11, vcc, v11, v19, vcc
	v_lshlrev_b64 v[10:11], 5, v[10:11]
	v_lshl_add_u64 v[10:11], s[4:5], 0, v[10:11]
	global_load_dwordx4 v[44:47], v[10:11], off offset:16
	global_load_dwordx4 v[48:51], v[10:11], off
	global_load_dwordx4 v[52:55], v[26:27], off offset:48
	s_waitcnt vmcnt(5)
	v_cvt_f64_f32_e32 v[10:11], v6
	v_cvt_f64_f32_e32 v[6:7], v7
	v_cvt_f64_f32_e32 v[56:57], v8
	v_cvt_f64_f32_e32 v[8:9], v9
	s_waitcnt vmcnt(4)
	v_cvt_f64_f32_e32 v[58:59], v36
	v_cvt_f64_f32_e32 v[36:37], v37
	v_cvt_f64_f32_e32 v[60:61], v38
	v_cvt_f64_f32_e32 v[38:39], v39
	;; [unrolled: 5-line block ×3, first 2 shown]
	v_cmp_eq_u64_e32 vcc, 0, v[4:5]
	v_lshl_add_u64 v[26:27], v[26:27], 0, s[12:13]
	s_or_b64 s[10:11], vcc, s[10:11]
	s_waitcnt vmcnt(1)
	v_fmac_f64_e32 v[34:35], v[10:11], v[48:49]
	v_fmac_f64_e32 v[32:33], v[6:7], v[48:49]
	;; [unrolled: 1-line block ×8, first 2 shown]
	s_waitcnt vmcnt(0)
	v_cvt_f64_f32_e32 v[66:67], v52
	v_cvt_f64_f32_e32 v[52:53], v53
	;; [unrolled: 1-line block ×4, first 2 shown]
	v_fmac_f64_e32 v[34:35], v[62:63], v[44:45]
	v_fmac_f64_e32 v[32:33], v[40:41], v[44:45]
	;; [unrolled: 1-line block ×8, first 2 shown]
	s_andn2_b64 exec, exec, s[10:11]
	s_cbranch_execnz .LBB161_31
; %bb.32:
	s_or_b64 exec, exec, s[10:11]
.LBB161_33:
	s_or_b64 exec, exec, s[2:3]
	v_cmp_lt_u64_e32 vcc, 23, v[0:1]
	s_and_saveexec_b64 s[2:3], vcc
	s_cbranch_execz .LBB161_37
; %bb.34:
	v_lshl_add_u64 v[0:1], v[22:23], 3, s[8:9]
	s_mov_b64 s[8:9], 0x80
	v_lshl_add_u64 v[36:37], v[0:1], 0, s[8:9]
	s_mov_b64 s[8:9], 0
	s_mov_b64 s[10:11], 0x800
	;; [unrolled: 1-line block ×3, first 2 shown]
.LBB161_35:                             ; =>This Inner Loop Header: Depth=1
	global_load_dwordx4 v[38:41], v[26:27], off
	global_load_dwordx4 v[8:11], v[26:27], off offset:16
	global_load_dwordx4 v[4:7], v[26:27], off offset:32
	;; [unrolled: 1-line block ×7, first 2 shown]
	v_lshl_add_u64 v[22:23], v[22:23], 0, 32
	s_waitcnt vmcnt(7)
	v_cvt_f64_f32_e32 v[58:59], v38
	v_cvt_f64_f32_e32 v[60:61], v40
	s_waitcnt vmcnt(5)
	v_cvt_f64_f32_e32 v[66:67], v4
	s_waitcnt vmcnt(4)
	v_cvt_f64_f32_e32 v[74:75], v0
	v_cvt_f64_f32_e32 v[76:77], v1
	global_load_dwordx2 v[0:1], v[36:37], off offset:-128
	s_waitcnt vmcnt(3)
	v_cvt_f64_f32_e32 v[94:95], v48
	v_cvt_f64_f32_e32 v[96:97], v49
	;; [unrolled: 1-line block ×11, first 2 shown]
	global_load_dwordx4 v[4:7], v[26:27], off offset:1024
	global_load_dwordx4 v[44:47], v[26:27], off offset:1040
	v_cvt_f64_f32_e32 v[40:41], v41
	v_cvt_f64_f32_e32 v[38:39], v39
	;; [unrolled: 1-line block ×8, first 2 shown]
	s_waitcnt vmcnt(4)
	v_cvt_f64_f32_e32 v[98:99], v50
	v_cvt_f64_f32_e32 v[100:101], v51
	;; [unrolled: 1-line block ×3, first 2 shown]
	s_waitcnt vmcnt(3)
	v_cvt_f64_f32_e32 v[106:107], v54
	v_cvt_f64_f32_e32 v[104:105], v53
	;; [unrolled: 1-line block ×5, first 2 shown]
	s_waitcnt vmcnt(2)
	v_sub_co_u32_e32 v0, vcc, v0, v18
	s_nop 1
	v_subb_co_u32_e32 v1, vcc, v1, v19, vcc
	v_lshlrev_b64 v[0:1], 5, v[0:1]
	v_lshl_add_u64 v[48:49], s[4:5], 0, v[0:1]
	global_load_dwordx4 v[0:3], v[48:49], off
	s_waitcnt vmcnt(2)
	v_cvt_f64_f32_e32 v[52:53], v4
	v_cvt_f64_f32_e32 v[54:55], v5
	;; [unrolled: 1-line block ×4, first 2 shown]
	s_waitcnt vmcnt(0)
	v_fmac_f64_e32 v[34:35], v[58:59], v[0:1]
	global_load_dwordx2 v[58:59], v[36:37], off offset:-64
	v_fmac_f64_e32 v[28:29], v[40:41], v[0:1]
	v_fmac_f64_e32 v[32:33], v[38:39], v[0:1]
	;; [unrolled: 1-line block ×4, first 2 shown]
	v_cvt_f64_f32_e32 v[38:39], v44
	v_cvt_f64_f32_e32 v[40:41], v45
	;; [unrolled: 1-line block ×4, first 2 shown]
	global_load_dwordx4 v[44:47], v[48:49], off offset:16
	v_fmac_f64_e32 v[34:35], v[62:63], v[2:3]
	v_fmac_f64_e32 v[32:33], v[8:9], v[2:3]
	;; [unrolled: 1-line block ×3, first 2 shown]
	global_load_dwordx4 v[6:9], v[26:27], off offset:1056
	global_load_dwordx4 v[62:65], v[26:27], off offset:1536
	s_waitcnt vmcnt(3)
	v_sub_co_u32_e32 v58, vcc, v58, v18
	s_nop 1
	v_subb_co_u32_e32 v59, vcc, v59, v19, vcc
	v_lshlrev_b64 v[58:59], 5, v[58:59]
	v_lshl_add_u64 v[114:115], s[4:5], 0, v[58:59]
	global_load_dwordx4 v[58:61], v[114:115], off
	global_load_dwordx4 v[48:51], v[26:27], off offset:1072
	s_waitcnt vmcnt(4)
	v_fmac_f64_e32 v[34:35], v[66:67], v[44:45]
	v_fmac_f64_e32 v[34:35], v[74:75], v[46:47]
	;; [unrolled: 1-line block ×8, first 2 shown]
	global_load_dwordx4 v[70:73], v[26:27], off offset:1552
	global_load_dwordx4 v[78:81], v[26:27], off offset:1568
	s_waitcnt vmcnt(5)
	v_cvt_f64_f32_e32 v[2:3], v6
	v_cvt_f64_f32_e32 v[4:5], v7
	;; [unrolled: 1-line block ×4, first 2 shown]
	s_waitcnt vmcnt(3)
	v_fmac_f64_e32 v[34:35], v[82:83], v[58:59]
	v_fmac_f64_e32 v[34:35], v[90:91], v[60:61]
	global_load_dwordx2 v[90:91], v[36:37], off
	v_fmac_f64_e32 v[32:33], v[84:85], v[58:59]
	v_fmac_f64_e32 v[32:33], v[92:93], v[60:61]
	global_load_dwordx2 v[92:93], v[36:37], off offset:64
	v_fmac_f64_e32 v[30:31], v[86:87], v[58:59]
	v_fmac_f64_e32 v[28:29], v[88:89], v[58:59]
	global_load_dwordx4 v[82:85], v[114:115], off offset:16
	v_fmac_f64_e32 v[30:31], v[94:95], v[60:61]
	v_fmac_f64_e32 v[28:29], v[96:97], v[60:61]
	global_load_dwordx4 v[86:89], v[26:27], off offset:1584
	s_waitcnt vmcnt(6)
	v_cvt_f64_f32_e32 v[44:45], v48
	v_cvt_f64_f32_e32 v[46:47], v49
	v_cvt_f64_f32_e32 v[48:49], v50
	v_cvt_f64_f32_e32 v[50:51], v51
	v_cvt_f64_f32_e32 v[58:59], v62
	v_cvt_f64_f32_e32 v[60:61], v63
	v_cvt_f64_f32_e32 v[62:63], v64
	v_cvt_f64_f32_e32 v[64:65], v65
	s_waitcnt vmcnt(5)
	v_cvt_f64_f32_e32 v[66:67], v70
	v_cvt_f64_f32_e32 v[68:69], v71
	;; [unrolled: 1-line block ×4, first 2 shown]
	s_waitcnt vmcnt(4)
	v_cvt_f64_f32_e32 v[74:75], v78
	v_cvt_f64_f32_e32 v[76:77], v79
	;; [unrolled: 1-line block ×4, first 2 shown]
	v_lshl_add_u64 v[26:27], v[26:27], 0, s[10:11]
	v_lshl_add_u64 v[36:37], v[36:37], 0, s[12:13]
	s_waitcnt vmcnt(3)
	v_sub_co_u32_e32 v90, vcc, v90, v18
	s_nop 1
	v_subb_co_u32_e32 v91, vcc, v91, v19, vcc
	v_lshlrev_b64 v[90:91], 5, v[90:91]
	s_waitcnt vmcnt(2)
	v_sub_co_u32_e32 v94, vcc, v92, v18
	v_lshl_add_u64 v[96:97], s[4:5], 0, v[90:91]
	s_nop 0
	v_subb_co_u32_e32 v95, vcc, v93, v19, vcc
	global_load_dwordx4 v[90:93], v[96:97], off
	s_waitcnt vmcnt(2)
	v_fmac_f64_e32 v[34:35], v[98:99], v[82:83]
	v_fmac_f64_e32 v[32:33], v[100:101], v[82:83]
	;; [unrolled: 1-line block ×8, first 2 shown]
	s_waitcnt vmcnt(1)
	v_cvt_f64_f32_e32 v[82:83], v86
	v_cvt_f64_f32_e32 v[84:85], v87
	;; [unrolled: 1-line block ×4, first 2 shown]
	v_cmp_ge_i64_e32 vcc, v[22:23], v[24:25]
	s_or_b64 s[8:9], vcc, s[8:9]
	s_waitcnt vmcnt(0)
	v_fmac_f64_e32 v[34:35], v[52:53], v[90:91]
	v_lshlrev_b64 v[52:53], 5, v[94:95]
	v_fmac_f64_e32 v[32:33], v[54:55], v[90:91]
	v_fmac_f64_e32 v[30:31], v[56:57], v[90:91]
	v_lshl_add_u64 v[56:57], s[4:5], 0, v[52:53]
	global_load_dwordx4 v[52:55], v[96:97], off offset:16
	v_fmac_f64_e32 v[34:35], v[38:39], v[92:93]
	v_fmac_f64_e32 v[32:33], v[40:41], v[92:93]
	global_load_dwordx4 v[38:41], v[56:57], off
	global_load_dwordx4 v[94:97], v[56:57], off offset:16
	v_fmac_f64_e32 v[28:29], v[42:43], v[90:91]
	v_fmac_f64_e32 v[30:31], v[10:11], v[92:93]
	v_fmac_f64_e32 v[28:29], v[0:1], v[92:93]
	s_waitcnt vmcnt(2)
	v_fmac_f64_e32 v[34:35], v[2:3], v[52:53]
	v_fmac_f64_e32 v[32:33], v[4:5], v[52:53]
	v_fmac_f64_e32 v[30:31], v[6:7], v[52:53]
	v_fmac_f64_e32 v[28:29], v[8:9], v[52:53]
	v_fmac_f64_e32 v[34:35], v[44:45], v[54:55]
	v_fmac_f64_e32 v[32:33], v[46:47], v[54:55]
	v_fmac_f64_e32 v[30:31], v[48:49], v[54:55]
	v_fmac_f64_e32 v[28:29], v[50:51], v[54:55]
	s_waitcnt vmcnt(1)
	v_fmac_f64_e32 v[34:35], v[58:59], v[38:39]
	v_fmac_f64_e32 v[32:33], v[60:61], v[38:39]
	v_fmac_f64_e32 v[30:31], v[62:63], v[38:39]
	v_fmac_f64_e32 v[28:29], v[64:65], v[38:39]
	v_fmac_f64_e32 v[34:35], v[66:67], v[40:41]
	;; [unrolled: 9-line block ×3, first 2 shown]
	v_fmac_f64_e32 v[32:33], v[84:85], v[96:97]
	v_fmac_f64_e32 v[30:31], v[86:87], v[96:97]
	;; [unrolled: 1-line block ×3, first 2 shown]
	s_andn2_b64 exec, exec, s[8:9]
	s_cbranch_execnz .LBB161_35
; %bb.36:
	s_or_b64 exec, exec, s[8:9]
.LBB161_37:
	s_or_b64 exec, exec, s[2:3]
.LBB161_38:
	s_or_b64 exec, exec, s[6:7]
.LBB161_39:
	v_mov_b32_dpp v0, v34 row_shr:1 row_mask:0xf bank_mask:0xf
	v_mov_b32_dpp v1, v35 row_shr:1 row_mask:0xf bank_mask:0xf
	;; [unrolled: 1-line block ×8, first 2 shown]
	v_add_f64 v[0:1], v[34:35], v[0:1]
	v_add_f64 v[4:5], v[32:33], v[4:5]
	;; [unrolled: 1-line block ×4, first 2 shown]
	v_mov_b32_dpp v2, v0 row_shr:2 row_mask:0xf bank_mask:0xf
	v_mov_b32_dpp v3, v1 row_shr:2 row_mask:0xf bank_mask:0xf
	;; [unrolled: 1-line block ×8, first 2 shown]
	v_add_f64 v[0:1], v[0:1], v[2:3]
	v_add_f64 v[4:5], v[4:5], v[6:7]
	;; [unrolled: 1-line block ×4, first 2 shown]
	v_mov_b32_dpp v2, v0 row_shr:4 row_mask:0xf bank_mask:0xe
	v_mov_b32_dpp v3, v1 row_shr:4 row_mask:0xf bank_mask:0xe
	;; [unrolled: 1-line block ×8, first 2 shown]
	v_cmp_eq_u32_e32 vcc, 7, v20
	s_and_b64 exec, exec, vcc
	s_cbranch_execz .LBB161_10
; %bb.40:
	s_load_dwordx2 s[0:1], s[0:1], 0x58
	v_add_f64 v[0:1], v[0:1], v[2:3]
	v_add_f64 v[2:3], v[4:5], v[6:7]
	;; [unrolled: 1-line block ×4, first 2 shown]
	v_cmp_eq_f64_e32 vcc, 0, v[12:13]
	v_mul_f64 v[4:5], v[14:15], v[0:1]
	v_mul_f64 v[6:7], v[14:15], v[2:3]
	;; [unrolled: 1-line block ×4, first 2 shown]
	v_lshlrev_b64 v[8:9], 5, v[16:17]
	s_and_saveexec_b64 s[2:3], vcc
	s_xor_b64 s[2:3], exec, s[2:3]
	s_cbranch_execz .LBB161_42
; %bb.41:
	s_waitcnt lgkmcnt(0)
	v_lshl_add_u64 v[8:9], s[0:1], 0, v[8:9]
	global_store_dwordx4 v[8:9], v[4:7], off
	global_store_dwordx4 v[8:9], v[0:3], off offset:16
                                        ; implicit-def: $vgpr8_vgpr9
                                        ; implicit-def: $vgpr12_vgpr13
                                        ; implicit-def: $vgpr4_vgpr5
                                        ; implicit-def: $vgpr0_vgpr1
.LBB161_42:
	s_andn2_saveexec_b64 s[2:3], s[2:3]
	s_cbranch_execz .LBB161_10
; %bb.43:
	s_waitcnt lgkmcnt(0)
	v_lshl_add_u64 v[18:19], s[0:1], 0, v[8:9]
	global_load_dwordx4 v[8:11], v[18:19], off
	global_load_dwordx4 v[14:17], v[18:19], off offset:16
	s_waitcnt vmcnt(1)
	v_fmac_f64_e32 v[4:5], v[12:13], v[8:9]
	v_fmac_f64_e32 v[6:7], v[12:13], v[10:11]
	s_waitcnt vmcnt(0)
	v_fmac_f64_e32 v[0:1], v[12:13], v[14:15]
	v_fmac_f64_e32 v[2:3], v[12:13], v[16:17]
	global_store_dwordx4 v[18:19], v[4:7], off
	global_store_dwordx4 v[18:19], v[0:3], off offset:16
	s_endpgm
	.section	.rodata,"a",@progbits
	.p2align	6, 0x0
	.amdhsa_kernel _ZN9rocsparseL18bsrxmvn_4x4_kernelILj128ELj8EdllfddEEvT3_20rocsparse_direction_NS_24const_host_device_scalarIT1_EES1_PKS1_PKT2_SA_S7_PKT4_PKT5_S5_PT6_21rocsparse_index_base_b
		.amdhsa_group_segment_fixed_size 0
		.amdhsa_private_segment_fixed_size 0
		.amdhsa_kernarg_size 104
		.amdhsa_user_sgpr_count 2
		.amdhsa_user_sgpr_dispatch_ptr 0
		.amdhsa_user_sgpr_queue_ptr 0
		.amdhsa_user_sgpr_kernarg_segment_ptr 1
		.amdhsa_user_sgpr_dispatch_id 0
		.amdhsa_user_sgpr_kernarg_preload_length 0
		.amdhsa_user_sgpr_kernarg_preload_offset 0
		.amdhsa_user_sgpr_private_segment_size 0
		.amdhsa_uses_dynamic_stack 0
		.amdhsa_enable_private_segment 0
		.amdhsa_system_sgpr_workgroup_id_x 1
		.amdhsa_system_sgpr_workgroup_id_y 0
		.amdhsa_system_sgpr_workgroup_id_z 0
		.amdhsa_system_sgpr_workgroup_info 0
		.amdhsa_system_vgpr_workitem_id 0
		.amdhsa_next_free_vgpr 116
		.amdhsa_next_free_sgpr 18
		.amdhsa_accum_offset 116
		.amdhsa_reserve_vcc 1
		.amdhsa_float_round_mode_32 0
		.amdhsa_float_round_mode_16_64 0
		.amdhsa_float_denorm_mode_32 3
		.amdhsa_float_denorm_mode_16_64 3
		.amdhsa_dx10_clamp 1
		.amdhsa_ieee_mode 1
		.amdhsa_fp16_overflow 0
		.amdhsa_tg_split 0
		.amdhsa_exception_fp_ieee_invalid_op 0
		.amdhsa_exception_fp_denorm_src 0
		.amdhsa_exception_fp_ieee_div_zero 0
		.amdhsa_exception_fp_ieee_overflow 0
		.amdhsa_exception_fp_ieee_underflow 0
		.amdhsa_exception_fp_ieee_inexact 0
		.amdhsa_exception_int_div_zero 0
	.end_amdhsa_kernel
	.section	.text._ZN9rocsparseL18bsrxmvn_4x4_kernelILj128ELj8EdllfddEEvT3_20rocsparse_direction_NS_24const_host_device_scalarIT1_EES1_PKS1_PKT2_SA_S7_PKT4_PKT5_S5_PT6_21rocsparse_index_base_b,"axG",@progbits,_ZN9rocsparseL18bsrxmvn_4x4_kernelILj128ELj8EdllfddEEvT3_20rocsparse_direction_NS_24const_host_device_scalarIT1_EES1_PKS1_PKT2_SA_S7_PKT4_PKT5_S5_PT6_21rocsparse_index_base_b,comdat
.Lfunc_end161:
	.size	_ZN9rocsparseL18bsrxmvn_4x4_kernelILj128ELj8EdllfddEEvT3_20rocsparse_direction_NS_24const_host_device_scalarIT1_EES1_PKS1_PKT2_SA_S7_PKT4_PKT5_S5_PT6_21rocsparse_index_base_b, .Lfunc_end161-_ZN9rocsparseL18bsrxmvn_4x4_kernelILj128ELj8EdllfddEEvT3_20rocsparse_direction_NS_24const_host_device_scalarIT1_EES1_PKS1_PKT2_SA_S7_PKT4_PKT5_S5_PT6_21rocsparse_index_base_b
                                        ; -- End function
	.set _ZN9rocsparseL18bsrxmvn_4x4_kernelILj128ELj8EdllfddEEvT3_20rocsparse_direction_NS_24const_host_device_scalarIT1_EES1_PKS1_PKT2_SA_S7_PKT4_PKT5_S5_PT6_21rocsparse_index_base_b.num_vgpr, 116
	.set _ZN9rocsparseL18bsrxmvn_4x4_kernelILj128ELj8EdllfddEEvT3_20rocsparse_direction_NS_24const_host_device_scalarIT1_EES1_PKS1_PKT2_SA_S7_PKT4_PKT5_S5_PT6_21rocsparse_index_base_b.num_agpr, 0
	.set _ZN9rocsparseL18bsrxmvn_4x4_kernelILj128ELj8EdllfddEEvT3_20rocsparse_direction_NS_24const_host_device_scalarIT1_EES1_PKS1_PKT2_SA_S7_PKT4_PKT5_S5_PT6_21rocsparse_index_base_b.numbered_sgpr, 18
	.set _ZN9rocsparseL18bsrxmvn_4x4_kernelILj128ELj8EdllfddEEvT3_20rocsparse_direction_NS_24const_host_device_scalarIT1_EES1_PKS1_PKT2_SA_S7_PKT4_PKT5_S5_PT6_21rocsparse_index_base_b.num_named_barrier, 0
	.set _ZN9rocsparseL18bsrxmvn_4x4_kernelILj128ELj8EdllfddEEvT3_20rocsparse_direction_NS_24const_host_device_scalarIT1_EES1_PKS1_PKT2_SA_S7_PKT4_PKT5_S5_PT6_21rocsparse_index_base_b.private_seg_size, 0
	.set _ZN9rocsparseL18bsrxmvn_4x4_kernelILj128ELj8EdllfddEEvT3_20rocsparse_direction_NS_24const_host_device_scalarIT1_EES1_PKS1_PKT2_SA_S7_PKT4_PKT5_S5_PT6_21rocsparse_index_base_b.uses_vcc, 1
	.set _ZN9rocsparseL18bsrxmvn_4x4_kernelILj128ELj8EdllfddEEvT3_20rocsparse_direction_NS_24const_host_device_scalarIT1_EES1_PKS1_PKT2_SA_S7_PKT4_PKT5_S5_PT6_21rocsparse_index_base_b.uses_flat_scratch, 0
	.set _ZN9rocsparseL18bsrxmvn_4x4_kernelILj128ELj8EdllfddEEvT3_20rocsparse_direction_NS_24const_host_device_scalarIT1_EES1_PKS1_PKT2_SA_S7_PKT4_PKT5_S5_PT6_21rocsparse_index_base_b.has_dyn_sized_stack, 0
	.set _ZN9rocsparseL18bsrxmvn_4x4_kernelILj128ELj8EdllfddEEvT3_20rocsparse_direction_NS_24const_host_device_scalarIT1_EES1_PKS1_PKT2_SA_S7_PKT4_PKT5_S5_PT6_21rocsparse_index_base_b.has_recursion, 0
	.set _ZN9rocsparseL18bsrxmvn_4x4_kernelILj128ELj8EdllfddEEvT3_20rocsparse_direction_NS_24const_host_device_scalarIT1_EES1_PKS1_PKT2_SA_S7_PKT4_PKT5_S5_PT6_21rocsparse_index_base_b.has_indirect_call, 0
	.section	.AMDGPU.csdata,"",@progbits
; Kernel info:
; codeLenInByte = 4000
; TotalNumSgprs: 24
; NumVgprs: 116
; NumAgprs: 0
; TotalNumVgprs: 116
; ScratchSize: 0
; MemoryBound: 0
; FloatMode: 240
; IeeeMode: 1
; LDSByteSize: 0 bytes/workgroup (compile time only)
; SGPRBlocks: 2
; VGPRBlocks: 14
; NumSGPRsForWavesPerEU: 24
; NumVGPRsForWavesPerEU: 116
; AccumOffset: 116
; Occupancy: 4
; WaveLimiterHint : 1
; COMPUTE_PGM_RSRC2:SCRATCH_EN: 0
; COMPUTE_PGM_RSRC2:USER_SGPR: 2
; COMPUTE_PGM_RSRC2:TRAP_HANDLER: 0
; COMPUTE_PGM_RSRC2:TGID_X_EN: 1
; COMPUTE_PGM_RSRC2:TGID_Y_EN: 0
; COMPUTE_PGM_RSRC2:TGID_Z_EN: 0
; COMPUTE_PGM_RSRC2:TIDIG_COMP_CNT: 0
; COMPUTE_PGM_RSRC3_GFX90A:ACCUM_OFFSET: 28
; COMPUTE_PGM_RSRC3_GFX90A:TG_SPLIT: 0
	.section	.text._ZN9rocsparseL18bsrxmvn_4x4_kernelILj128ELj16EdllfddEEvT3_20rocsparse_direction_NS_24const_host_device_scalarIT1_EES1_PKS1_PKT2_SA_S7_PKT4_PKT5_S5_PT6_21rocsparse_index_base_b,"axG",@progbits,_ZN9rocsparseL18bsrxmvn_4x4_kernelILj128ELj16EdllfddEEvT3_20rocsparse_direction_NS_24const_host_device_scalarIT1_EES1_PKS1_PKT2_SA_S7_PKT4_PKT5_S5_PT6_21rocsparse_index_base_b,comdat
	.globl	_ZN9rocsparseL18bsrxmvn_4x4_kernelILj128ELj16EdllfddEEvT3_20rocsparse_direction_NS_24const_host_device_scalarIT1_EES1_PKS1_PKT2_SA_S7_PKT4_PKT5_S5_PT6_21rocsparse_index_base_b ; -- Begin function _ZN9rocsparseL18bsrxmvn_4x4_kernelILj128ELj16EdllfddEEvT3_20rocsparse_direction_NS_24const_host_device_scalarIT1_EES1_PKS1_PKT2_SA_S7_PKT4_PKT5_S5_PT6_21rocsparse_index_base_b
	.p2align	8
	.type	_ZN9rocsparseL18bsrxmvn_4x4_kernelILj128ELj16EdllfddEEvT3_20rocsparse_direction_NS_24const_host_device_scalarIT1_EES1_PKS1_PKT2_SA_S7_PKT4_PKT5_S5_PT6_21rocsparse_index_base_b,@function
_ZN9rocsparseL18bsrxmvn_4x4_kernelILj128ELj16EdllfddEEvT3_20rocsparse_direction_NS_24const_host_device_scalarIT1_EES1_PKS1_PKT2_SA_S7_PKT4_PKT5_S5_PT6_21rocsparse_index_base_b: ; @_ZN9rocsparseL18bsrxmvn_4x4_kernelILj128ELj16EdllfddEEvT3_20rocsparse_direction_NS_24const_host_device_scalarIT1_EES1_PKS1_PKT2_SA_S7_PKT4_PKT5_S5_PT6_21rocsparse_index_base_b
; %bb.0:
	s_load_dwordx2 s[8:9], s[0:1], 0x60
	s_load_dwordx4 s[4:7], s[0:1], 0x10
	s_load_dwordx2 s[10:11], s[0:1], 0x50
	s_waitcnt lgkmcnt(0)
	s_bitcmp1_b32 s9, 0
	s_cselect_b64 s[14:15], -1, 0
	s_xor_b64 s[12:13], s[14:15], -1
	s_and_b64 vcc, exec, s[14:15]
	v_mov_b64_e32 v[14:15], s[4:5]
	s_cbranch_vccnz .LBB162_2
; %bb.1:
	v_mov_b64_e32 v[2:3], s[4:5]
	flat_load_dwordx2 v[14:15], v[2:3]
.LBB162_2:
	s_andn2_b64 vcc, exec, s[12:13]
	v_mov_b64_e32 v[12:13], s[10:11]
	s_cbranch_vccnz .LBB162_4
; %bb.3:
	v_mov_b64_e32 v[2:3], s[10:11]
	flat_load_dwordx2 v[12:13], v[2:3]
.LBB162_4:
	s_waitcnt vmcnt(0) lgkmcnt(0)
	v_cmp_neq_f64_e32 vcc, 0, v[14:15]
	v_cmp_neq_f64_e64 s[4:5], 1.0, v[12:13]
	s_mov_b64 s[10:11], 0
	s_or_b64 s[4:5], vcc, s[4:5]
	s_and_saveexec_b64 s[12:13], s[4:5]
	s_cbranch_execz .LBB162_10
; %bb.5:
	s_load_dwordx2 s[4:5], s[0:1], 0x20
	v_lshrrev_b32_e32 v1, 4, v0
	v_lshl_or_b32 v2, s2, 3, v1
	v_mov_b32_e32 v3, 0
	s_mov_b64 s[2:3], 0
	s_waitcnt lgkmcnt(0)
	s_cmp_lg_u64 s[4:5], 0
	s_cbranch_scc0 .LBB162_11
; %bb.6:
	v_cmp_gt_i64_e32 vcc, s[6:7], v[2:3]
                                        ; implicit-def: $vgpr16_vgpr17
                                        ; implicit-def: $vgpr20_vgpr21
	s_and_saveexec_b64 s[6:7], vcc
	s_xor_b64 s[6:7], exec, s[6:7]
	s_cbranch_execz .LBB162_8
; %bb.7:
	v_lshl_add_u64 v[4:5], v[2:3], 3, s[4:5]
	global_load_dwordx2 v[4:5], v[4:5], off
	s_mov_b32 s9, 0
	s_mov_b64 s[2:3], exec
	v_mov_b64_e32 v[20:21], s[8:9]
	s_waitcnt vmcnt(0)
	v_subrev_co_u32_e32 v16, vcc, s8, v4
	s_nop 1
	v_subbrev_co_u32_e32 v17, vcc, 0, v5, vcc
.LBB162_8:
	s_or_b64 exec, exec, s[6:7]
	s_mov_b64 s[10:11], s[2:3]
.LBB162_9:
	s_and_b64 exec, exec, s[10:11]
	s_cbranch_execnz .LBB162_15
.LBB162_10:
	s_endpgm
.LBB162_11:
                                        ; implicit-def: $vgpr16_vgpr17
                                        ; implicit-def: $vgpr20_vgpr21
	s_cbranch_execz .LBB162_9
; %bb.12:
	s_load_dwordx2 s[2:3], s[0:1], 0x0
	s_waitcnt lgkmcnt(0)
	v_cmp_gt_i64_e32 vcc, s[2:3], v[2:3]
	s_and_saveexec_b64 s[2:3], vcc
; %bb.13:
	s_mov_b32 s9, 0
	s_or_b64 s[10:11], s[10:11], exec
; %bb.14:
	s_or_b64 exec, exec, s[2:3]
	v_mov_b64_e32 v[20:21], s[8:9]
	v_mov_b64_e32 v[16:17], v[2:3]
	s_and_b64 exec, exec, s[10:11]
	s_cbranch_execz .LBB162_10
.LBB162_15:
	s_load_dwordx8 s[4:11], s[0:1], 0x28
	v_lshlrev_b64 v[2:3], 3, v[16:17]
	v_and_b32_e32 v18, 15, v0
	v_mov_b32_e32 v19, 0
	s_waitcnt lgkmcnt(0)
	v_lshl_add_u64 v[4:5], s[4:5], 0, v[2:3]
	s_cmp_eq_u64 s[6:7], 0
	v_lshl_add_u64 v[6:7], s[6:7], 0, v[2:3]
	global_load_dwordx2 v[2:3], v[4:5], off
	v_lshl_add_u64 v[4:5], v[4:5], 0, 8
	s_cselect_b64 vcc, -1, 0
	v_cndmask_b32_e32 v5, v7, v5, vcc
	v_cndmask_b32_e32 v4, v6, v4, vcc
	global_load_dwordx2 v[4:5], v[4:5], off
	s_load_dword s2, s[0:1], 0x8
	s_load_dwordx2 s[4:5], s[0:1], 0x48
	s_waitcnt lgkmcnt(0)
	s_cmp_eq_u32 s2, 1
	s_waitcnt vmcnt(1)
	v_sub_co_u32_e32 v0, vcc, v2, v20
	s_nop 1
	v_subb_co_u32_e32 v1, vcc, v3, v21, vcc
	v_lshl_add_u64 v[22:23], v[0:1], 0, v[18:19]
	s_waitcnt vmcnt(0)
	v_sub_co_u32_e32 v24, vcc, v4, v20
	v_lshlrev_b64 v[0:1], 6, v[22:23]
	s_nop 0
	v_subb_co_u32_e32 v25, vcc, v5, v21, vcc
	v_lshl_add_u64 v[26:27], s[10:11], 0, v[0:1]
	v_cmp_lt_i64_e64 s[2:3], v[22:23], v[24:25]
	s_cbranch_scc1 .LBB162_27
; %bb.16:
	v_mov_b64_e32 v[28:29], 0
	v_mov_b64_e32 v[30:31], 0
	;; [unrolled: 1-line block ×4, first 2 shown]
	s_and_saveexec_b64 s[6:7], s[2:3]
	s_cbranch_execz .LBB162_26
; %bb.17:
	v_or_b32_e32 v0, 16, v18
	v_sub_co_u32_e32 v0, vcc, v0, v20
	v_not_b32_e32 v5, v3
	s_nop 0
	v_subb_co_u32_e32 v1, vcc, 0, v21, vcc
	v_lshl_add_u64 v[0:1], v[0:1], 0, v[2:3]
	v_cmp_gt_i64_e32 vcc, v[0:1], v[24:25]
	v_not_b32_e32 v4, v2
	v_mov_b64_e32 v[34:35], 0
	v_cndmask_b32_e32 v1, v25, v1, vcc
	v_cndmask_b32_e32 v0, v24, v0, vcc
	v_sub_co_u32_e32 v6, vcc, v20, v18
	v_mov_b64_e32 v[32:33], 0
	s_nop 0
	v_subbrev_co_u32_e32 v7, vcc, 0, v21, vcc
	v_lshl_add_u64 v[4:5], v[6:7], 0, v[4:5]
	v_lshl_add_u64 v[6:7], v[4:5], 0, v[0:1]
	v_and_b32_e32 v0, 48, v6
	v_mov_b32_e32 v1, 0
	v_cmp_ne_u64_e32 vcc, 48, v[0:1]
	v_mov_b64_e32 v[30:31], 0
	v_mov_b64_e32 v[28:29], 0
	;; [unrolled: 1-line block ×4, first 2 shown]
	s_and_saveexec_b64 s[10:11], vcc
	s_cbranch_execz .LBB162_21
; %bb.18:
	v_lshrrev_b32_e32 v0, 4, v6
	v_add_u32_e32 v0, 1, v0
	v_and_b32_e32 v0, 3, v0
	v_sub_co_u32_e32 v10, vcc, 0, v0
	v_lshl_add_u64 v[8:9], v[22:23], 3, s[8:9]
	s_nop 0
	v_subb_co_u32_e64 v11, s[14:15], 0, 0, vcc
	s_mov_b64 s[12:13], 0
	v_mov_b64_e32 v[28:29], 0
	s_mov_b64 s[14:15], 0x400
	s_mov_b64 s[16:17], 0x80
	v_mov_b64_e32 v[4:5], v[26:27]
	v_mov_b64_e32 v[0:1], v[22:23]
	;; [unrolled: 1-line block ×5, first 2 shown]
.LBB162_19:                             ; =>This Inner Loop Header: Depth=1
	global_load_dwordx2 v[52:53], v[8:9], off
	global_load_dwordx4 v[36:39], v[4:5], off
	global_load_dwordx4 v[40:43], v[4:5], off offset:16
	global_load_dwordx4 v[44:47], v[4:5], off offset:32
	;; [unrolled: 1-line block ×3, first 2 shown]
	v_lshl_add_u64 v[10:11], v[10:11], 0, 1
	v_lshl_add_u64 v[4:5], v[4:5], 0, s[14:15]
	;; [unrolled: 1-line block ×4, first 2 shown]
	s_waitcnt vmcnt(4)
	v_sub_co_u32_e32 v52, vcc, v52, v20
	s_nop 1
	v_subb_co_u32_e32 v53, vcc, v53, v21, vcc
	v_lshlrev_b64 v[52:53], 5, v[52:53]
	v_lshl_add_u64 v[60:61], s[4:5], 0, v[52:53]
	global_load_dwordx4 v[52:55], v[60:61], off
	global_load_dwordx4 v[56:59], v[60:61], off offset:16
	s_waitcnt vmcnt(5)
	v_cvt_f64_f32_e32 v[60:61], v36
	s_waitcnt vmcnt(4)
	v_cvt_f64_f32_e32 v[64:65], v40
	;; [unrolled: 2-line block ×4, first 2 shown]
	v_cvt_f64_f32_e32 v[36:37], v37
	v_cvt_f64_f32_e32 v[40:41], v41
	;; [unrolled: 1-line block ×8, first 2 shown]
	v_cmp_eq_u64_e32 vcc, 0, v[10:11]
	v_cvt_f64_f32_e32 v[38:39], v39
	v_cvt_f64_f32_e32 v[42:43], v43
	;; [unrolled: 1-line block ×4, first 2 shown]
	s_or_b64 s[12:13], vcc, s[12:13]
	s_waitcnt vmcnt(1)
	v_fmac_f64_e32 v[34:35], v[60:61], v[52:53]
	v_fmac_f64_e32 v[32:33], v[64:65], v[52:53]
	;; [unrolled: 1-line block ×8, first 2 shown]
	s_waitcnt vmcnt(0)
	v_fmac_f64_e32 v[34:35], v[62:63], v[56:57]
	v_fmac_f64_e32 v[32:33], v[66:67], v[56:57]
	;; [unrolled: 1-line block ×8, first 2 shown]
	s_andn2_b64 exec, exec, s[12:13]
	s_cbranch_execnz .LBB162_19
; %bb.20:
	s_or_b64 exec, exec, s[12:13]
.LBB162_21:
	s_or_b64 exec, exec, s[10:11]
	v_cmp_lt_u64_e32 vcc, 47, v[6:7]
	s_and_saveexec_b64 s[10:11], vcc
	s_cbranch_execz .LBB162_25
; %bb.22:
	v_lshl_add_u64 v[6:7], v[0:1], 3, s[8:9]
	s_mov_b64 s[12:13], 0x100
	v_lshl_add_u64 v[6:7], v[6:7], 0, s[12:13]
	s_mov_b64 s[12:13], 0
	s_mov_b64 s[14:15], 0x1000
	;; [unrolled: 1-line block ×3, first 2 shown]
.LBB162_23:                             ; =>This Inner Loop Header: Depth=1
	global_load_dwordx2 v[8:9], v[6:7], off offset:-256
	v_lshl_add_u64 v[0:1], v[0:1], 0, 64
	s_waitcnt vmcnt(0)
	v_sub_co_u32_e32 v48, vcc, v8, v20
	s_nop 1
	v_subb_co_u32_e32 v49, vcc, v9, v21, vcc
	v_lshlrev_b64 v[48:49], 5, v[48:49]
	global_load_dwordx4 v[8:11], v[4:5], off offset:48
	global_load_dwordx4 v[36:39], v[4:5], off offset:32
	;; [unrolled: 1-line block ×3, first 2 shown]
	global_load_dwordx4 v[44:47], v[4:5], off
	v_lshl_add_u64 v[58:59], s[4:5], 0, v[48:49]
	global_load_dwordx4 v[48:51], v[58:59], off offset:16
	global_load_dwordx4 v[52:55], v[58:59], off
	s_waitcnt vmcnt(2)
	v_cvt_f64_f32_e32 v[56:57], v44
	v_cvt_f64_f32_e32 v[44:45], v45
	s_waitcnt vmcnt(0)
	v_fmac_f64_e32 v[34:35], v[56:57], v[52:53]
	v_fmac_f64_e32 v[34:35], v[44:45], v[54:55]
	v_cvt_f64_f32_e32 v[44:45], v46
	v_fmac_f64_e32 v[34:35], v[44:45], v[48:49]
	v_cvt_f64_f32_e32 v[44:45], v47
	;; [unrolled: 2-line block ×14, first 2 shown]
	v_fmac_f64_e32 v[28:29], v[8:9], v[50:51]
	global_load_dwordx2 v[8:9], v[6:7], off offset:-128
	s_waitcnt vmcnt(0)
	v_sub_co_u32_e32 v48, vcc, v8, v20
	s_nop 1
	v_subb_co_u32_e32 v49, vcc, v9, v21, vcc
	v_lshlrev_b64 v[48:49], 5, v[48:49]
	global_load_dwordx4 v[8:11], v[4:5], off offset:1072
	global_load_dwordx4 v[36:39], v[4:5], off offset:1056
	;; [unrolled: 1-line block ×4, first 2 shown]
	v_lshl_add_u64 v[58:59], s[4:5], 0, v[48:49]
	global_load_dwordx4 v[48:51], v[58:59], off offset:16
	global_load_dwordx4 v[52:55], v[58:59], off
	s_waitcnt vmcnt(2)
	v_cvt_f64_f32_e32 v[56:57], v44
	v_cvt_f64_f32_e32 v[44:45], v45
	s_waitcnt vmcnt(0)
	v_fmac_f64_e32 v[34:35], v[56:57], v[52:53]
	v_fmac_f64_e32 v[34:35], v[44:45], v[54:55]
	v_cvt_f64_f32_e32 v[44:45], v46
	v_fmac_f64_e32 v[34:35], v[44:45], v[48:49]
	v_cvt_f64_f32_e32 v[44:45], v47
	;; [unrolled: 2-line block ×14, first 2 shown]
	v_fmac_f64_e32 v[28:29], v[8:9], v[50:51]
	global_load_dwordx2 v[8:9], v[6:7], off
	s_waitcnt vmcnt(0)
	v_sub_co_u32_e32 v48, vcc, v8, v20
	s_nop 1
	v_subb_co_u32_e32 v49, vcc, v9, v21, vcc
	v_lshlrev_b64 v[48:49], 5, v[48:49]
	global_load_dwordx4 v[8:11], v[4:5], off offset:2096
	global_load_dwordx4 v[36:39], v[4:5], off offset:2080
	;; [unrolled: 1-line block ×4, first 2 shown]
	v_lshl_add_u64 v[58:59], s[4:5], 0, v[48:49]
	global_load_dwordx4 v[48:51], v[58:59], off offset:16
	global_load_dwordx4 v[52:55], v[58:59], off
	s_waitcnt vmcnt(2)
	v_cvt_f64_f32_e32 v[56:57], v44
	v_cvt_f64_f32_e32 v[44:45], v45
	s_waitcnt vmcnt(0)
	v_fmac_f64_e32 v[34:35], v[56:57], v[52:53]
	v_fmac_f64_e32 v[34:35], v[44:45], v[54:55]
	v_cvt_f64_f32_e32 v[44:45], v46
	v_fmac_f64_e32 v[34:35], v[44:45], v[48:49]
	v_cvt_f64_f32_e32 v[44:45], v47
	;; [unrolled: 2-line block ×14, first 2 shown]
	v_fmac_f64_e32 v[28:29], v[8:9], v[50:51]
	global_load_dwordx2 v[8:9], v[6:7], off offset:128
	v_lshl_add_u64 v[6:7], v[6:7], 0, s[16:17]
	s_waitcnt vmcnt(0)
	v_sub_co_u32_e32 v48, vcc, v8, v20
	s_nop 1
	v_subb_co_u32_e32 v49, vcc, v9, v21, vcc
	v_lshlrev_b64 v[48:49], 5, v[48:49]
	global_load_dwordx4 v[8:11], v[4:5], off offset:3120
	global_load_dwordx4 v[36:39], v[4:5], off offset:3104
	;; [unrolled: 1-line block ×4, first 2 shown]
	v_lshl_add_u64 v[58:59], s[4:5], 0, v[48:49]
	global_load_dwordx4 v[48:51], v[58:59], off offset:16
	global_load_dwordx4 v[52:55], v[58:59], off
	v_cmp_ge_i64_e32 vcc, v[0:1], v[24:25]
	v_lshl_add_u64 v[4:5], v[4:5], 0, s[14:15]
	s_or_b64 s[12:13], vcc, s[12:13]
	s_waitcnt vmcnt(2)
	v_cvt_f64_f32_e32 v[56:57], v44
	v_cvt_f64_f32_e32 v[44:45], v45
	s_waitcnt vmcnt(0)
	v_fmac_f64_e32 v[34:35], v[56:57], v[52:53]
	v_fmac_f64_e32 v[34:35], v[44:45], v[54:55]
	v_cvt_f64_f32_e32 v[44:45], v46
	v_fmac_f64_e32 v[34:35], v[44:45], v[48:49]
	v_cvt_f64_f32_e32 v[44:45], v47
	;; [unrolled: 2-line block ×14, first 2 shown]
	v_fmac_f64_e32 v[28:29], v[8:9], v[50:51]
	s_andn2_b64 exec, exec, s[12:13]
	s_cbranch_execnz .LBB162_23
; %bb.24:
	s_or_b64 exec, exec, s[12:13]
.LBB162_25:
	s_or_b64 exec, exec, s[10:11]
.LBB162_26:
	s_or_b64 exec, exec, s[6:7]
	s_cbranch_execz .LBB162_28
	s_branch .LBB162_39
.LBB162_27:
                                        ; implicit-def: $vgpr28_vgpr29
                                        ; implicit-def: $vgpr30_vgpr31
                                        ; implicit-def: $vgpr32_vgpr33
                                        ; implicit-def: $vgpr34_vgpr35
.LBB162_28:
	v_mov_b64_e32 v[28:29], 0
	v_mov_b64_e32 v[30:31], 0
	;; [unrolled: 1-line block ×4, first 2 shown]
	s_and_saveexec_b64 s[6:7], s[2:3]
	s_cbranch_execz .LBB162_38
; %bb.29:
	v_or_b32_e32 v0, 16, v18
	v_sub_co_u32_e32 v0, vcc, v0, v20
	v_mov_b64_e32 v[34:35], 0
	s_nop 0
	v_subb_co_u32_e32 v1, vcc, 0, v21, vcc
	v_lshl_add_u64 v[0:1], v[0:1], 0, v[2:3]
	v_cmp_gt_i64_e32 vcc, v[0:1], v[24:25]
	v_not_b32_e32 v3, v3
	v_not_b32_e32 v2, v2
	v_cndmask_b32_e32 v1, v25, v1, vcc
	v_cndmask_b32_e32 v0, v24, v0, vcc
	v_sub_co_u32_e32 v4, vcc, v20, v18
	v_mov_b64_e32 v[32:33], 0
	s_nop 0
	v_subbrev_co_u32_e32 v5, vcc, 0, v21, vcc
	v_lshl_add_u64 v[2:3], v[4:5], 0, v[2:3]
	v_lshl_add_u64 v[0:1], v[2:3], 0, v[0:1]
	v_and_b32_e32 v2, 48, v0
	v_mov_b32_e32 v3, 0
	v_cmp_ne_u64_e32 vcc, 48, v[2:3]
	v_mov_b64_e32 v[30:31], 0
	v_mov_b64_e32 v[28:29], 0
	s_and_saveexec_b64 s[2:3], vcc
	s_cbranch_execz .LBB162_33
; %bb.30:
	v_lshrrev_b32_e32 v2, 4, v0
	v_add_u32_e32 v2, 1, v2
	v_and_b32_e32 v4, 3, v2
	v_sub_co_u32_e32 v4, vcc, 0, v4
	v_lshl_add_u64 v[2:3], v[22:23], 3, s[8:9]
	s_nop 0
	v_subb_co_u32_e64 v5, s[12:13], 0, 0, vcc
	s_mov_b64 s[10:11], 0
	v_mov_b64_e32 v[28:29], 0
	s_mov_b64 s[12:13], 0x400
	s_mov_b64 s[14:15], 0x80
	v_mov_b64_e32 v[30:31], 0
	v_mov_b64_e32 v[32:33], 0
	;; [unrolled: 1-line block ×3, first 2 shown]
.LBB162_31:                             ; =>This Inner Loop Header: Depth=1
	global_load_dwordx2 v[10:11], v[2:3], off
	global_load_dwordx4 v[6:9], v[26:27], off
	global_load_dwordx4 v[36:39], v[26:27], off offset:16
	global_load_dwordx4 v[40:43], v[26:27], off offset:32
	v_lshl_add_u64 v[4:5], v[4:5], 0, 1
	v_lshl_add_u64 v[22:23], v[22:23], 0, 16
	;; [unrolled: 1-line block ×3, first 2 shown]
	s_waitcnt vmcnt(3)
	v_sub_co_u32_e32 v10, vcc, v10, v20
	s_nop 1
	v_subb_co_u32_e32 v11, vcc, v11, v21, vcc
	v_lshlrev_b64 v[10:11], 5, v[10:11]
	v_lshl_add_u64 v[10:11], s[4:5], 0, v[10:11]
	global_load_dwordx4 v[44:47], v[10:11], off offset:16
	global_load_dwordx4 v[48:51], v[10:11], off
	global_load_dwordx4 v[52:55], v[26:27], off offset:48
	s_waitcnt vmcnt(5)
	v_cvt_f64_f32_e32 v[10:11], v6
	v_cvt_f64_f32_e32 v[6:7], v7
	v_cvt_f64_f32_e32 v[56:57], v8
	v_cvt_f64_f32_e32 v[8:9], v9
	s_waitcnt vmcnt(4)
	v_cvt_f64_f32_e32 v[58:59], v36
	v_cvt_f64_f32_e32 v[36:37], v37
	v_cvt_f64_f32_e32 v[60:61], v38
	v_cvt_f64_f32_e32 v[38:39], v39
	s_waitcnt vmcnt(3)
	v_cvt_f64_f32_e32 v[62:63], v40
	v_cvt_f64_f32_e32 v[40:41], v41
	v_cvt_f64_f32_e32 v[64:65], v42
	v_cvt_f64_f32_e32 v[42:43], v43
	v_cmp_eq_u64_e32 vcc, 0, v[4:5]
	v_lshl_add_u64 v[26:27], v[26:27], 0, s[12:13]
	s_or_b64 s[10:11], vcc, s[10:11]
	s_waitcnt vmcnt(1)
	v_fmac_f64_e32 v[34:35], v[10:11], v[48:49]
	v_fmac_f64_e32 v[32:33], v[6:7], v[48:49]
	;; [unrolled: 1-line block ×8, first 2 shown]
	s_waitcnt vmcnt(0)
	v_cvt_f64_f32_e32 v[66:67], v52
	v_cvt_f64_f32_e32 v[52:53], v53
	;; [unrolled: 1-line block ×4, first 2 shown]
	v_fmac_f64_e32 v[34:35], v[62:63], v[44:45]
	v_fmac_f64_e32 v[32:33], v[40:41], v[44:45]
	;; [unrolled: 1-line block ×8, first 2 shown]
	s_andn2_b64 exec, exec, s[10:11]
	s_cbranch_execnz .LBB162_31
; %bb.32:
	s_or_b64 exec, exec, s[10:11]
.LBB162_33:
	s_or_b64 exec, exec, s[2:3]
	v_cmp_lt_u64_e32 vcc, 47, v[0:1]
	s_and_saveexec_b64 s[2:3], vcc
	s_cbranch_execz .LBB162_37
; %bb.34:
	v_lshl_add_u64 v[0:1], v[22:23], 3, s[8:9]
	s_mov_b64 s[8:9], 0x100
	v_lshl_add_u64 v[36:37], v[0:1], 0, s[8:9]
	s_mov_b64 s[8:9], 0
	s_mov_b64 s[10:11], 0x1000
	;; [unrolled: 1-line block ×3, first 2 shown]
.LBB162_35:                             ; =>This Inner Loop Header: Depth=1
	global_load_dwordx4 v[38:41], v[26:27], off
	global_load_dwordx4 v[8:11], v[26:27], off offset:16
	global_load_dwordx4 v[4:7], v[26:27], off offset:32
	;; [unrolled: 1-line block ×7, first 2 shown]
	v_lshl_add_u64 v[22:23], v[22:23], 0, 64
	s_waitcnt vmcnt(7)
	v_cvt_f64_f32_e32 v[58:59], v38
	v_cvt_f64_f32_e32 v[60:61], v40
	s_waitcnt vmcnt(5)
	v_cvt_f64_f32_e32 v[66:67], v4
	s_waitcnt vmcnt(4)
	v_cvt_f64_f32_e32 v[74:75], v0
	v_cvt_f64_f32_e32 v[76:77], v1
	global_load_dwordx2 v[0:1], v[36:37], off offset:-256
	s_waitcnt vmcnt(3)
	v_cvt_f64_f32_e32 v[94:95], v48
	v_cvt_f64_f32_e32 v[96:97], v49
	;; [unrolled: 1-line block ×11, first 2 shown]
	global_load_dwordx4 v[4:7], v[26:27], off offset:2048
	global_load_dwordx4 v[44:47], v[26:27], off offset:2064
	v_cvt_f64_f32_e32 v[40:41], v41
	v_cvt_f64_f32_e32 v[38:39], v39
	;; [unrolled: 1-line block ×8, first 2 shown]
	s_waitcnt vmcnt(4)
	v_cvt_f64_f32_e32 v[98:99], v50
	v_cvt_f64_f32_e32 v[100:101], v51
	;; [unrolled: 1-line block ×3, first 2 shown]
	s_waitcnt vmcnt(3)
	v_cvt_f64_f32_e32 v[106:107], v54
	v_cvt_f64_f32_e32 v[104:105], v53
	;; [unrolled: 1-line block ×5, first 2 shown]
	s_waitcnt vmcnt(2)
	v_sub_co_u32_e32 v0, vcc, v0, v20
	s_nop 1
	v_subb_co_u32_e32 v1, vcc, v1, v21, vcc
	v_lshlrev_b64 v[0:1], 5, v[0:1]
	v_lshl_add_u64 v[48:49], s[4:5], 0, v[0:1]
	global_load_dwordx4 v[0:3], v[48:49], off
	s_waitcnt vmcnt(2)
	v_cvt_f64_f32_e32 v[52:53], v4
	v_cvt_f64_f32_e32 v[54:55], v5
	;; [unrolled: 1-line block ×4, first 2 shown]
	s_waitcnt vmcnt(0)
	v_fmac_f64_e32 v[34:35], v[58:59], v[0:1]
	global_load_dwordx2 v[58:59], v[36:37], off offset:-128
	v_fmac_f64_e32 v[28:29], v[40:41], v[0:1]
	v_fmac_f64_e32 v[32:33], v[38:39], v[0:1]
	;; [unrolled: 1-line block ×4, first 2 shown]
	v_cvt_f64_f32_e32 v[38:39], v44
	v_cvt_f64_f32_e32 v[40:41], v45
	;; [unrolled: 1-line block ×4, first 2 shown]
	global_load_dwordx4 v[44:47], v[48:49], off offset:16
	v_fmac_f64_e32 v[34:35], v[62:63], v[2:3]
	v_fmac_f64_e32 v[32:33], v[8:9], v[2:3]
	;; [unrolled: 1-line block ×3, first 2 shown]
	global_load_dwordx4 v[6:9], v[26:27], off offset:2080
	global_load_dwordx4 v[62:65], v[26:27], off offset:3072
	s_waitcnt vmcnt(3)
	v_sub_co_u32_e32 v58, vcc, v58, v20
	s_nop 1
	v_subb_co_u32_e32 v59, vcc, v59, v21, vcc
	v_lshlrev_b64 v[58:59], 5, v[58:59]
	v_lshl_add_u64 v[114:115], s[4:5], 0, v[58:59]
	global_load_dwordx4 v[58:61], v[114:115], off
	global_load_dwordx4 v[48:51], v[26:27], off offset:2096
	s_waitcnt vmcnt(4)
	v_fmac_f64_e32 v[34:35], v[66:67], v[44:45]
	v_fmac_f64_e32 v[34:35], v[74:75], v[46:47]
	;; [unrolled: 1-line block ×8, first 2 shown]
	global_load_dwordx4 v[70:73], v[26:27], off offset:3088
	global_load_dwordx4 v[78:81], v[26:27], off offset:3104
	s_waitcnt vmcnt(5)
	v_cvt_f64_f32_e32 v[2:3], v6
	v_cvt_f64_f32_e32 v[4:5], v7
	;; [unrolled: 1-line block ×4, first 2 shown]
	s_waitcnt vmcnt(3)
	v_fmac_f64_e32 v[34:35], v[82:83], v[58:59]
	v_fmac_f64_e32 v[34:35], v[90:91], v[60:61]
	global_load_dwordx2 v[90:91], v[36:37], off
	v_fmac_f64_e32 v[32:33], v[84:85], v[58:59]
	v_fmac_f64_e32 v[32:33], v[92:93], v[60:61]
	global_load_dwordx2 v[92:93], v[36:37], off offset:128
	v_fmac_f64_e32 v[30:31], v[86:87], v[58:59]
	v_fmac_f64_e32 v[28:29], v[88:89], v[58:59]
	global_load_dwordx4 v[82:85], v[114:115], off offset:16
	v_fmac_f64_e32 v[30:31], v[94:95], v[60:61]
	v_fmac_f64_e32 v[28:29], v[96:97], v[60:61]
	global_load_dwordx4 v[86:89], v[26:27], off offset:3120
	s_waitcnt vmcnt(6)
	v_cvt_f64_f32_e32 v[44:45], v48
	v_cvt_f64_f32_e32 v[46:47], v49
	v_cvt_f64_f32_e32 v[48:49], v50
	v_cvt_f64_f32_e32 v[50:51], v51
	v_cvt_f64_f32_e32 v[58:59], v62
	v_cvt_f64_f32_e32 v[60:61], v63
	v_cvt_f64_f32_e32 v[62:63], v64
	v_cvt_f64_f32_e32 v[64:65], v65
	s_waitcnt vmcnt(5)
	v_cvt_f64_f32_e32 v[66:67], v70
	v_cvt_f64_f32_e32 v[68:69], v71
	;; [unrolled: 1-line block ×4, first 2 shown]
	s_waitcnt vmcnt(4)
	v_cvt_f64_f32_e32 v[74:75], v78
	v_cvt_f64_f32_e32 v[76:77], v79
	;; [unrolled: 1-line block ×4, first 2 shown]
	v_lshl_add_u64 v[26:27], v[26:27], 0, s[10:11]
	v_lshl_add_u64 v[36:37], v[36:37], 0, s[12:13]
	s_waitcnt vmcnt(3)
	v_sub_co_u32_e32 v90, vcc, v90, v20
	s_nop 1
	v_subb_co_u32_e32 v91, vcc, v91, v21, vcc
	v_lshlrev_b64 v[90:91], 5, v[90:91]
	s_waitcnt vmcnt(2)
	v_sub_co_u32_e32 v94, vcc, v92, v20
	v_lshl_add_u64 v[96:97], s[4:5], 0, v[90:91]
	s_nop 0
	v_subb_co_u32_e32 v95, vcc, v93, v21, vcc
	global_load_dwordx4 v[90:93], v[96:97], off
	s_waitcnt vmcnt(2)
	v_fmac_f64_e32 v[34:35], v[98:99], v[82:83]
	v_fmac_f64_e32 v[32:33], v[100:101], v[82:83]
	;; [unrolled: 1-line block ×8, first 2 shown]
	s_waitcnt vmcnt(1)
	v_cvt_f64_f32_e32 v[82:83], v86
	v_cvt_f64_f32_e32 v[84:85], v87
	;; [unrolled: 1-line block ×4, first 2 shown]
	v_cmp_ge_i64_e32 vcc, v[22:23], v[24:25]
	s_or_b64 s[8:9], vcc, s[8:9]
	s_waitcnt vmcnt(0)
	v_fmac_f64_e32 v[34:35], v[52:53], v[90:91]
	v_lshlrev_b64 v[52:53], 5, v[94:95]
	v_fmac_f64_e32 v[32:33], v[54:55], v[90:91]
	v_fmac_f64_e32 v[30:31], v[56:57], v[90:91]
	v_lshl_add_u64 v[56:57], s[4:5], 0, v[52:53]
	global_load_dwordx4 v[52:55], v[96:97], off offset:16
	v_fmac_f64_e32 v[34:35], v[38:39], v[92:93]
	v_fmac_f64_e32 v[32:33], v[40:41], v[92:93]
	global_load_dwordx4 v[38:41], v[56:57], off
	global_load_dwordx4 v[94:97], v[56:57], off offset:16
	v_fmac_f64_e32 v[28:29], v[42:43], v[90:91]
	v_fmac_f64_e32 v[30:31], v[10:11], v[92:93]
	v_fmac_f64_e32 v[28:29], v[0:1], v[92:93]
	s_waitcnt vmcnt(2)
	v_fmac_f64_e32 v[34:35], v[2:3], v[52:53]
	v_fmac_f64_e32 v[32:33], v[4:5], v[52:53]
	v_fmac_f64_e32 v[30:31], v[6:7], v[52:53]
	v_fmac_f64_e32 v[28:29], v[8:9], v[52:53]
	v_fmac_f64_e32 v[34:35], v[44:45], v[54:55]
	v_fmac_f64_e32 v[32:33], v[46:47], v[54:55]
	v_fmac_f64_e32 v[30:31], v[48:49], v[54:55]
	v_fmac_f64_e32 v[28:29], v[50:51], v[54:55]
	s_waitcnt vmcnt(1)
	v_fmac_f64_e32 v[34:35], v[58:59], v[38:39]
	v_fmac_f64_e32 v[32:33], v[60:61], v[38:39]
	v_fmac_f64_e32 v[30:31], v[62:63], v[38:39]
	v_fmac_f64_e32 v[28:29], v[64:65], v[38:39]
	v_fmac_f64_e32 v[34:35], v[66:67], v[40:41]
	;; [unrolled: 9-line block ×3, first 2 shown]
	v_fmac_f64_e32 v[32:33], v[84:85], v[96:97]
	v_fmac_f64_e32 v[30:31], v[86:87], v[96:97]
	;; [unrolled: 1-line block ×3, first 2 shown]
	s_andn2_b64 exec, exec, s[8:9]
	s_cbranch_execnz .LBB162_35
; %bb.36:
	s_or_b64 exec, exec, s[8:9]
.LBB162_37:
	s_or_b64 exec, exec, s[2:3]
.LBB162_38:
	s_or_b64 exec, exec, s[6:7]
.LBB162_39:
	v_mov_b32_dpp v0, v34 row_shr:1 row_mask:0xf bank_mask:0xf
	v_mov_b32_dpp v1, v35 row_shr:1 row_mask:0xf bank_mask:0xf
	v_mov_b32_dpp v4, v32 row_shr:1 row_mask:0xf bank_mask:0xf
	v_mov_b32_dpp v5, v33 row_shr:1 row_mask:0xf bank_mask:0xf
	v_mov_b32_dpp v8, v30 row_shr:1 row_mask:0xf bank_mask:0xf
	v_mov_b32_dpp v9, v31 row_shr:1 row_mask:0xf bank_mask:0xf
	v_mov_b32_dpp v20, v28 row_shr:1 row_mask:0xf bank_mask:0xf
	v_mov_b32_dpp v21, v29 row_shr:1 row_mask:0xf bank_mask:0xf
	v_add_f64 v[0:1], v[34:35], v[0:1]
	v_add_f64 v[4:5], v[32:33], v[4:5]
	v_add_f64 v[8:9], v[30:31], v[8:9]
	v_add_f64 v[20:21], v[28:29], v[20:21]
	v_mov_b32_dpp v2, v0 row_shr:2 row_mask:0xf bank_mask:0xf
	v_mov_b32_dpp v3, v1 row_shr:2 row_mask:0xf bank_mask:0xf
	v_mov_b32_dpp v6, v4 row_shr:2 row_mask:0xf bank_mask:0xf
	v_mov_b32_dpp v7, v5 row_shr:2 row_mask:0xf bank_mask:0xf
	v_mov_b32_dpp v10, v8 row_shr:2 row_mask:0xf bank_mask:0xf
	v_mov_b32_dpp v11, v9 row_shr:2 row_mask:0xf bank_mask:0xf
	v_mov_b32_dpp v22, v20 row_shr:2 row_mask:0xf bank_mask:0xf
	v_mov_b32_dpp v23, v21 row_shr:2 row_mask:0xf bank_mask:0xf
	v_add_f64 v[0:1], v[0:1], v[2:3]
	v_add_f64 v[4:5], v[4:5], v[6:7]
	v_add_f64 v[8:9], v[8:9], v[10:11]
	v_add_f64 v[20:21], v[20:21], v[22:23]
	v_mov_b32_dpp v2, v0 row_shr:4 row_mask:0xf bank_mask:0xe
	v_mov_b32_dpp v3, v1 row_shr:4 row_mask:0xf bank_mask:0xe
	v_mov_b32_dpp v6, v4 row_shr:4 row_mask:0xf bank_mask:0xe
	v_mov_b32_dpp v7, v5 row_shr:4 row_mask:0xf bank_mask:0xe
	v_mov_b32_dpp v10, v8 row_shr:4 row_mask:0xf bank_mask:0xe
	v_mov_b32_dpp v11, v9 row_shr:4 row_mask:0xf bank_mask:0xe
	v_mov_b32_dpp v22, v20 row_shr:4 row_mask:0xf bank_mask:0xe
	v_mov_b32_dpp v23, v21 row_shr:4 row_mask:0xf bank_mask:0xe
	v_add_f64 v[0:1], v[0:1], v[2:3]
	v_add_f64 v[4:5], v[4:5], v[6:7]
	v_add_f64 v[8:9], v[8:9], v[10:11]
	v_add_f64 v[20:21], v[20:21], v[22:23]
	v_mov_b32_dpp v2, v0 row_shr:8 row_mask:0xf bank_mask:0xc
	v_mov_b32_dpp v3, v1 row_shr:8 row_mask:0xf bank_mask:0xc
	;; [unrolled: 1-line block ×8, first 2 shown]
	v_cmp_eq_u32_e32 vcc, 15, v18
	s_and_b64 exec, exec, vcc
	s_cbranch_execz .LBB162_10
; %bb.40:
	s_load_dwordx2 s[0:1], s[0:1], 0x58
	v_add_f64 v[0:1], v[0:1], v[2:3]
	v_add_f64 v[2:3], v[4:5], v[6:7]
	;; [unrolled: 1-line block ×4, first 2 shown]
	v_cmp_eq_f64_e32 vcc, 0, v[12:13]
	v_mul_f64 v[4:5], v[14:15], v[0:1]
	v_mul_f64 v[6:7], v[14:15], v[2:3]
	;; [unrolled: 1-line block ×4, first 2 shown]
	v_lshlrev_b64 v[8:9], 5, v[16:17]
	s_and_saveexec_b64 s[2:3], vcc
	s_xor_b64 s[2:3], exec, s[2:3]
	s_cbranch_execz .LBB162_42
; %bb.41:
	s_waitcnt lgkmcnt(0)
	v_lshl_add_u64 v[8:9], s[0:1], 0, v[8:9]
	global_store_dwordx4 v[8:9], v[4:7], off
	global_store_dwordx4 v[8:9], v[0:3], off offset:16
                                        ; implicit-def: $vgpr8_vgpr9
                                        ; implicit-def: $vgpr12_vgpr13
                                        ; implicit-def: $vgpr4_vgpr5
                                        ; implicit-def: $vgpr0_vgpr1
.LBB162_42:
	s_andn2_saveexec_b64 s[2:3], s[2:3]
	s_cbranch_execz .LBB162_10
; %bb.43:
	s_waitcnt lgkmcnt(0)
	v_lshl_add_u64 v[18:19], s[0:1], 0, v[8:9]
	global_load_dwordx4 v[8:11], v[18:19], off
	global_load_dwordx4 v[14:17], v[18:19], off offset:16
	s_waitcnt vmcnt(1)
	v_fmac_f64_e32 v[4:5], v[12:13], v[8:9]
	v_fmac_f64_e32 v[6:7], v[12:13], v[10:11]
	s_waitcnt vmcnt(0)
	v_fmac_f64_e32 v[0:1], v[12:13], v[14:15]
	v_fmac_f64_e32 v[2:3], v[12:13], v[16:17]
	global_store_dwordx4 v[18:19], v[4:7], off
	global_store_dwordx4 v[18:19], v[0:3], off offset:16
	s_endpgm
	.section	.rodata,"a",@progbits
	.p2align	6, 0x0
	.amdhsa_kernel _ZN9rocsparseL18bsrxmvn_4x4_kernelILj128ELj16EdllfddEEvT3_20rocsparse_direction_NS_24const_host_device_scalarIT1_EES1_PKS1_PKT2_SA_S7_PKT4_PKT5_S5_PT6_21rocsparse_index_base_b
		.amdhsa_group_segment_fixed_size 0
		.amdhsa_private_segment_fixed_size 0
		.amdhsa_kernarg_size 104
		.amdhsa_user_sgpr_count 2
		.amdhsa_user_sgpr_dispatch_ptr 0
		.amdhsa_user_sgpr_queue_ptr 0
		.amdhsa_user_sgpr_kernarg_segment_ptr 1
		.amdhsa_user_sgpr_dispatch_id 0
		.amdhsa_user_sgpr_kernarg_preload_length 0
		.amdhsa_user_sgpr_kernarg_preload_offset 0
		.amdhsa_user_sgpr_private_segment_size 0
		.amdhsa_uses_dynamic_stack 0
		.amdhsa_enable_private_segment 0
		.amdhsa_system_sgpr_workgroup_id_x 1
		.amdhsa_system_sgpr_workgroup_id_y 0
		.amdhsa_system_sgpr_workgroup_id_z 0
		.amdhsa_system_sgpr_workgroup_info 0
		.amdhsa_system_vgpr_workitem_id 0
		.amdhsa_next_free_vgpr 116
		.amdhsa_next_free_sgpr 18
		.amdhsa_accum_offset 116
		.amdhsa_reserve_vcc 1
		.amdhsa_float_round_mode_32 0
		.amdhsa_float_round_mode_16_64 0
		.amdhsa_float_denorm_mode_32 3
		.amdhsa_float_denorm_mode_16_64 3
		.amdhsa_dx10_clamp 1
		.amdhsa_ieee_mode 1
		.amdhsa_fp16_overflow 0
		.amdhsa_tg_split 0
		.amdhsa_exception_fp_ieee_invalid_op 0
		.amdhsa_exception_fp_denorm_src 0
		.amdhsa_exception_fp_ieee_div_zero 0
		.amdhsa_exception_fp_ieee_overflow 0
		.amdhsa_exception_fp_ieee_underflow 0
		.amdhsa_exception_fp_ieee_inexact 0
		.amdhsa_exception_int_div_zero 0
	.end_amdhsa_kernel
	.section	.text._ZN9rocsparseL18bsrxmvn_4x4_kernelILj128ELj16EdllfddEEvT3_20rocsparse_direction_NS_24const_host_device_scalarIT1_EES1_PKS1_PKT2_SA_S7_PKT4_PKT5_S5_PT6_21rocsparse_index_base_b,"axG",@progbits,_ZN9rocsparseL18bsrxmvn_4x4_kernelILj128ELj16EdllfddEEvT3_20rocsparse_direction_NS_24const_host_device_scalarIT1_EES1_PKS1_PKT2_SA_S7_PKT4_PKT5_S5_PT6_21rocsparse_index_base_b,comdat
.Lfunc_end162:
	.size	_ZN9rocsparseL18bsrxmvn_4x4_kernelILj128ELj16EdllfddEEvT3_20rocsparse_direction_NS_24const_host_device_scalarIT1_EES1_PKS1_PKT2_SA_S7_PKT4_PKT5_S5_PT6_21rocsparse_index_base_b, .Lfunc_end162-_ZN9rocsparseL18bsrxmvn_4x4_kernelILj128ELj16EdllfddEEvT3_20rocsparse_direction_NS_24const_host_device_scalarIT1_EES1_PKS1_PKT2_SA_S7_PKT4_PKT5_S5_PT6_21rocsparse_index_base_b
                                        ; -- End function
	.set _ZN9rocsparseL18bsrxmvn_4x4_kernelILj128ELj16EdllfddEEvT3_20rocsparse_direction_NS_24const_host_device_scalarIT1_EES1_PKS1_PKT2_SA_S7_PKT4_PKT5_S5_PT6_21rocsparse_index_base_b.num_vgpr, 116
	.set _ZN9rocsparseL18bsrxmvn_4x4_kernelILj128ELj16EdllfddEEvT3_20rocsparse_direction_NS_24const_host_device_scalarIT1_EES1_PKS1_PKT2_SA_S7_PKT4_PKT5_S5_PT6_21rocsparse_index_base_b.num_agpr, 0
	.set _ZN9rocsparseL18bsrxmvn_4x4_kernelILj128ELj16EdllfddEEvT3_20rocsparse_direction_NS_24const_host_device_scalarIT1_EES1_PKS1_PKT2_SA_S7_PKT4_PKT5_S5_PT6_21rocsparse_index_base_b.numbered_sgpr, 18
	.set _ZN9rocsparseL18bsrxmvn_4x4_kernelILj128ELj16EdllfddEEvT3_20rocsparse_direction_NS_24const_host_device_scalarIT1_EES1_PKS1_PKT2_SA_S7_PKT4_PKT5_S5_PT6_21rocsparse_index_base_b.num_named_barrier, 0
	.set _ZN9rocsparseL18bsrxmvn_4x4_kernelILj128ELj16EdllfddEEvT3_20rocsparse_direction_NS_24const_host_device_scalarIT1_EES1_PKS1_PKT2_SA_S7_PKT4_PKT5_S5_PT6_21rocsparse_index_base_b.private_seg_size, 0
	.set _ZN9rocsparseL18bsrxmvn_4x4_kernelILj128ELj16EdllfddEEvT3_20rocsparse_direction_NS_24const_host_device_scalarIT1_EES1_PKS1_PKT2_SA_S7_PKT4_PKT5_S5_PT6_21rocsparse_index_base_b.uses_vcc, 1
	.set _ZN9rocsparseL18bsrxmvn_4x4_kernelILj128ELj16EdllfddEEvT3_20rocsparse_direction_NS_24const_host_device_scalarIT1_EES1_PKS1_PKT2_SA_S7_PKT4_PKT5_S5_PT6_21rocsparse_index_base_b.uses_flat_scratch, 0
	.set _ZN9rocsparseL18bsrxmvn_4x4_kernelILj128ELj16EdllfddEEvT3_20rocsparse_direction_NS_24const_host_device_scalarIT1_EES1_PKS1_PKT2_SA_S7_PKT4_PKT5_S5_PT6_21rocsparse_index_base_b.has_dyn_sized_stack, 0
	.set _ZN9rocsparseL18bsrxmvn_4x4_kernelILj128ELj16EdllfddEEvT3_20rocsparse_direction_NS_24const_host_device_scalarIT1_EES1_PKS1_PKT2_SA_S7_PKT4_PKT5_S5_PT6_21rocsparse_index_base_b.has_recursion, 0
	.set _ZN9rocsparseL18bsrxmvn_4x4_kernelILj128ELj16EdllfddEEvT3_20rocsparse_direction_NS_24const_host_device_scalarIT1_EES1_PKS1_PKT2_SA_S7_PKT4_PKT5_S5_PT6_21rocsparse_index_base_b.has_indirect_call, 0
	.section	.AMDGPU.csdata,"",@progbits
; Kernel info:
; codeLenInByte = 4112
; TotalNumSgprs: 24
; NumVgprs: 116
; NumAgprs: 0
; TotalNumVgprs: 116
; ScratchSize: 0
; MemoryBound: 0
; FloatMode: 240
; IeeeMode: 1
; LDSByteSize: 0 bytes/workgroup (compile time only)
; SGPRBlocks: 2
; VGPRBlocks: 14
; NumSGPRsForWavesPerEU: 24
; NumVGPRsForWavesPerEU: 116
; AccumOffset: 116
; Occupancy: 4
; WaveLimiterHint : 1
; COMPUTE_PGM_RSRC2:SCRATCH_EN: 0
; COMPUTE_PGM_RSRC2:USER_SGPR: 2
; COMPUTE_PGM_RSRC2:TRAP_HANDLER: 0
; COMPUTE_PGM_RSRC2:TGID_X_EN: 1
; COMPUTE_PGM_RSRC2:TGID_Y_EN: 0
; COMPUTE_PGM_RSRC2:TGID_Z_EN: 0
; COMPUTE_PGM_RSRC2:TIDIG_COMP_CNT: 0
; COMPUTE_PGM_RSRC3_GFX90A:ACCUM_OFFSET: 28
; COMPUTE_PGM_RSRC3_GFX90A:TG_SPLIT: 0
	.section	.text._ZN9rocsparseL18bsrxmvn_4x4_kernelILj128ELj32EdllfddEEvT3_20rocsparse_direction_NS_24const_host_device_scalarIT1_EES1_PKS1_PKT2_SA_S7_PKT4_PKT5_S5_PT6_21rocsparse_index_base_b,"axG",@progbits,_ZN9rocsparseL18bsrxmvn_4x4_kernelILj128ELj32EdllfddEEvT3_20rocsparse_direction_NS_24const_host_device_scalarIT1_EES1_PKS1_PKT2_SA_S7_PKT4_PKT5_S5_PT6_21rocsparse_index_base_b,comdat
	.globl	_ZN9rocsparseL18bsrxmvn_4x4_kernelILj128ELj32EdllfddEEvT3_20rocsparse_direction_NS_24const_host_device_scalarIT1_EES1_PKS1_PKT2_SA_S7_PKT4_PKT5_S5_PT6_21rocsparse_index_base_b ; -- Begin function _ZN9rocsparseL18bsrxmvn_4x4_kernelILj128ELj32EdllfddEEvT3_20rocsparse_direction_NS_24const_host_device_scalarIT1_EES1_PKS1_PKT2_SA_S7_PKT4_PKT5_S5_PT6_21rocsparse_index_base_b
	.p2align	8
	.type	_ZN9rocsparseL18bsrxmvn_4x4_kernelILj128ELj32EdllfddEEvT3_20rocsparse_direction_NS_24const_host_device_scalarIT1_EES1_PKS1_PKT2_SA_S7_PKT4_PKT5_S5_PT6_21rocsparse_index_base_b,@function
_ZN9rocsparseL18bsrxmvn_4x4_kernelILj128ELj32EdllfddEEvT3_20rocsparse_direction_NS_24const_host_device_scalarIT1_EES1_PKS1_PKT2_SA_S7_PKT4_PKT5_S5_PT6_21rocsparse_index_base_b: ; @_ZN9rocsparseL18bsrxmvn_4x4_kernelILj128ELj32EdllfddEEvT3_20rocsparse_direction_NS_24const_host_device_scalarIT1_EES1_PKS1_PKT2_SA_S7_PKT4_PKT5_S5_PT6_21rocsparse_index_base_b
; %bb.0:
	s_load_dwordx2 s[8:9], s[0:1], 0x60
	s_load_dwordx4 s[4:7], s[0:1], 0x10
	s_load_dwordx2 s[10:11], s[0:1], 0x50
	s_waitcnt lgkmcnt(0)
	s_bitcmp1_b32 s9, 0
	s_cselect_b64 s[14:15], -1, 0
	s_xor_b64 s[12:13], s[14:15], -1
	s_and_b64 vcc, exec, s[14:15]
	v_mov_b64_e32 v[10:11], s[4:5]
	s_cbranch_vccnz .LBB163_2
; %bb.1:
	v_mov_b64_e32 v[2:3], s[4:5]
	flat_load_dwordx2 v[10:11], v[2:3]
.LBB163_2:
	s_andn2_b64 vcc, exec, s[12:13]
	v_mov_b64_e32 v[8:9], s[10:11]
	s_cbranch_vccnz .LBB163_4
; %bb.3:
	v_mov_b64_e32 v[2:3], s[10:11]
	flat_load_dwordx2 v[8:9], v[2:3]
.LBB163_4:
	s_waitcnt vmcnt(0) lgkmcnt(0)
	v_cmp_neq_f64_e32 vcc, 0, v[10:11]
	v_cmp_neq_f64_e64 s[4:5], 1.0, v[8:9]
	s_mov_b64 s[10:11], 0
	s_or_b64 s[4:5], vcc, s[4:5]
	s_and_saveexec_b64 s[12:13], s[4:5]
	s_cbranch_execz .LBB163_10
; %bb.5:
	s_load_dwordx2 s[4:5], s[0:1], 0x20
	v_lshrrev_b32_e32 v1, 5, v0
	v_lshl_or_b32 v2, s2, 2, v1
	v_mov_b32_e32 v3, 0
	s_mov_b64 s[2:3], 0
	s_waitcnt lgkmcnt(0)
	s_cmp_lg_u64 s[4:5], 0
	s_cbranch_scc0 .LBB163_11
; %bb.6:
	v_cmp_gt_i64_e32 vcc, s[6:7], v[2:3]
                                        ; implicit-def: $vgpr12_vgpr13
                                        ; implicit-def: $vgpr6_vgpr7
	s_and_saveexec_b64 s[6:7], vcc
	s_xor_b64 s[6:7], exec, s[6:7]
	s_cbranch_execz .LBB163_8
; %bb.7:
	v_lshl_add_u64 v[4:5], v[2:3], 3, s[4:5]
	global_load_dwordx2 v[4:5], v[4:5], off
	s_mov_b32 s9, 0
	s_mov_b64 s[2:3], exec
	v_mov_b64_e32 v[6:7], s[8:9]
	s_waitcnt vmcnt(0)
	v_subrev_co_u32_e32 v12, vcc, s8, v4
	s_nop 1
	v_subbrev_co_u32_e32 v13, vcc, 0, v5, vcc
.LBB163_8:
	s_or_b64 exec, exec, s[6:7]
	s_mov_b64 s[10:11], s[2:3]
.LBB163_9:
	s_and_b64 exec, exec, s[10:11]
	s_cbranch_execnz .LBB163_15
.LBB163_10:
	s_endpgm
.LBB163_11:
                                        ; implicit-def: $vgpr12_vgpr13
                                        ; implicit-def: $vgpr6_vgpr7
	s_cbranch_execz .LBB163_9
; %bb.12:
	s_load_dwordx2 s[2:3], s[0:1], 0x0
	s_waitcnt lgkmcnt(0)
	v_cmp_gt_i64_e32 vcc, s[2:3], v[2:3]
	s_and_saveexec_b64 s[2:3], vcc
; %bb.13:
	s_mov_b32 s9, 0
	s_or_b64 s[10:11], s[10:11], exec
; %bb.14:
	s_or_b64 exec, exec, s[2:3]
	v_mov_b64_e32 v[6:7], s[8:9]
	v_mov_b64_e32 v[12:13], v[2:3]
	s_and_b64 exec, exec, s[10:11]
	s_cbranch_execz .LBB163_10
.LBB163_15:
	s_load_dwordx8 s[4:11], s[0:1], 0x28
	v_lshlrev_b64 v[2:3], 3, v[12:13]
	s_waitcnt lgkmcnt(0)
	v_lshl_add_u64 v[4:5], s[4:5], 0, v[2:3]
	s_cmp_eq_u64 s[6:7], 0
	v_lshl_add_u64 v[2:3], s[6:7], 0, v[2:3]
	global_load_dwordx2 v[28:29], v[4:5], off
	v_lshl_add_u64 v[4:5], v[4:5], 0, 8
	s_cselect_b64 vcc, -1, 0
	v_cndmask_b32_e32 v3, v3, v5, vcc
	v_cndmask_b32_e32 v2, v2, v4, vcc
	global_load_dwordx2 v[2:3], v[2:3], off
	s_load_dword s2, s[0:1], 0x8
	s_load_dwordx2 s[4:5], s[0:1], 0x48
	v_and_b32_e32 v4, 31, v0
	v_mov_b32_e32 v5, 0
	s_waitcnt lgkmcnt(0)
	s_cmp_eq_u32 s2, 1
	s_waitcnt vmcnt(1)
	v_sub_co_u32_e32 v0, vcc, v28, v6
	s_nop 1
	v_subb_co_u32_e32 v1, vcc, v29, v7, vcc
	v_lshl_add_u64 v[16:17], v[0:1], 0, v[4:5]
	s_waitcnt vmcnt(0)
	v_sub_co_u32_e32 v18, vcc, v2, v6
	v_lshlrev_b64 v[0:1], 6, v[16:17]
	s_nop 0
	v_subb_co_u32_e32 v19, vcc, v3, v7, vcc
	v_lshl_add_u64 v[20:21], s[10:11], 0, v[0:1]
	v_cmp_lt_i64_e64 s[2:3], v[16:17], v[18:19]
	s_cbranch_scc1 .LBB163_27
; %bb.16:
	v_mov_b64_e32 v[14:15], 0
	v_mov_b64_e32 v[22:23], 0
	;; [unrolled: 1-line block ×4, first 2 shown]
	s_and_saveexec_b64 s[6:7], s[2:3]
	s_cbranch_execz .LBB163_26
; %bb.17:
	v_or_b32_e32 v0, 32, v4
	v_sub_co_u32_e32 v0, vcc, v0, v6
	v_not_b32_e32 v3, v29
	s_nop 0
	v_subb_co_u32_e32 v1, vcc, 0, v7, vcc
	v_lshl_add_u64 v[0:1], v[0:1], 0, v[28:29]
	v_cmp_gt_i64_e32 vcc, v[0:1], v[18:19]
	v_not_b32_e32 v2, v28
	s_mov_b64 s[10:11], 0x60
	v_cndmask_b32_e32 v1, v19, v1, vcc
	v_cndmask_b32_e32 v0, v18, v0, vcc
	v_sub_co_u32_e32 v14, vcc, v6, v4
	v_mov_b64_e32 v[26:27], 0
	s_nop 0
	v_subbrev_co_u32_e32 v15, vcc, 0, v7, vcc
	v_lshl_add_u64 v[2:3], v[14:15], 0, v[2:3]
	v_lshl_add_u64 v[0:1], v[2:3], 0, v[0:1]
	v_and_b32_e32 v2, 0x60, v0
	v_mov_b32_e32 v3, 0
	v_cmp_ne_u64_e32 vcc, s[10:11], v[2:3]
	v_mov_b64_e32 v[24:25], 0
	v_mov_b64_e32 v[22:23], 0
	;; [unrolled: 1-line block ×5, first 2 shown]
	s_and_saveexec_b64 s[10:11], vcc
	s_cbranch_execz .LBB163_21
; %bb.18:
	v_lshrrev_b32_e32 v2, 5, v0
	v_add_u32_e32 v2, 1, v2
	v_and_b32_e32 v5, 3, v2
	v_sub_co_u32_e32 v34, vcc, 0, v5
	v_lshl_add_u64 v[2:3], v[16:17], 3, s[8:9]
	s_nop 0
	v_subb_co_u32_e64 v35, s[14:15], 0, 0, vcc
	s_mov_b64 s[12:13], 0
	v_mov_b64_e32 v[14:15], 0
	s_mov_b64 s[14:15], 0x800
	s_mov_b64 s[16:17], 0x100
	v_mov_b64_e32 v[32:33], v[20:21]
	v_mov_b64_e32 v[30:31], v[16:17]
	;; [unrolled: 1-line block ×5, first 2 shown]
.LBB163_19:                             ; =>This Inner Loop Header: Depth=1
	global_load_dwordx2 v[52:53], v[2:3], off
	global_load_dwordx4 v[36:39], v[32:33], off
	global_load_dwordx4 v[40:43], v[32:33], off offset:16
	global_load_dwordx4 v[44:47], v[32:33], off offset:32
	;; [unrolled: 1-line block ×3, first 2 shown]
	v_lshl_add_u64 v[34:35], v[34:35], 0, 1
	v_lshl_add_u64 v[32:33], v[32:33], 0, s[14:15]
	;; [unrolled: 1-line block ×4, first 2 shown]
	s_waitcnt vmcnt(4)
	v_sub_co_u32_e32 v52, vcc, v52, v6
	s_nop 1
	v_subb_co_u32_e32 v53, vcc, v53, v7, vcc
	v_lshlrev_b64 v[52:53], 5, v[52:53]
	v_lshl_add_u64 v[60:61], s[4:5], 0, v[52:53]
	global_load_dwordx4 v[52:55], v[60:61], off
	global_load_dwordx4 v[56:59], v[60:61], off offset:16
	s_waitcnt vmcnt(5)
	v_cvt_f64_f32_e32 v[60:61], v36
	s_waitcnt vmcnt(4)
	v_cvt_f64_f32_e32 v[64:65], v40
	;; [unrolled: 2-line block ×4, first 2 shown]
	v_cvt_f64_f32_e32 v[36:37], v37
	v_cvt_f64_f32_e32 v[40:41], v41
	;; [unrolled: 1-line block ×8, first 2 shown]
	v_cmp_eq_u64_e32 vcc, 0, v[34:35]
	v_cvt_f64_f32_e32 v[38:39], v39
	v_cvt_f64_f32_e32 v[42:43], v43
	;; [unrolled: 1-line block ×4, first 2 shown]
	s_or_b64 s[12:13], vcc, s[12:13]
	s_waitcnt vmcnt(1)
	v_fmac_f64_e32 v[26:27], v[60:61], v[52:53]
	v_fmac_f64_e32 v[24:25], v[64:65], v[52:53]
	;; [unrolled: 1-line block ×8, first 2 shown]
	s_waitcnt vmcnt(0)
	v_fmac_f64_e32 v[26:27], v[62:63], v[56:57]
	v_fmac_f64_e32 v[24:25], v[66:67], v[56:57]
	;; [unrolled: 1-line block ×8, first 2 shown]
	s_andn2_b64 exec, exec, s[12:13]
	s_cbranch_execnz .LBB163_19
; %bb.20:
	s_or_b64 exec, exec, s[12:13]
.LBB163_21:
	s_or_b64 exec, exec, s[10:11]
	s_mov_b64 s[10:11], 0x5f
	v_cmp_lt_u64_e32 vcc, s[10:11], v[0:1]
	s_and_saveexec_b64 s[10:11], vcc
	s_cbranch_execz .LBB163_25
; %bb.22:
	v_lshl_add_u64 v[0:1], v[30:31], 3, s[8:9]
	s_mov_b64 s[12:13], 0x200
	v_lshl_add_u64 v[34:35], v[0:1], 0, s[12:13]
	s_mov_b64 s[12:13], 0
	s_mov_b64 s[14:15], 0x1000
	s_movk_i32 s22, 0x1000
	s_mov_b64 s[16:17], 0x80
	s_mov_b64 s[18:19], 0x400
	;; [unrolled: 1-line block ×3, first 2 shown]
.LBB163_23:                             ; =>This Inner Loop Header: Depth=1
	global_load_dwordx2 v[0:1], v[34:35], off offset:-512
	v_lshl_add_u64 v[30:31], v[30:31], 0, s[16:17]
	s_waitcnt vmcnt(0)
	v_sub_co_u32_e32 v48, vcc, v0, v6
	s_nop 1
	v_subb_co_u32_e32 v49, vcc, v1, v7, vcc
	v_lshlrev_b64 v[48:49], 5, v[48:49]
	global_load_dwordx4 v[0:3], v[32:33], off offset:48
	global_load_dwordx4 v[36:39], v[32:33], off offset:32
	;; [unrolled: 1-line block ×3, first 2 shown]
	global_load_dwordx4 v[44:47], v[32:33], off
	v_lshl_add_u64 v[58:59], s[4:5], 0, v[48:49]
	global_load_dwordx4 v[48:51], v[58:59], off offset:16
	global_load_dwordx4 v[52:55], v[58:59], off
	s_waitcnt vmcnt(2)
	v_cvt_f64_f32_e32 v[56:57], v44
	v_cvt_f64_f32_e32 v[44:45], v45
	s_waitcnt vmcnt(0)
	v_fmac_f64_e32 v[26:27], v[56:57], v[52:53]
	v_fmac_f64_e32 v[26:27], v[44:45], v[54:55]
	v_cvt_f64_f32_e32 v[44:45], v46
	v_fmac_f64_e32 v[26:27], v[44:45], v[48:49]
	v_cvt_f64_f32_e32 v[44:45], v47
	v_fmac_f64_e32 v[26:27], v[44:45], v[50:51]
	v_cvt_f64_f32_e32 v[44:45], v40
	v_fmac_f64_e32 v[24:25], v[44:45], v[52:53]
	v_cvt_f64_f32_e32 v[40:41], v41
	v_fmac_f64_e32 v[24:25], v[40:41], v[54:55]
	v_cvt_f64_f32_e32 v[40:41], v42
	v_fmac_f64_e32 v[24:25], v[40:41], v[48:49]
	v_cvt_f64_f32_e32 v[40:41], v43
	v_fmac_f64_e32 v[24:25], v[40:41], v[50:51]
	v_cvt_f64_f32_e32 v[40:41], v36
	v_fmac_f64_e32 v[22:23], v[40:41], v[52:53]
	v_cvt_f64_f32_e32 v[36:37], v37
	v_fmac_f64_e32 v[22:23], v[36:37], v[54:55]
	v_cvt_f64_f32_e32 v[36:37], v38
	v_fmac_f64_e32 v[22:23], v[36:37], v[48:49]
	v_cvt_f64_f32_e32 v[36:37], v39
	v_fmac_f64_e32 v[22:23], v[36:37], v[50:51]
	v_cvt_f64_f32_e32 v[36:37], v0
	v_fmac_f64_e32 v[14:15], v[36:37], v[52:53]
	v_cvt_f64_f32_e32 v[0:1], v1
	v_fmac_f64_e32 v[14:15], v[0:1], v[54:55]
	v_cvt_f64_f32_e32 v[0:1], v2
	v_fmac_f64_e32 v[14:15], v[0:1], v[48:49]
	v_cvt_f64_f32_e32 v[0:1], v3
	v_fmac_f64_e32 v[14:15], v[0:1], v[50:51]
	global_load_dwordx2 v[0:1], v[34:35], off offset:-256
	s_waitcnt vmcnt(0)
	v_sub_co_u32_e32 v48, vcc, v0, v6
	s_nop 1
	v_subb_co_u32_e32 v49, vcc, v1, v7, vcc
	v_lshlrev_b64 v[48:49], 5, v[48:49]
	global_load_dwordx4 v[0:3], v[32:33], off offset:2096
	global_load_dwordx4 v[36:39], v[32:33], off offset:2080
	;; [unrolled: 1-line block ×4, first 2 shown]
	v_lshl_add_u64 v[58:59], s[4:5], 0, v[48:49]
	global_load_dwordx4 v[48:51], v[58:59], off offset:16
	global_load_dwordx4 v[52:55], v[58:59], off
	s_waitcnt vmcnt(2)
	v_cvt_f64_f32_e32 v[56:57], v44
	v_cvt_f64_f32_e32 v[44:45], v45
	s_waitcnt vmcnt(0)
	v_fmac_f64_e32 v[26:27], v[56:57], v[52:53]
	v_fmac_f64_e32 v[26:27], v[44:45], v[54:55]
	v_cvt_f64_f32_e32 v[44:45], v46
	v_fmac_f64_e32 v[26:27], v[44:45], v[48:49]
	v_cvt_f64_f32_e32 v[44:45], v47
	v_fmac_f64_e32 v[26:27], v[44:45], v[50:51]
	v_cvt_f64_f32_e32 v[44:45], v40
	v_fmac_f64_e32 v[24:25], v[44:45], v[52:53]
	v_cvt_f64_f32_e32 v[40:41], v41
	v_fmac_f64_e32 v[24:25], v[40:41], v[54:55]
	v_cvt_f64_f32_e32 v[40:41], v42
	v_fmac_f64_e32 v[24:25], v[40:41], v[48:49]
	v_cvt_f64_f32_e32 v[40:41], v43
	v_fmac_f64_e32 v[24:25], v[40:41], v[50:51]
	v_cvt_f64_f32_e32 v[40:41], v36
	v_fmac_f64_e32 v[22:23], v[40:41], v[52:53]
	v_cvt_f64_f32_e32 v[36:37], v37
	v_fmac_f64_e32 v[22:23], v[36:37], v[54:55]
	v_cvt_f64_f32_e32 v[36:37], v38
	v_fmac_f64_e32 v[22:23], v[36:37], v[48:49]
	v_cvt_f64_f32_e32 v[36:37], v39
	v_fmac_f64_e32 v[22:23], v[36:37], v[50:51]
	v_cvt_f64_f32_e32 v[36:37], v0
	v_fmac_f64_e32 v[14:15], v[36:37], v[52:53]
	v_cvt_f64_f32_e32 v[0:1], v1
	v_fmac_f64_e32 v[14:15], v[0:1], v[54:55]
	v_cvt_f64_f32_e32 v[0:1], v2
	v_fmac_f64_e32 v[14:15], v[0:1], v[48:49]
	v_cvt_f64_f32_e32 v[0:1], v3
	v_fmac_f64_e32 v[14:15], v[0:1], v[50:51]
	global_load_dwordx2 v[0:1], v[34:35], off
	v_lshl_add_u64 v[36:37], v[32:33], 0, s[14:15]
	s_waitcnt vmcnt(0)
	v_sub_co_u32_e32 v50, vcc, v0, v6
	s_nop 1
	v_subb_co_u32_e32 v51, vcc, v1, v7, vcc
	v_add_co_u32_e32 v52, vcc, s22, v32
	v_lshlrev_b64 v[50:51], 5, v[50:51]
	s_nop 0
	v_addc_co_u32_e32 v53, vcc, 0, v33, vcc
	v_lshl_add_u64 v[60:61], s[4:5], 0, v[50:51]
	global_load_dwordx4 v[0:3], v[52:53], off
	global_load_dwordx4 v[38:41], v[36:37], off offset:48
	global_load_dwordx4 v[42:45], v[36:37], off offset:32
	;; [unrolled: 1-line block ×3, first 2 shown]
	s_nop 0
	global_load_dwordx4 v[50:53], v[60:61], off offset:16
	global_load_dwordx4 v[54:57], v[60:61], off
	v_lshl_add_u64 v[32:33], v[32:33], 0, s[20:21]
	s_waitcnt vmcnt(5)
	v_cvt_f64_f32_e32 v[58:59], v0
	v_cvt_f64_f32_e32 v[0:1], v1
	s_waitcnt vmcnt(0)
	v_fmac_f64_e32 v[26:27], v[58:59], v[54:55]
	v_fmac_f64_e32 v[26:27], v[0:1], v[56:57]
	v_cvt_f64_f32_e32 v[0:1], v2
	v_fmac_f64_e32 v[26:27], v[0:1], v[50:51]
	v_cvt_f64_f32_e32 v[0:1], v3
	;; [unrolled: 2-line block ×14, first 2 shown]
	v_fmac_f64_e32 v[14:15], v[0:1], v[52:53]
	global_load_dwordx2 v[0:1], v[34:35], off offset:256
	v_lshl_add_u64 v[34:35], v[34:35], 0, s[18:19]
	s_waitcnt vmcnt(0)
	v_sub_co_u32_e32 v50, vcc, v0, v6
	s_nop 1
	v_subb_co_u32_e32 v51, vcc, v1, v7, vcc
	v_lshlrev_b64 v[50:51], 5, v[50:51]
	global_load_dwordx4 v[0:3], v[36:37], off offset:2096
	global_load_dwordx4 v[38:41], v[36:37], off offset:2080
	;; [unrolled: 1-line block ×4, first 2 shown]
	v_lshl_add_u64 v[58:59], s[4:5], 0, v[50:51]
	global_load_dwordx4 v[50:53], v[58:59], off offset:16
	global_load_dwordx4 v[54:57], v[58:59], off
	v_cmp_ge_i64_e32 vcc, v[30:31], v[18:19]
	s_or_b64 s[12:13], vcc, s[12:13]
	s_waitcnt vmcnt(2)
	v_cvt_f64_f32_e32 v[36:37], v46
	s_waitcnt vmcnt(0)
	v_fmac_f64_e32 v[26:27], v[36:37], v[54:55]
	v_cvt_f64_f32_e32 v[36:37], v47
	v_fmac_f64_e32 v[26:27], v[36:37], v[56:57]
	v_cvt_f64_f32_e32 v[36:37], v48
	;; [unrolled: 2-line block ×15, first 2 shown]
	v_fmac_f64_e32 v[14:15], v[0:1], v[52:53]
	s_andn2_b64 exec, exec, s[12:13]
	s_cbranch_execnz .LBB163_23
; %bb.24:
	s_or_b64 exec, exec, s[12:13]
.LBB163_25:
	s_or_b64 exec, exec, s[10:11]
.LBB163_26:
	s_or_b64 exec, exec, s[6:7]
	s_cbranch_execz .LBB163_28
	s_branch .LBB163_39
.LBB163_27:
                                        ; implicit-def: $vgpr14_vgpr15
                                        ; implicit-def: $vgpr22_vgpr23
                                        ; implicit-def: $vgpr24_vgpr25
                                        ; implicit-def: $vgpr26_vgpr27
.LBB163_28:
	v_mov_b64_e32 v[14:15], 0
	v_mov_b64_e32 v[22:23], 0
	;; [unrolled: 1-line block ×4, first 2 shown]
	s_and_saveexec_b64 s[6:7], s[2:3]
	s_cbranch_execz .LBB163_38
; %bb.29:
	v_or_b32_e32 v0, 32, v4
	v_sub_co_u32_e32 v0, vcc, v0, v6
	v_not_b32_e32 v3, v29
	s_nop 0
	v_subb_co_u32_e32 v1, vcc, 0, v7, vcc
	v_lshl_add_u64 v[0:1], v[0:1], 0, v[28:29]
	v_cmp_gt_i64_e32 vcc, v[0:1], v[18:19]
	v_not_b32_e32 v2, v28
	s_mov_b64 s[2:3], 0x60
	v_cndmask_b32_e32 v1, v19, v1, vcc
	v_cndmask_b32_e32 v0, v18, v0, vcc
	v_sub_co_u32_e32 v14, vcc, v6, v4
	v_mov_b64_e32 v[26:27], 0
	s_nop 0
	v_subbrev_co_u32_e32 v15, vcc, 0, v7, vcc
	v_lshl_add_u64 v[2:3], v[14:15], 0, v[2:3]
	v_lshl_add_u64 v[0:1], v[2:3], 0, v[0:1]
	v_and_b32_e32 v2, 0x60, v0
	v_mov_b32_e32 v3, 0
	v_cmp_ne_u64_e32 vcc, s[2:3], v[2:3]
	v_mov_b64_e32 v[24:25], 0
	v_mov_b64_e32 v[22:23], 0
	;; [unrolled: 1-line block ×3, first 2 shown]
	s_and_saveexec_b64 s[2:3], vcc
	s_cbranch_execz .LBB163_33
; %bb.30:
	v_lshrrev_b32_e32 v2, 5, v0
	v_add_u32_e32 v2, 1, v2
	v_and_b32_e32 v5, 3, v2
	v_sub_co_u32_e32 v28, vcc, 0, v5
	v_lshl_add_u64 v[2:3], v[16:17], 3, s[8:9]
	s_nop 0
	v_subb_co_u32_e64 v29, s[12:13], 0, 0, vcc
	s_mov_b64 s[10:11], 0
	v_mov_b64_e32 v[14:15], 0
	s_mov_b64 s[12:13], 0x800
	s_mov_b64 s[14:15], 0x100
	v_mov_b64_e32 v[22:23], 0
	v_mov_b64_e32 v[24:25], 0
	;; [unrolled: 1-line block ×3, first 2 shown]
.LBB163_31:                             ; =>This Inner Loop Header: Depth=1
	global_load_dwordx2 v[42:43], v[2:3], off
	global_load_dwordx4 v[30:33], v[20:21], off
	global_load_dwordx4 v[34:37], v[20:21], off offset:16
	global_load_dwordx4 v[38:41], v[20:21], off offset:32
	v_lshl_add_u64 v[28:29], v[28:29], 0, 1
	v_lshl_add_u64 v[16:17], v[16:17], 0, 32
	;; [unrolled: 1-line block ×3, first 2 shown]
	s_waitcnt vmcnt(3)
	v_sub_co_u32_e32 v42, vcc, v42, v6
	s_nop 1
	v_subb_co_u32_e32 v43, vcc, v43, v7, vcc
	v_lshlrev_b64 v[42:43], 5, v[42:43]
	v_lshl_add_u64 v[54:55], s[4:5], 0, v[42:43]
	global_load_dwordx4 v[42:45], v[54:55], off offset:16
	global_load_dwordx4 v[46:49], v[54:55], off
	global_load_dwordx4 v[50:53], v[20:21], off offset:48
	s_waitcnt vmcnt(5)
	v_cvt_f64_f32_e32 v[54:55], v30
	v_cvt_f64_f32_e32 v[30:31], v31
	v_cvt_f64_f32_e32 v[56:57], v32
	v_cvt_f64_f32_e32 v[32:33], v33
	s_waitcnt vmcnt(4)
	v_cvt_f64_f32_e32 v[58:59], v34
	v_cvt_f64_f32_e32 v[34:35], v35
	v_cvt_f64_f32_e32 v[60:61], v36
	v_cvt_f64_f32_e32 v[36:37], v37
	;; [unrolled: 5-line block ×3, first 2 shown]
	v_cmp_eq_u64_e32 vcc, 0, v[28:29]
	v_lshl_add_u64 v[20:21], v[20:21], 0, s[12:13]
	s_or_b64 s[10:11], vcc, s[10:11]
	s_waitcnt vmcnt(1)
	v_fmac_f64_e32 v[26:27], v[54:55], v[46:47]
	v_fmac_f64_e32 v[24:25], v[30:31], v[46:47]
	;; [unrolled: 1-line block ×8, first 2 shown]
	s_waitcnt vmcnt(0)
	v_cvt_f64_f32_e32 v[66:67], v50
	v_cvt_f64_f32_e32 v[50:51], v51
	;; [unrolled: 1-line block ×4, first 2 shown]
	v_fmac_f64_e32 v[26:27], v[62:63], v[42:43]
	v_fmac_f64_e32 v[24:25], v[38:39], v[42:43]
	;; [unrolled: 1-line block ×8, first 2 shown]
	s_andn2_b64 exec, exec, s[10:11]
	s_cbranch_execnz .LBB163_31
; %bb.32:
	s_or_b64 exec, exec, s[10:11]
.LBB163_33:
	s_or_b64 exec, exec, s[2:3]
	s_mov_b64 s[2:3], 0x5f
	v_cmp_lt_u64_e32 vcc, s[2:3], v[0:1]
	s_and_saveexec_b64 s[10:11], vcc
	s_cbranch_execz .LBB163_37
; %bb.34:
	v_lshl_add_u64 v[0:1], v[16:17], 3, s[8:9]
	s_mov_b64 s[2:3], 0x200
	v_lshl_add_u64 v[0:1], v[0:1], 0, s[2:3]
	s_mov_b64 s[8:9], 0
	s_mov_b64 s[12:13], 0x1000
	s_movk_i32 s20, 0x1000
	s_mov_b64 s[14:15], 0x80
	s_mov_b64 s[16:17], 0x400
	;; [unrolled: 1-line block ×3, first 2 shown]
.LBB163_35:                             ; =>This Inner Loop Header: Depth=1
	global_load_dwordx2 v[2:3], v[0:1], off offset:-512
	global_load_dwordx4 v[28:31], v[20:21], off
	global_load_dwordx4 v[32:35], v[20:21], off offset:16
	global_load_dwordx4 v[36:39], v[20:21], off offset:32
	global_load_dwordx4 v[40:43], v[20:21], off offset:48
	global_load_dwordx4 v[44:47], v[20:21], off offset:2048
	global_load_dwordx4 v[48:51], v[20:21], off offset:2064
	global_load_dwordx4 v[54:57], v[20:21], off offset:2080
	global_load_dwordx2 v[58:59], v[0:1], off offset:-256
	v_lshl_add_u64 v[16:17], v[16:17], 0, s[14:15]
	s_waitcnt vmcnt(8)
	v_sub_co_u32_e32 v2, vcc, v2, v6
	s_nop 1
	v_subb_co_u32_e32 v3, vcc, v3, v7, vcc
	v_lshlrev_b64 v[2:3], 5, v[2:3]
	s_waitcnt vmcnt(6)
	v_cvt_f64_f32_e32 v[82:83], v32
	v_cvt_f64_f32_e32 v[84:85], v33
	;; [unrolled: 1-line block ×4, first 2 shown]
	s_waitcnt vmcnt(1)
	v_cvt_f64_f32_e32 v[32:33], v56
	v_cvt_f64_f32_e32 v[34:35], v57
	v_lshl_add_u64 v[56:57], s[4:5], 0, v[2:3]
	v_cvt_f64_f32_e32 v[90:91], v36
	v_cvt_f64_f32_e32 v[92:93], v37
	;; [unrolled: 1-line block ×4, first 2 shown]
	global_load_dwordx4 v[36:39], v[56:57], off
	v_cvt_f64_f32_e32 v[78:79], v30
	v_cvt_f64_f32_e32 v[72:73], v48
	;; [unrolled: 1-line block ×3, first 2 shown]
	global_load_dwordx2 v[2:3], v[0:1], off
	global_load_dwordx2 v[48:49], v[0:1], off offset:256
	v_cvt_f64_f32_e32 v[64:65], v44
	v_cvt_f64_f32_e32 v[66:67], v45
	;; [unrolled: 1-line block ×4, first 2 shown]
	s_waitcnt vmcnt(3)
	v_sub_co_u32_e32 v106, vcc, v58, v6
	v_cvt_f64_f32_e32 v[62:63], v29
	s_nop 0
	v_subb_co_u32_e32 v107, vcc, v59, v7, vcc
	v_cvt_f64_f32_e32 v[60:61], v28
	v_cvt_f64_f32_e32 v[80:81], v31
	;; [unrolled: 1-line block ×6, first 2 shown]
	global_load_dwordx4 v[56:59], v[56:57], off offset:16
	v_cvt_f64_f32_e32 v[98:99], v40
	v_cvt_f64_f32_e32 v[100:101], v41
	;; [unrolled: 1-line block ×4, first 2 shown]
	global_load_dwordx4 v[40:43], v[20:21], off offset:2096
	v_lshl_add_u64 v[0:1], v[0:1], 0, s[16:17]
	s_waitcnt vmcnt(4)
	v_fmac_f64_e32 v[22:23], v[78:79], v[36:37]
	v_lshl_add_u64 v[78:79], v[20:21], 0, s[12:13]
	global_load_dwordx4 v[44:47], v[78:79], off offset:16
	v_fmac_f64_e32 v[24:25], v[62:63], v[36:37]
	s_waitcnt vmcnt(4)
	v_sub_co_u32_e64 v54, s[2:3], v2, v6
	s_waitcnt vmcnt(3)
	v_sub_co_u32_e32 v50, vcc, v48, v6
	v_fmac_f64_e32 v[26:27], v[60:61], v[36:37]
	v_fmac_f64_e32 v[14:15], v[80:81], v[36:37]
	;; [unrolled: 1-line block ×4, first 2 shown]
	v_subb_co_u32_e64 v55, s[2:3], v3, v7, s[2:3]
	v_subb_co_u32_e32 v51, vcc, v49, v7, vcc
	global_load_dwordx4 v[60:63], v[78:79], off offset:48
	v_fmac_f64_e32 v[26:27], v[82:83], v[38:39]
	v_fmac_f64_e32 v[14:15], v[88:89], v[38:39]
	global_load_dwordx4 v[84:87], v[78:79], off offset:2048
	s_waitcnt vmcnt(4)
	v_fmac_f64_e32 v[26:27], v[90:91], v[56:57]
	v_fmac_f64_e32 v[24:25], v[92:93], v[56:57]
	;; [unrolled: 1-line block ×8, first 2 shown]
	s_waitcnt vmcnt(2)
	v_cvt_f64_f32_e32 v[36:37], v46
	v_cvt_f64_f32_e32 v[2:3], v47
	global_load_dwordx4 v[46:49], v[78:79], off offset:32
	v_cvt_f64_f32_e32 v[38:39], v44
	s_waitcnt vmcnt(2)
	v_cvt_f64_f32_e32 v[56:57], v60
	v_cvt_f64_f32_e32 v[58:59], v61
	v_cvt_f64_f32_e32 v[60:61], v62
	v_cvt_f64_f32_e32 v[62:63], v63
	s_waitcnt vmcnt(1)
	v_cvt_f64_f32_e32 v[90:91], v84
	v_cvt_f64_f32_e32 v[92:93], v85
	v_lshlrev_b64 v[84:85], 5, v[106:107]
	v_cvt_f64_f32_e32 v[94:95], v86
	v_cvt_f64_f32_e32 v[96:97], v87
	v_lshl_add_u64 v[98:99], s[4:5], 0, v[84:85]
	global_load_dwordx4 v[84:87], v[98:99], off
	s_waitcnt vmcnt(0)
	v_fmac_f64_e32 v[26:27], v[64:65], v[84:85]
	v_fmac_f64_e32 v[24:25], v[66:67], v[84:85]
	global_load_dwordx4 v[64:67], v[78:79], off offset:2064
	v_fmac_f64_e32 v[22:23], v[68:69], v[84:85]
	v_fmac_f64_e32 v[14:15], v[70:71], v[84:85]
	;; [unrolled: 1-line block ×6, first 2 shown]
	s_waitcnt vmcnt(0)
	v_cvt_f64_f32_e32 v[68:69], v64
	v_cvt_f64_f32_e32 v[70:71], v65
	;; [unrolled: 1-line block ×4, first 2 shown]
	global_load_dwordx4 v[64:67], v[78:79], off offset:2080
	s_waitcnt vmcnt(0)
	v_cvt_f64_f32_e32 v[76:77], v64
	v_cvt_f64_f32_e32 v[84:85], v65
	;; [unrolled: 1-line block ×4, first 2 shown]
	global_load_dwordx4 v[64:67], v[98:99], off offset:16
	s_waitcnt vmcnt(0)
	v_fmac_f64_e32 v[26:27], v[28:29], v[64:65]
	v_fmac_f64_e32 v[24:25], v[30:31], v[64:65]
	global_load_dwordx4 v[28:31], v[78:79], off offset:2096
	v_fmac_f64_e32 v[22:23], v[32:33], v[64:65]
	v_add_co_u32_e32 v32, vcc, s20, v20
	v_fmac_f64_e32 v[14:15], v[34:35], v[64:65]
	s_nop 0
	v_addc_co_u32_e32 v33, vcc, 0, v21, vcc
	global_load_dwordx4 v[32:35], v[32:33], off
	v_cvt_f64_f32_e32 v[88:89], v40
	v_cvt_f64_f32_e32 v[108:109], v41
	;; [unrolled: 1-line block ×9, first 2 shown]
	v_cmp_ge_i64_e32 vcc, v[16:17], v[18:19]
	v_lshl_add_u64 v[20:21], v[20:21], 0, s[18:19]
	v_fmac_f64_e32 v[26:27], v[88:89], v[66:67]
	v_fmac_f64_e32 v[24:25], v[108:109], v[66:67]
	;; [unrolled: 1-line block ×4, first 2 shown]
	s_or_b64 s[8:9], vcc, s[8:9]
	s_waitcnt vmcnt(1)
	v_cvt_f64_f32_e32 v[64:65], v28
	v_cvt_f64_f32_e32 v[66:67], v29
	v_lshlrev_b64 v[28:29], 5, v[54:55]
	v_cvt_f64_f32_e32 v[78:79], v30
	v_cvt_f64_f32_e32 v[80:81], v31
	v_lshl_add_u64 v[54:55], s[4:5], 0, v[28:29]
	global_load_dwordx4 v[28:31], v[54:55], off
	s_waitcnt vmcnt(1)
	v_cvt_f64_f32_e32 v[52:53], v32
	v_cvt_f64_f32_e32 v[32:33], v33
	;; [unrolled: 1-line block ×4, first 2 shown]
	s_waitcnt vmcnt(0)
	v_fmac_f64_e32 v[24:25], v[32:33], v[28:29]
	v_lshlrev_b64 v[32:33], 5, v[50:51]
	v_fmac_f64_e32 v[14:15], v[34:35], v[28:29]
	v_fmac_f64_e32 v[26:27], v[52:53], v[28:29]
	;; [unrolled: 1-line block ×3, first 2 shown]
	v_lshl_add_u64 v[50:51], s[4:5], 0, v[32:33]
	global_load_dwordx4 v[32:35], v[54:55], off offset:16
	v_fmac_f64_e32 v[26:27], v[38:39], v[30:31]
	v_fmac_f64_e32 v[24:25], v[40:41], v[30:31]
	;; [unrolled: 1-line block ×4, first 2 shown]
	global_load_dwordx4 v[38:41], v[50:51], off
	s_waitcnt vmcnt(1)
	v_fmac_f64_e32 v[26:27], v[42:43], v[32:33]
	global_load_dwordx4 v[50:53], v[50:51], off offset:16
	v_fmac_f64_e32 v[24:25], v[44:45], v[32:33]
	v_fmac_f64_e32 v[22:23], v[46:47], v[32:33]
	;; [unrolled: 1-line block ×7, first 2 shown]
	s_waitcnt vmcnt(1)
	v_fmac_f64_e32 v[26:27], v[90:91], v[38:39]
	v_fmac_f64_e32 v[24:25], v[92:93], v[38:39]
	;; [unrolled: 1-line block ×8, first 2 shown]
	s_waitcnt vmcnt(0)
	v_fmac_f64_e32 v[26:27], v[76:77], v[50:51]
	v_fmac_f64_e32 v[24:25], v[84:85], v[50:51]
	;; [unrolled: 1-line block ×8, first 2 shown]
	s_andn2_b64 exec, exec, s[8:9]
	s_cbranch_execnz .LBB163_35
; %bb.36:
	s_or_b64 exec, exec, s[8:9]
.LBB163_37:
	s_or_b64 exec, exec, s[10:11]
.LBB163_38:
	s_or_b64 exec, exec, s[6:7]
.LBB163_39:
	v_mov_b32_dpp v18, v22 row_shr:1 row_mask:0xf bank_mask:0xf
	v_mov_b32_dpp v19, v23 row_shr:1 row_mask:0xf bank_mask:0xf
	v_mov_b32_dpp v0, v26 row_shr:1 row_mask:0xf bank_mask:0xf
	v_mov_b32_dpp v1, v27 row_shr:1 row_mask:0xf bank_mask:0xf
	v_mov_b32_dpp v6, v24 row_shr:1 row_mask:0xf bank_mask:0xf
	v_mov_b32_dpp v7, v25 row_shr:1 row_mask:0xf bank_mask:0xf
	v_add_f64 v[18:19], v[22:23], v[18:19]
	v_mov_b32_dpp v22, v14 row_shr:1 row_mask:0xf bank_mask:0xf
	v_mov_b32_dpp v23, v15 row_shr:1 row_mask:0xf bank_mask:0xf
	v_add_f64 v[0:1], v[26:27], v[0:1]
	v_add_f64 v[6:7], v[24:25], v[6:7]
	v_add_f64 v[14:15], v[14:15], v[22:23]
	v_mov_b32_dpp v2, v0 row_shr:2 row_mask:0xf bank_mask:0xf
	v_mov_b32_dpp v3, v1 row_shr:2 row_mask:0xf bank_mask:0xf
	v_mov_b32_dpp v16, v6 row_shr:2 row_mask:0xf bank_mask:0xf
	v_mov_b32_dpp v17, v7 row_shr:2 row_mask:0xf bank_mask:0xf
	v_mov_b32_dpp v20, v18 row_shr:2 row_mask:0xf bank_mask:0xf
	v_mov_b32_dpp v21, v19 row_shr:2 row_mask:0xf bank_mask:0xf
	v_mov_b32_dpp v22, v14 row_shr:2 row_mask:0xf bank_mask:0xf
	v_mov_b32_dpp v23, v15 row_shr:2 row_mask:0xf bank_mask:0xf
	v_add_f64 v[0:1], v[0:1], v[2:3]
	v_add_f64 v[6:7], v[6:7], v[16:17]
	v_add_f64 v[18:19], v[18:19], v[20:21]
	v_add_f64 v[14:15], v[14:15], v[22:23]
	v_mov_b32_dpp v2, v0 row_shr:4 row_mask:0xf bank_mask:0xe
	v_mov_b32_dpp v3, v1 row_shr:4 row_mask:0xf bank_mask:0xe
	v_mov_b32_dpp v16, v6 row_shr:4 row_mask:0xf bank_mask:0xe
	v_mov_b32_dpp v17, v7 row_shr:4 row_mask:0xf bank_mask:0xe
	v_mov_b32_dpp v20, v18 row_shr:4 row_mask:0xf bank_mask:0xe
	v_mov_b32_dpp v21, v19 row_shr:4 row_mask:0xf bank_mask:0xe
	v_mov_b32_dpp v22, v14 row_shr:4 row_mask:0xf bank_mask:0xe
	v_mov_b32_dpp v23, v15 row_shr:4 row_mask:0xf bank_mask:0xe
	v_add_f64 v[0:1], v[0:1], v[2:3]
	;; [unrolled: 12-line block ×3, first 2 shown]
	v_add_f64 v[6:7], v[6:7], v[16:17]
	v_add_f64 v[18:19], v[18:19], v[20:21]
	;; [unrolled: 1-line block ×3, first 2 shown]
	v_mov_b32_dpp v2, v0 row_bcast:15 row_mask:0xa bank_mask:0xf
	v_mov_b32_dpp v3, v1 row_bcast:15 row_mask:0xa bank_mask:0xf
	;; [unrolled: 1-line block ×8, first 2 shown]
	v_cmp_eq_u32_e32 vcc, 31, v4
	s_and_b64 exec, exec, vcc
	s_cbranch_execz .LBB163_10
; %bb.40:
	s_load_dwordx2 s[0:1], s[0:1], 0x58
	v_add_f64 v[0:1], v[0:1], v[2:3]
	v_add_f64 v[2:3], v[6:7], v[16:17]
	;; [unrolled: 1-line block ×4, first 2 shown]
	v_cmp_eq_f64_e32 vcc, 0, v[8:9]
	v_mul_f64 v[4:5], v[10:11], v[0:1]
	v_mul_f64 v[6:7], v[10:11], v[2:3]
	;; [unrolled: 1-line block ×4, first 2 shown]
	v_lshlrev_b64 v[10:11], 5, v[12:13]
	s_and_saveexec_b64 s[2:3], vcc
	s_xor_b64 s[2:3], exec, s[2:3]
	s_cbranch_execz .LBB163_42
; %bb.41:
	s_waitcnt lgkmcnt(0)
	v_lshl_add_u64 v[8:9], s[0:1], 0, v[10:11]
	global_store_dwordx4 v[8:9], v[4:7], off
	global_store_dwordx4 v[8:9], v[0:3], off offset:16
                                        ; implicit-def: $vgpr10_vgpr11
                                        ; implicit-def: $vgpr8_vgpr9
                                        ; implicit-def: $vgpr4_vgpr5
                                        ; implicit-def: $vgpr0_vgpr1
.LBB163_42:
	s_andn2_saveexec_b64 s[2:3], s[2:3]
	s_cbranch_execz .LBB163_10
; %bb.43:
	s_waitcnt lgkmcnt(0)
	v_lshl_add_u64 v[18:19], s[0:1], 0, v[10:11]
	global_load_dwordx4 v[10:13], v[18:19], off
	global_load_dwordx4 v[14:17], v[18:19], off offset:16
	s_waitcnt vmcnt(1)
	v_fmac_f64_e32 v[4:5], v[8:9], v[10:11]
	v_fmac_f64_e32 v[6:7], v[8:9], v[12:13]
	s_waitcnt vmcnt(0)
	v_fmac_f64_e32 v[0:1], v[8:9], v[14:15]
	v_fmac_f64_e32 v[2:3], v[8:9], v[16:17]
	global_store_dwordx4 v[18:19], v[4:7], off
	global_store_dwordx4 v[18:19], v[0:3], off offset:16
	s_endpgm
	.section	.rodata,"a",@progbits
	.p2align	6, 0x0
	.amdhsa_kernel _ZN9rocsparseL18bsrxmvn_4x4_kernelILj128ELj32EdllfddEEvT3_20rocsparse_direction_NS_24const_host_device_scalarIT1_EES1_PKS1_PKT2_SA_S7_PKT4_PKT5_S5_PT6_21rocsparse_index_base_b
		.amdhsa_group_segment_fixed_size 0
		.amdhsa_private_segment_fixed_size 0
		.amdhsa_kernarg_size 104
		.amdhsa_user_sgpr_count 2
		.amdhsa_user_sgpr_dispatch_ptr 0
		.amdhsa_user_sgpr_queue_ptr 0
		.amdhsa_user_sgpr_kernarg_segment_ptr 1
		.amdhsa_user_sgpr_dispatch_id 0
		.amdhsa_user_sgpr_kernarg_preload_length 0
		.amdhsa_user_sgpr_kernarg_preload_offset 0
		.amdhsa_user_sgpr_private_segment_size 0
		.amdhsa_uses_dynamic_stack 0
		.amdhsa_enable_private_segment 0
		.amdhsa_system_sgpr_workgroup_id_x 1
		.amdhsa_system_sgpr_workgroup_id_y 0
		.amdhsa_system_sgpr_workgroup_id_z 0
		.amdhsa_system_sgpr_workgroup_info 0
		.amdhsa_system_vgpr_workitem_id 0
		.amdhsa_next_free_vgpr 110
		.amdhsa_next_free_sgpr 23
		.amdhsa_accum_offset 112
		.amdhsa_reserve_vcc 1
		.amdhsa_float_round_mode_32 0
		.amdhsa_float_round_mode_16_64 0
		.amdhsa_float_denorm_mode_32 3
		.amdhsa_float_denorm_mode_16_64 3
		.amdhsa_dx10_clamp 1
		.amdhsa_ieee_mode 1
		.amdhsa_fp16_overflow 0
		.amdhsa_tg_split 0
		.amdhsa_exception_fp_ieee_invalid_op 0
		.amdhsa_exception_fp_denorm_src 0
		.amdhsa_exception_fp_ieee_div_zero 0
		.amdhsa_exception_fp_ieee_overflow 0
		.amdhsa_exception_fp_ieee_underflow 0
		.amdhsa_exception_fp_ieee_inexact 0
		.amdhsa_exception_int_div_zero 0
	.end_amdhsa_kernel
	.section	.text._ZN9rocsparseL18bsrxmvn_4x4_kernelILj128ELj32EdllfddEEvT3_20rocsparse_direction_NS_24const_host_device_scalarIT1_EES1_PKS1_PKT2_SA_S7_PKT4_PKT5_S5_PT6_21rocsparse_index_base_b,"axG",@progbits,_ZN9rocsparseL18bsrxmvn_4x4_kernelILj128ELj32EdllfddEEvT3_20rocsparse_direction_NS_24const_host_device_scalarIT1_EES1_PKS1_PKT2_SA_S7_PKT4_PKT5_S5_PT6_21rocsparse_index_base_b,comdat
.Lfunc_end163:
	.size	_ZN9rocsparseL18bsrxmvn_4x4_kernelILj128ELj32EdllfddEEvT3_20rocsparse_direction_NS_24const_host_device_scalarIT1_EES1_PKS1_PKT2_SA_S7_PKT4_PKT5_S5_PT6_21rocsparse_index_base_b, .Lfunc_end163-_ZN9rocsparseL18bsrxmvn_4x4_kernelILj128ELj32EdllfddEEvT3_20rocsparse_direction_NS_24const_host_device_scalarIT1_EES1_PKS1_PKT2_SA_S7_PKT4_PKT5_S5_PT6_21rocsparse_index_base_b
                                        ; -- End function
	.set _ZN9rocsparseL18bsrxmvn_4x4_kernelILj128ELj32EdllfddEEvT3_20rocsparse_direction_NS_24const_host_device_scalarIT1_EES1_PKS1_PKT2_SA_S7_PKT4_PKT5_S5_PT6_21rocsparse_index_base_b.num_vgpr, 110
	.set _ZN9rocsparseL18bsrxmvn_4x4_kernelILj128ELj32EdllfddEEvT3_20rocsparse_direction_NS_24const_host_device_scalarIT1_EES1_PKS1_PKT2_SA_S7_PKT4_PKT5_S5_PT6_21rocsparse_index_base_b.num_agpr, 0
	.set _ZN9rocsparseL18bsrxmvn_4x4_kernelILj128ELj32EdllfddEEvT3_20rocsparse_direction_NS_24const_host_device_scalarIT1_EES1_PKS1_PKT2_SA_S7_PKT4_PKT5_S5_PT6_21rocsparse_index_base_b.numbered_sgpr, 23
	.set _ZN9rocsparseL18bsrxmvn_4x4_kernelILj128ELj32EdllfddEEvT3_20rocsparse_direction_NS_24const_host_device_scalarIT1_EES1_PKS1_PKT2_SA_S7_PKT4_PKT5_S5_PT6_21rocsparse_index_base_b.num_named_barrier, 0
	.set _ZN9rocsparseL18bsrxmvn_4x4_kernelILj128ELj32EdllfddEEvT3_20rocsparse_direction_NS_24const_host_device_scalarIT1_EES1_PKS1_PKT2_SA_S7_PKT4_PKT5_S5_PT6_21rocsparse_index_base_b.private_seg_size, 0
	.set _ZN9rocsparseL18bsrxmvn_4x4_kernelILj128ELj32EdllfddEEvT3_20rocsparse_direction_NS_24const_host_device_scalarIT1_EES1_PKS1_PKT2_SA_S7_PKT4_PKT5_S5_PT6_21rocsparse_index_base_b.uses_vcc, 1
	.set _ZN9rocsparseL18bsrxmvn_4x4_kernelILj128ELj32EdllfddEEvT3_20rocsparse_direction_NS_24const_host_device_scalarIT1_EES1_PKS1_PKT2_SA_S7_PKT4_PKT5_S5_PT6_21rocsparse_index_base_b.uses_flat_scratch, 0
	.set _ZN9rocsparseL18bsrxmvn_4x4_kernelILj128ELj32EdllfddEEvT3_20rocsparse_direction_NS_24const_host_device_scalarIT1_EES1_PKS1_PKT2_SA_S7_PKT4_PKT5_S5_PT6_21rocsparse_index_base_b.has_dyn_sized_stack, 0
	.set _ZN9rocsparseL18bsrxmvn_4x4_kernelILj128ELj32EdllfddEEvT3_20rocsparse_direction_NS_24const_host_device_scalarIT1_EES1_PKS1_PKT2_SA_S7_PKT4_PKT5_S5_PT6_21rocsparse_index_base_b.has_recursion, 0
	.set _ZN9rocsparseL18bsrxmvn_4x4_kernelILj128ELj32EdllfddEEvT3_20rocsparse_direction_NS_24const_host_device_scalarIT1_EES1_PKS1_PKT2_SA_S7_PKT4_PKT5_S5_PT6_21rocsparse_index_base_b.has_indirect_call, 0
	.section	.AMDGPU.csdata,"",@progbits
; Kernel info:
; codeLenInByte = 4320
; TotalNumSgprs: 29
; NumVgprs: 110
; NumAgprs: 0
; TotalNumVgprs: 110
; ScratchSize: 0
; MemoryBound: 0
; FloatMode: 240
; IeeeMode: 1
; LDSByteSize: 0 bytes/workgroup (compile time only)
; SGPRBlocks: 3
; VGPRBlocks: 13
; NumSGPRsForWavesPerEU: 29
; NumVGPRsForWavesPerEU: 110
; AccumOffset: 112
; Occupancy: 4
; WaveLimiterHint : 1
; COMPUTE_PGM_RSRC2:SCRATCH_EN: 0
; COMPUTE_PGM_RSRC2:USER_SGPR: 2
; COMPUTE_PGM_RSRC2:TRAP_HANDLER: 0
; COMPUTE_PGM_RSRC2:TGID_X_EN: 1
; COMPUTE_PGM_RSRC2:TGID_Y_EN: 0
; COMPUTE_PGM_RSRC2:TGID_Z_EN: 0
; COMPUTE_PGM_RSRC2:TIDIG_COMP_CNT: 0
; COMPUTE_PGM_RSRC3_GFX90A:ACCUM_OFFSET: 27
; COMPUTE_PGM_RSRC3_GFX90A:TG_SPLIT: 0
	.section	.text._ZN9rocsparseL18bsrxmvn_4x4_kernelILj128ELj64EdllfddEEvT3_20rocsparse_direction_NS_24const_host_device_scalarIT1_EES1_PKS1_PKT2_SA_S7_PKT4_PKT5_S5_PT6_21rocsparse_index_base_b,"axG",@progbits,_ZN9rocsparseL18bsrxmvn_4x4_kernelILj128ELj64EdllfddEEvT3_20rocsparse_direction_NS_24const_host_device_scalarIT1_EES1_PKS1_PKT2_SA_S7_PKT4_PKT5_S5_PT6_21rocsparse_index_base_b,comdat
	.globl	_ZN9rocsparseL18bsrxmvn_4x4_kernelILj128ELj64EdllfddEEvT3_20rocsparse_direction_NS_24const_host_device_scalarIT1_EES1_PKS1_PKT2_SA_S7_PKT4_PKT5_S5_PT6_21rocsparse_index_base_b ; -- Begin function _ZN9rocsparseL18bsrxmvn_4x4_kernelILj128ELj64EdllfddEEvT3_20rocsparse_direction_NS_24const_host_device_scalarIT1_EES1_PKS1_PKT2_SA_S7_PKT4_PKT5_S5_PT6_21rocsparse_index_base_b
	.p2align	8
	.type	_ZN9rocsparseL18bsrxmvn_4x4_kernelILj128ELj64EdllfddEEvT3_20rocsparse_direction_NS_24const_host_device_scalarIT1_EES1_PKS1_PKT2_SA_S7_PKT4_PKT5_S5_PT6_21rocsparse_index_base_b,@function
_ZN9rocsparseL18bsrxmvn_4x4_kernelILj128ELj64EdllfddEEvT3_20rocsparse_direction_NS_24const_host_device_scalarIT1_EES1_PKS1_PKT2_SA_S7_PKT4_PKT5_S5_PT6_21rocsparse_index_base_b: ; @_ZN9rocsparseL18bsrxmvn_4x4_kernelILj128ELj64EdllfddEEvT3_20rocsparse_direction_NS_24const_host_device_scalarIT1_EES1_PKS1_PKT2_SA_S7_PKT4_PKT5_S5_PT6_21rocsparse_index_base_b
; %bb.0:
	s_load_dwordx2 s[8:9], s[0:1], 0x60
	s_load_dwordx4 s[4:7], s[0:1], 0x10
	s_load_dwordx2 s[10:11], s[0:1], 0x50
	s_waitcnt lgkmcnt(0)
	s_bitcmp1_b32 s9, 0
	s_cselect_b64 s[14:15], -1, 0
	s_xor_b64 s[12:13], s[14:15], -1
	s_and_b64 vcc, exec, s[14:15]
	v_mov_b64_e32 v[2:3], s[4:5]
	s_cbranch_vccnz .LBB164_2
; %bb.1:
	v_mov_b64_e32 v[2:3], s[4:5]
	flat_load_dwordx2 v[2:3], v[2:3]
.LBB164_2:
	s_andn2_b64 vcc, exec, s[12:13]
	v_mov_b64_e32 v[8:9], s[10:11]
	s_cbranch_vccnz .LBB164_4
; %bb.3:
	v_mov_b64_e32 v[4:5], s[10:11]
	flat_load_dwordx2 v[8:9], v[4:5]
.LBB164_4:
	s_waitcnt vmcnt(0) lgkmcnt(0)
	v_cmp_neq_f64_e32 vcc, 0, v[2:3]
	v_cmp_neq_f64_e64 s[4:5], 1.0, v[8:9]
	s_mov_b64 s[10:11], 0
	s_or_b64 s[4:5], vcc, s[4:5]
	s_and_saveexec_b64 s[12:13], s[4:5]
	s_cbranch_execz .LBB164_10
; %bb.5:
	s_load_dwordx2 s[4:5], s[0:1], 0x20
	v_lshrrev_b32_e32 v1, 6, v0
	v_lshl_or_b32 v6, s2, 1, v1
	v_mov_b32_e32 v7, 0
	s_mov_b64 s[2:3], 0
	s_waitcnt lgkmcnt(0)
	s_cmp_lg_u64 s[4:5], 0
	s_cbranch_scc0 .LBB164_11
; %bb.6:
	v_cmp_gt_i64_e32 vcc, s[6:7], v[6:7]
                                        ; implicit-def: $vgpr10_vgpr11
                                        ; implicit-def: $vgpr4_vgpr5
	s_and_saveexec_b64 s[6:7], vcc
	s_xor_b64 s[6:7], exec, s[6:7]
	s_cbranch_execz .LBB164_8
; %bb.7:
	v_lshl_add_u64 v[4:5], v[6:7], 3, s[4:5]
	global_load_dwordx2 v[4:5], v[4:5], off
	s_mov_b32 s9, 0
	s_mov_b64 s[2:3], exec
	s_waitcnt vmcnt(0)
	v_subrev_co_u32_e32 v10, vcc, s8, v4
	s_nop 1
	v_subbrev_co_u32_e32 v11, vcc, 0, v5, vcc
	v_mov_b64_e32 v[4:5], s[8:9]
.LBB164_8:
	s_or_b64 exec, exec, s[6:7]
	s_mov_b64 s[10:11], s[2:3]
.LBB164_9:
	s_and_b64 exec, exec, s[10:11]
	s_cbranch_execnz .LBB164_15
.LBB164_10:
	s_endpgm
.LBB164_11:
                                        ; implicit-def: $vgpr10_vgpr11
                                        ; implicit-def: $vgpr4_vgpr5
	s_cbranch_execz .LBB164_9
; %bb.12:
	s_load_dwordx2 s[2:3], s[0:1], 0x0
	s_waitcnt lgkmcnt(0)
	v_cmp_gt_i64_e32 vcc, s[2:3], v[6:7]
	s_and_saveexec_b64 s[2:3], vcc
; %bb.13:
	s_mov_b32 s9, 0
	s_or_b64 s[10:11], s[10:11], exec
; %bb.14:
	s_or_b64 exec, exec, s[2:3]
	v_mov_b64_e32 v[4:5], s[8:9]
	v_mov_b64_e32 v[10:11], v[6:7]
	s_and_b64 exec, exec, s[10:11]
	s_cbranch_execz .LBB164_10
.LBB164_15:
	s_load_dwordx8 s[4:11], s[0:1], 0x28
	v_lshlrev_b64 v[6:7], 3, v[10:11]
	v_and_b32_e32 v0, 63, v0
	v_mov_b32_e32 v1, 0
	s_waitcnt lgkmcnt(0)
	v_lshl_add_u64 v[12:13], s[4:5], 0, v[6:7]
	s_cmp_eq_u64 s[6:7], 0
	v_lshl_add_u64 v[6:7], s[6:7], 0, v[6:7]
	global_load_dwordx2 v[24:25], v[12:13], off
	v_lshl_add_u64 v[12:13], v[12:13], 0, 8
	s_cselect_b64 vcc, -1, 0
	v_cndmask_b32_e32 v7, v7, v13, vcc
	v_cndmask_b32_e32 v6, v6, v12, vcc
	global_load_dwordx2 v[6:7], v[6:7], off
	s_load_dword s2, s[0:1], 0x8
	s_load_dwordx2 s[12:13], s[0:1], 0x48
	s_waitcnt lgkmcnt(0)
	s_cmp_eq_u32 s2, 1
	s_waitcnt vmcnt(1)
	v_sub_co_u32_e32 v12, vcc, v24, v4
	s_nop 1
	v_subb_co_u32_e32 v13, vcc, v25, v5, vcc
	v_lshl_add_u64 v[12:13], v[12:13], 0, v[0:1]
	s_waitcnt vmcnt(0)
	v_sub_co_u32_e32 v14, vcc, v6, v4
	s_nop 1
	v_subb_co_u32_e32 v15, vcc, v7, v5, vcc
	v_lshlrev_b64 v[6:7], 6, v[12:13]
	v_lshl_add_u64 v[16:17], s[10:11], 0, v[6:7]
	v_cmp_lt_i64_e64 s[2:3], v[12:13], v[14:15]
	s_cbranch_scc1 .LBB164_27
; %bb.16:
	v_mov_b64_e32 v[6:7], 0
	v_mov_b64_e32 v[18:19], 0
	;; [unrolled: 1-line block ×4, first 2 shown]
	s_and_saveexec_b64 s[4:5], s[2:3]
	s_cbranch_execz .LBB164_26
; %bb.17:
	v_or_b32_e32 v1, 64, v0
	v_sub_co_u32_e32 v6, vcc, v1, v4
	v_not_b32_e32 v19, v25
	s_nop 0
	v_subb_co_u32_e32 v7, vcc, 0, v5, vcc
	v_lshl_add_u64 v[6:7], v[6:7], 0, v[24:25]
	v_cmp_gt_i64_e32 vcc, v[6:7], v[14:15]
	v_not_b32_e32 v18, v24
	s_mov_b64 s[6:7], 0xc0
	v_cndmask_b32_e32 v7, v15, v7, vcc
	v_cndmask_b32_e32 v6, v14, v6, vcc
	v_sub_co_u32_e32 v20, vcc, v4, v0
	v_mov_b64_e32 v[22:23], 0
	s_nop 0
	v_subbrev_co_u32_e32 v21, vcc, 0, v5, vcc
	v_lshl_add_u64 v[18:19], v[20:21], 0, v[18:19]
	v_lshl_add_u64 v[30:31], v[18:19], 0, v[6:7]
	v_and_b32_e32 v6, 0xc0, v30
	v_mov_b32_e32 v7, 0
	v_cmp_ne_u64_e32 vcc, s[6:7], v[6:7]
	v_mov_b64_e32 v[20:21], 0
	v_mov_b64_e32 v[18:19], 0
	;; [unrolled: 1-line block ×5, first 2 shown]
	s_and_saveexec_b64 s[6:7], vcc
	s_cbranch_execz .LBB164_21
; %bb.18:
	v_lshrrev_b32_e32 v1, 6, v30
	v_add_u32_e32 v1, 1, v1
	v_and_b32_e32 v1, 3, v1
	v_sub_co_u32_e32 v34, vcc, 0, v1
	v_lshl_add_u64 v[32:33], v[12:13], 3, s[8:9]
	s_nop 0
	v_subb_co_u32_e64 v35, s[14:15], 0, 0, vcc
	s_mov_b64 s[10:11], 0
	v_mov_b64_e32 v[6:7], 0
	s_mov_b64 s[14:15], 0x1000
	s_mov_b64 s[16:17], 0x200
	v_mov_b64_e32 v[28:29], v[16:17]
	v_mov_b64_e32 v[26:27], v[12:13]
	;; [unrolled: 1-line block ×5, first 2 shown]
.LBB164_19:                             ; =>This Inner Loop Header: Depth=1
	global_load_dwordx2 v[52:53], v[32:33], off
	global_load_dwordx4 v[36:39], v[28:29], off
	global_load_dwordx4 v[40:43], v[28:29], off offset:16
	global_load_dwordx4 v[44:47], v[28:29], off offset:32
	;; [unrolled: 1-line block ×3, first 2 shown]
	v_lshl_add_u64 v[34:35], v[34:35], 0, 1
	v_lshl_add_u64 v[28:29], v[28:29], 0, s[14:15]
	;; [unrolled: 1-line block ×4, first 2 shown]
	s_waitcnt vmcnt(4)
	v_sub_co_u32_e32 v52, vcc, v52, v4
	s_nop 1
	v_subb_co_u32_e32 v53, vcc, v53, v5, vcc
	v_lshlrev_b64 v[52:53], 5, v[52:53]
	v_lshl_add_u64 v[60:61], s[12:13], 0, v[52:53]
	global_load_dwordx4 v[52:55], v[60:61], off
	global_load_dwordx4 v[56:59], v[60:61], off offset:16
	s_waitcnt vmcnt(5)
	v_cvt_f64_f32_e32 v[60:61], v36
	s_waitcnt vmcnt(4)
	v_cvt_f64_f32_e32 v[64:65], v40
	;; [unrolled: 2-line block ×4, first 2 shown]
	v_cvt_f64_f32_e32 v[36:37], v37
	v_cvt_f64_f32_e32 v[40:41], v41
	;; [unrolled: 1-line block ×8, first 2 shown]
	v_cmp_eq_u64_e32 vcc, 0, v[34:35]
	v_cvt_f64_f32_e32 v[38:39], v39
	v_cvt_f64_f32_e32 v[42:43], v43
	;; [unrolled: 1-line block ×4, first 2 shown]
	s_or_b64 s[10:11], vcc, s[10:11]
	s_waitcnt vmcnt(1)
	v_fmac_f64_e32 v[22:23], v[60:61], v[52:53]
	v_fmac_f64_e32 v[20:21], v[64:65], v[52:53]
	;; [unrolled: 1-line block ×8, first 2 shown]
	s_waitcnt vmcnt(0)
	v_fmac_f64_e32 v[22:23], v[62:63], v[56:57]
	v_fmac_f64_e32 v[20:21], v[66:67], v[56:57]
	v_fmac_f64_e32 v[18:19], v[70:71], v[56:57]
	v_fmac_f64_e32 v[6:7], v[74:75], v[56:57]
	v_fmac_f64_e32 v[22:23], v[38:39], v[58:59]
	v_fmac_f64_e32 v[20:21], v[42:43], v[58:59]
	v_fmac_f64_e32 v[18:19], v[46:47], v[58:59]
	v_fmac_f64_e32 v[6:7], v[50:51], v[58:59]
	s_andn2_b64 exec, exec, s[10:11]
	s_cbranch_execnz .LBB164_19
; %bb.20:
	s_or_b64 exec, exec, s[10:11]
.LBB164_21:
	s_or_b64 exec, exec, s[6:7]
	s_mov_b64 s[6:7], 0xbf
	v_cmp_lt_u64_e32 vcc, s[6:7], v[30:31]
	s_and_saveexec_b64 s[6:7], vcc
	s_cbranch_execz .LBB164_25
; %bb.22:
	v_lshl_add_u64 v[30:31], v[26:27], 3, s[8:9]
	s_mov_b64 s[10:11], 0x400
	v_lshl_add_u64 v[30:31], v[30:31], 0, s[10:11]
	s_mov_b64 s[10:11], 0
	s_mov_b64 s[14:15], 0x1000
	;; [unrolled: 1-line block ×3, first 2 shown]
	s_movk_i32 s26, 0x2000
	s_mov_b64 s[18:19], 0x3000
	s_movk_i32 s27, 0x3000
	s_mov_b64 s[20:21], 0x100
	s_mov_b64 s[22:23], 0x800
	;; [unrolled: 1-line block ×3, first 2 shown]
.LBB164_23:                             ; =>This Inner Loop Header: Depth=1
	global_load_dwordx2 v[32:33], v[30:31], off offset:-1024
	v_lshl_add_u64 v[26:27], v[26:27], 0, s[20:21]
	s_waitcnt vmcnt(0)
	v_sub_co_u32_e32 v48, vcc, v32, v4
	s_nop 1
	v_subb_co_u32_e32 v49, vcc, v33, v5, vcc
	v_lshlrev_b64 v[48:49], 5, v[48:49]
	global_load_dwordx4 v[32:35], v[28:29], off offset:48
	global_load_dwordx4 v[36:39], v[28:29], off offset:32
	;; [unrolled: 1-line block ×3, first 2 shown]
	global_load_dwordx4 v[44:47], v[28:29], off
	v_lshl_add_u64 v[58:59], s[12:13], 0, v[48:49]
	global_load_dwordx4 v[48:51], v[58:59], off offset:16
	global_load_dwordx4 v[52:55], v[58:59], off
	s_waitcnt vmcnt(2)
	v_cvt_f64_f32_e32 v[56:57], v44
	v_cvt_f64_f32_e32 v[44:45], v45
	s_waitcnt vmcnt(0)
	v_fmac_f64_e32 v[22:23], v[56:57], v[52:53]
	v_fmac_f64_e32 v[22:23], v[44:45], v[54:55]
	v_cvt_f64_f32_e32 v[44:45], v46
	v_fmac_f64_e32 v[22:23], v[44:45], v[48:49]
	v_cvt_f64_f32_e32 v[44:45], v47
	;; [unrolled: 2-line block ×14, first 2 shown]
	v_fmac_f64_e32 v[6:7], v[32:33], v[50:51]
	global_load_dwordx2 v[32:33], v[30:31], off offset:-512
	v_lshl_add_u64 v[48:49], v[28:29], 0, s[14:15]
	s_waitcnt vmcnt(0)
	v_sub_co_u32_e32 v50, vcc, v32, v4
	s_nop 1
	v_subb_co_u32_e32 v51, vcc, v33, v5, vcc
	v_add_co_u32_e32 v56, vcc, s26, v28
	s_nop 1
	v_addc_co_u32_e32 v57, vcc, 0, v29, vcc
	global_load_dwordx4 v[32:35], v[56:57], off offset:-4096
	global_load_dwordx4 v[36:39], v[48:49], off offset:48
	global_load_dwordx4 v[40:43], v[48:49], off offset:32
	;; [unrolled: 1-line block ×3, first 2 shown]
	v_lshlrev_b64 v[48:49], 5, v[50:51]
	v_lshl_add_u64 v[60:61], s[12:13], 0, v[48:49]
	global_load_dwordx4 v[48:51], v[60:61], off offset:16
	global_load_dwordx4 v[52:55], v[60:61], off
	s_waitcnt vmcnt(5)
	v_cvt_f64_f32_e32 v[58:59], v32
	v_cvt_f64_f32_e32 v[32:33], v33
	s_waitcnt vmcnt(0)
	v_fmac_f64_e32 v[22:23], v[58:59], v[52:53]
	v_fmac_f64_e32 v[22:23], v[32:33], v[54:55]
	v_cvt_f64_f32_e32 v[32:33], v34
	v_fmac_f64_e32 v[22:23], v[32:33], v[48:49]
	v_cvt_f64_f32_e32 v[32:33], v35
	;; [unrolled: 2-line block ×14, first 2 shown]
	v_fmac_f64_e32 v[6:7], v[32:33], v[50:51]
	global_load_dwordx2 v[32:33], v[30:31], off
	v_lshl_add_u64 v[50:51], v[28:29], 0, s[16:17]
	s_waitcnt vmcnt(0)
	v_sub_co_u32_e32 v48, vcc, v32, v4
	s_nop 1
	v_subb_co_u32_e32 v49, vcc, v33, v5, vcc
	v_lshlrev_b64 v[48:49], 5, v[48:49]
	v_lshl_add_u64 v[58:59], s[12:13], 0, v[48:49]
	global_load_dwordx4 v[32:35], v[56:57], off
	global_load_dwordx4 v[36:39], v[50:51], off offset:48
	global_load_dwordx4 v[40:43], v[50:51], off offset:32
	;; [unrolled: 1-line block ×3, first 2 shown]
	s_nop 0
	global_load_dwordx4 v[48:51], v[58:59], off offset:16
	global_load_dwordx4 v[52:55], v[58:59], off
	s_waitcnt vmcnt(5)
	v_cvt_f64_f32_e32 v[56:57], v32
	v_cvt_f64_f32_e32 v[32:33], v33
	s_waitcnt vmcnt(0)
	v_fmac_f64_e32 v[22:23], v[56:57], v[52:53]
	v_fmac_f64_e32 v[22:23], v[32:33], v[54:55]
	v_cvt_f64_f32_e32 v[32:33], v34
	v_fmac_f64_e32 v[22:23], v[32:33], v[48:49]
	v_cvt_f64_f32_e32 v[32:33], v35
	;; [unrolled: 2-line block ×14, first 2 shown]
	v_fmac_f64_e32 v[6:7], v[32:33], v[50:51]
	global_load_dwordx2 v[32:33], v[30:31], off offset:512
	v_lshl_add_u64 v[50:51], v[28:29], 0, s[18:19]
	v_lshl_add_u64 v[30:31], v[30:31], 0, s[22:23]
	s_waitcnt vmcnt(0)
	v_sub_co_u32_e32 v48, vcc, v32, v4
	s_nop 1
	v_subb_co_u32_e32 v49, vcc, v33, v5, vcc
	v_add_co_u32_e32 v52, vcc, s27, v28
	v_lshlrev_b64 v[48:49], 5, v[48:49]
	s_nop 0
	v_addc_co_u32_e32 v53, vcc, 0, v29, vcc
	v_lshl_add_u64 v[58:59], s[12:13], 0, v[48:49]
	global_load_dwordx4 v[32:35], v[52:53], off
	global_load_dwordx4 v[36:39], v[50:51], off offset:48
	global_load_dwordx4 v[40:43], v[50:51], off offset:32
	;; [unrolled: 1-line block ×3, first 2 shown]
	s_nop 0
	global_load_dwordx4 v[48:51], v[58:59], off offset:16
	global_load_dwordx4 v[52:55], v[58:59], off
	v_cmp_ge_i64_e32 vcc, v[26:27], v[14:15]
	v_lshl_add_u64 v[28:29], v[28:29], 0, s[24:25]
	s_or_b64 s[10:11], vcc, s[10:11]
	s_waitcnt vmcnt(5)
	v_cvt_f64_f32_e32 v[56:57], v32
	v_cvt_f64_f32_e32 v[32:33], v33
	s_waitcnt vmcnt(0)
	v_fmac_f64_e32 v[22:23], v[56:57], v[52:53]
	v_fmac_f64_e32 v[22:23], v[32:33], v[54:55]
	v_cvt_f64_f32_e32 v[32:33], v34
	v_fmac_f64_e32 v[22:23], v[32:33], v[48:49]
	v_cvt_f64_f32_e32 v[32:33], v35
	;; [unrolled: 2-line block ×14, first 2 shown]
	v_fmac_f64_e32 v[6:7], v[32:33], v[50:51]
	s_andn2_b64 exec, exec, s[10:11]
	s_cbranch_execnz .LBB164_23
; %bb.24:
	s_or_b64 exec, exec, s[10:11]
.LBB164_25:
	s_or_b64 exec, exec, s[6:7]
.LBB164_26:
	s_or_b64 exec, exec, s[4:5]
	s_cbranch_execz .LBB164_28
	s_branch .LBB164_39
.LBB164_27:
                                        ; implicit-def: $vgpr6_vgpr7
                                        ; implicit-def: $vgpr18_vgpr19
                                        ; implicit-def: $vgpr20_vgpr21
                                        ; implicit-def: $vgpr22_vgpr23
.LBB164_28:
	v_mov_b64_e32 v[6:7], 0
	v_mov_b64_e32 v[18:19], 0
	;; [unrolled: 1-line block ×4, first 2 shown]
	s_and_saveexec_b64 s[10:11], s[2:3]
	s_cbranch_execz .LBB164_38
; %bb.29:
	v_or_b32_e32 v1, 64, v0
	v_sub_co_u32_e32 v6, vcc, v1, v4
	v_not_b32_e32 v19, v25
	s_nop 0
	v_subb_co_u32_e32 v7, vcc, 0, v5, vcc
	v_lshl_add_u64 v[6:7], v[6:7], 0, v[24:25]
	v_cmp_gt_i64_e32 vcc, v[6:7], v[14:15]
	v_not_b32_e32 v18, v24
	s_mov_b64 s[2:3], 0xc0
	v_cndmask_b32_e32 v7, v15, v7, vcc
	v_cndmask_b32_e32 v6, v14, v6, vcc
	v_sub_co_u32_e32 v20, vcc, v4, v0
	v_mov_b64_e32 v[22:23], 0
	s_nop 0
	v_subbrev_co_u32_e32 v21, vcc, 0, v5, vcc
	v_lshl_add_u64 v[18:19], v[20:21], 0, v[18:19]
	v_lshl_add_u64 v[24:25], v[18:19], 0, v[6:7]
	v_and_b32_e32 v6, 0xc0, v24
	v_mov_b32_e32 v7, 0
	v_cmp_ne_u64_e32 vcc, s[2:3], v[6:7]
	v_mov_b64_e32 v[20:21], 0
	v_mov_b64_e32 v[18:19], 0
	;; [unrolled: 1-line block ×3, first 2 shown]
	s_and_saveexec_b64 s[2:3], vcc
	s_cbranch_execz .LBB164_33
; %bb.30:
	v_lshrrev_b32_e32 v1, 6, v24
	v_add_u32_e32 v1, 1, v1
	v_and_b32_e32 v1, 3, v1
	v_sub_co_u32_e32 v28, vcc, 0, v1
	v_lshl_add_u64 v[26:27], v[12:13], 3, s[8:9]
	s_nop 0
	v_subb_co_u32_e64 v29, s[6:7], 0, 0, vcc
	s_mov_b64 s[4:5], 0
	v_mov_b64_e32 v[6:7], 0
	s_mov_b64 s[6:7], 0x1000
	s_mov_b64 s[14:15], 0x200
	v_mov_b64_e32 v[18:19], 0
	v_mov_b64_e32 v[20:21], 0
	;; [unrolled: 1-line block ×3, first 2 shown]
.LBB164_31:                             ; =>This Inner Loop Header: Depth=1
	global_load_dwordx2 v[42:43], v[26:27], off
	global_load_dwordx4 v[30:33], v[16:17], off
	global_load_dwordx4 v[34:37], v[16:17], off offset:16
	global_load_dwordx4 v[38:41], v[16:17], off offset:32
	v_lshl_add_u64 v[28:29], v[28:29], 0, 1
	v_lshl_add_u64 v[12:13], v[12:13], 0, 64
	;; [unrolled: 1-line block ×3, first 2 shown]
	s_waitcnt vmcnt(3)
	v_sub_co_u32_e32 v42, vcc, v42, v4
	s_nop 1
	v_subb_co_u32_e32 v43, vcc, v43, v5, vcc
	v_lshlrev_b64 v[42:43], 5, v[42:43]
	v_lshl_add_u64 v[54:55], s[12:13], 0, v[42:43]
	global_load_dwordx4 v[42:45], v[54:55], off offset:16
	global_load_dwordx4 v[46:49], v[54:55], off
	global_load_dwordx4 v[50:53], v[16:17], off offset:48
	s_waitcnt vmcnt(5)
	v_cvt_f64_f32_e32 v[54:55], v30
	v_cvt_f64_f32_e32 v[30:31], v31
	v_cvt_f64_f32_e32 v[56:57], v32
	v_cvt_f64_f32_e32 v[32:33], v33
	s_waitcnt vmcnt(4)
	v_cvt_f64_f32_e32 v[58:59], v34
	v_cvt_f64_f32_e32 v[34:35], v35
	v_cvt_f64_f32_e32 v[60:61], v36
	v_cvt_f64_f32_e32 v[36:37], v37
	;; [unrolled: 5-line block ×3, first 2 shown]
	v_cmp_eq_u64_e32 vcc, 0, v[28:29]
	v_lshl_add_u64 v[16:17], v[16:17], 0, s[6:7]
	s_or_b64 s[4:5], vcc, s[4:5]
	s_waitcnt vmcnt(1)
	v_fmac_f64_e32 v[22:23], v[54:55], v[46:47]
	v_fmac_f64_e32 v[20:21], v[30:31], v[46:47]
	;; [unrolled: 1-line block ×8, first 2 shown]
	s_waitcnt vmcnt(0)
	v_cvt_f64_f32_e32 v[66:67], v50
	v_cvt_f64_f32_e32 v[50:51], v51
	;; [unrolled: 1-line block ×4, first 2 shown]
	v_fmac_f64_e32 v[22:23], v[62:63], v[42:43]
	v_fmac_f64_e32 v[20:21], v[38:39], v[42:43]
	;; [unrolled: 1-line block ×8, first 2 shown]
	s_andn2_b64 exec, exec, s[4:5]
	s_cbranch_execnz .LBB164_31
; %bb.32:
	s_or_b64 exec, exec, s[4:5]
.LBB164_33:
	s_or_b64 exec, exec, s[2:3]
	s_mov_b64 s[2:3], 0xbf
	v_cmp_lt_u64_e32 vcc, s[2:3], v[24:25]
	s_and_saveexec_b64 s[14:15], vcc
	s_cbranch_execz .LBB164_37
; %bb.34:
	v_lshl_add_u64 v[24:25], v[12:13], 3, s[8:9]
	s_mov_b64 s[2:3], 0x400
	v_lshl_add_u64 v[24:25], v[24:25], 0, s[2:3]
	s_mov_b64 s[8:9], 0
	s_mov_b64 s[16:17], 0x1000
	;; [unrolled: 1-line block ×3, first 2 shown]
	s_movk_i32 s28, 0x2000
	s_mov_b64 s[20:21], 0x3000
	s_movk_i32 s29, 0x3000
	s_mov_b64 s[22:23], 0x100
	s_mov_b64 s[24:25], 0x800
	s_mov_b64 s[26:27], 0x4000
.LBB164_35:                             ; =>This Inner Loop Header: Depth=1
	global_load_dwordx2 v[54:55], v[24:25], off offset:-1024
	global_load_dwordx4 v[26:29], v[16:17], off
	global_load_dwordx4 v[30:33], v[16:17], off offset:16
	global_load_dwordx4 v[34:37], v[16:17], off offset:32
	global_load_dwordx4 v[38:41], v[16:17], off offset:48
	global_load_dwordx2 v[56:57], v[24:25], off offset:-512
	global_load_dwordx2 v[58:59], v[24:25], off
	global_load_dwordx2 v[60:61], v[24:25], off offset:512
	v_lshl_add_u64 v[62:63], v[16:17], 0, s[16:17]
	global_load_dwordx4 v[42:45], v[62:63], off offset:16
	global_load_dwordx4 v[46:49], v[62:63], off offset:32
	global_load_dwordx4 v[50:53], v[62:63], off offset:48
	v_lshl_add_u64 v[12:13], v[12:13], 0, s[22:23]
	v_lshl_add_u64 v[24:25], v[24:25], 0, s[24:25]
	s_waitcnt vmcnt(10)
	v_sub_co_u32_e32 v54, vcc, v54, v4
	s_nop 1
	v_subb_co_u32_e32 v55, vcc, v55, v5, vcc
	s_waitcnt vmcnt(9)
	v_cvt_f64_f32_e32 v[66:67], v28
	s_waitcnt vmcnt(8)
	v_cvt_f64_f32_e32 v[74:75], v32
	v_cvt_f64_f32_e32 v[76:77], v33
	s_waitcnt vmcnt(4)
	v_sub_co_u32_e64 v28, s[4:5], v58, v4
	v_lshlrev_b64 v[32:33], 5, v[54:55]
	v_cvt_f64_f32_e32 v[68:69], v29
	v_subb_co_u32_e64 v29, vcc, v59, v5, s[4:5]
	v_lshl_add_u64 v[58:59], s[12:13], 0, v[32:33]
	v_cvt_f64_f32_e32 v[78:79], v34
	v_cvt_f64_f32_e32 v[80:81], v35
	global_load_dwordx4 v[32:35], v[58:59], off
	v_cvt_f64_f32_e32 v[62:63], v26
	s_waitcnt vmcnt(4)
	v_sub_co_u32_e64 v26, s[6:7], v60, v4
	v_cvt_f64_f32_e32 v[64:65], v27
	s_nop 0
	v_subb_co_u32_e64 v27, vcc, v61, v5, s[6:7]
	global_load_dwordx4 v[58:61], v[58:59], off offset:16
	v_cvt_f64_f32_e32 v[70:71], v30
	v_sub_co_u32_e64 v94, s[2:3], v56, v4
	v_cvt_f64_f32_e32 v[72:73], v31
	v_cvt_f64_f32_e32 v[86:87], v38
	v_subb_co_u32_e64 v95, vcc, v57, v5, s[2:3]
	v_cvt_f64_f32_e32 v[82:83], v36
	v_cvt_f64_f32_e32 v[84:85], v37
	;; [unrolled: 1-line block ×5, first 2 shown]
	s_waitcnt vmcnt(4)
	v_cvt_f64_f32_e32 v[102:103], v45
	v_cvt_f64_f32_e32 v[96:97], v42
	s_waitcnt vmcnt(3)
	v_cvt_f64_f32_e32 v[110:111], v49
	v_lshlrev_b64 v[28:29], 5, v[28:29]
	s_waitcnt vmcnt(2)
	v_cvt_f64_f32_e32 v[30:31], v53
	v_cvt_f64_f32_e32 v[100:101], v44
	v_lshl_add_u64 v[44:45], v[16:17], 0, s[18:19]
	global_load_dwordx4 v[36:39], v[44:45], off offset:16
	v_cvt_f64_f32_e32 v[98:99], v43
	v_cvt_f64_f32_e32 v[104:105], v46
	;; [unrolled: 1-line block ×7, first 2 shown]
	global_load_dwordx4 v[40:43], v[44:45], off offset:32
	v_lshlrev_b64 v[26:27], 5, v[26:27]
	global_load_dwordx4 v[46:49], v[44:45], off offset:48
	s_waitcnt vmcnt(4)
	v_fmac_f64_e32 v[22:23], v[62:63], v[32:33]
	v_fmac_f64_e32 v[22:23], v[70:71], v[34:35]
	;; [unrolled: 1-line block ×7, first 2 shown]
	s_waitcnt vmcnt(3)
	v_fmac_f64_e32 v[22:23], v[78:79], v[58:59]
	v_fmac_f64_e32 v[6:7], v[76:77], v[34:35]
	;; [unrolled: 1-line block ×3, first 2 shown]
	v_add_co_u32_e32 v86, vcc, s28, v16
	v_fmac_f64_e32 v[20:21], v[80:81], v[58:59]
	v_fmac_f64_e32 v[18:19], v[82:83], v[58:59]
	;; [unrolled: 1-line block ×3, first 2 shown]
	v_addc_co_u32_e32 v87, vcc, 0, v17, vcc
	v_lshlrev_b64 v[58:59], 5, v[94:95]
	global_load_dwordx4 v[62:65], v[86:87], off offset:-4096
	v_lshl_add_u64 v[82:83], s[12:13], 0, v[58:59]
	v_fmac_f64_e32 v[20:21], v[88:89], v[60:61]
	v_fmac_f64_e32 v[18:19], v[90:91], v[60:61]
	;; [unrolled: 1-line block ×3, first 2 shown]
	global_load_dwordx4 v[58:61], v[82:83], off
	v_lshl_add_u64 v[74:75], v[16:17], 0, s[20:21]
	global_load_dwordx4 v[82:85], v[82:83], off offset:16
	s_waitcnt vmcnt(5)
	v_cvt_f64_f32_e32 v[52:53], v36
	global_load_dwordx4 v[86:89], v[86:87], off
	v_cvt_f64_f32_e32 v[54:55], v37
	global_load_dwordx4 v[78:81], v[74:75], off offset:48
	v_cvt_f64_f32_e32 v[50:51], v38
	v_cvt_f64_f32_e32 v[32:33], v39
	global_load_dwordx4 v[70:73], v[74:75], off offset:32
	s_waitcnt vmcnt(7)
	v_cvt_f64_f32_e32 v[34:35], v40
	v_cvt_f64_f32_e32 v[36:37], v41
	v_cvt_f64_f32_e32 v[38:39], v42
	v_cvt_f64_f32_e32 v[40:41], v43
	s_waitcnt vmcnt(6)
	v_cvt_f64_f32_e32 v[42:43], v46
	v_cvt_f64_f32_e32 v[44:45], v47
	v_cvt_f64_f32_e32 v[46:47], v48
	v_cvt_f64_f32_e32 v[48:49], v49
	;; [unrolled: 5-line block ×3, first 2 shown]
	s_waitcnt vmcnt(4)
	v_fmac_f64_e32 v[6:7], v[64:65], v[58:59]
	v_fmac_f64_e32 v[22:23], v[66:67], v[58:59]
	;; [unrolled: 1-line block ×4, first 2 shown]
	s_waitcnt vmcnt(3)
	v_fmac_f64_e32 v[6:7], v[110:111], v[82:83]
	v_lshl_add_u64 v[96:97], s[12:13], 0, v[28:29]
	v_fmac_f64_e32 v[6:7], v[30:31], v[84:85]
	global_load_dwordx4 v[28:31], v[96:97], off
	v_fmac_f64_e32 v[20:21], v[62:63], v[58:59]
	v_fmac_f64_e32 v[18:19], v[68:69], v[58:59]
	;; [unrolled: 1-line block ×7, first 2 shown]
	v_add_co_u32_e32 v82, vcc, s29, v16
	v_fmac_f64_e32 v[22:23], v[112:113], v[84:85]
	s_nop 0
	v_addc_co_u32_e32 v83, vcc, 0, v17, vcc
	v_fmac_f64_e32 v[20:21], v[114:115], v[84:85]
	v_fmac_f64_e32 v[18:19], v[56:57], v[84:85]
	global_load_dwordx4 v[90:93], v[82:83], off
	s_waitcnt vmcnt(4)
	v_cvt_f64_f32_e32 v[56:57], v86
	v_cvt_f64_f32_e32 v[82:83], v87
	v_cvt_f64_f32_e32 v[84:85], v88
	v_cvt_f64_f32_e32 v[86:87], v89
	global_load_dwordx4 v[62:65], v[74:75], off offset:16
	s_waitcnt vmcnt(4)
	v_cvt_f64_f32_e32 v[74:75], v78
	v_cvt_f64_f32_e32 v[76:77], v79
	;; [unrolled: 1-line block ×4, first 2 shown]
	v_cmp_ge_i64_e32 vcc, v[12:13], v[14:15]
	v_lshl_add_u64 v[16:17], v[16:17], 0, s[26:27]
	s_or_b64 s[8:9], vcc, s[8:9]
	s_waitcnt vmcnt(3)
	v_cvt_f64_f32_e32 v[66:67], v70
	v_cvt_f64_f32_e32 v[68:69], v71
	;; [unrolled: 1-line block ×4, first 2 shown]
	s_waitcnt vmcnt(2)
	v_fmac_f64_e32 v[22:23], v[56:57], v[28:29]
	v_fmac_f64_e32 v[20:21], v[82:83], v[28:29]
	;; [unrolled: 1-line block ×3, first 2 shown]
	v_lshl_add_u64 v[56:57], s[12:13], 0, v[26:27]
	v_fmac_f64_e32 v[6:7], v[86:87], v[28:29]
	global_load_dwordx4 v[26:29], v[96:97], off offset:16
	v_fmac_f64_e32 v[22:23], v[52:53], v[30:31]
	v_fmac_f64_e32 v[20:21], v[54:55], v[30:31]
	global_load_dwordx4 v[52:55], v[56:57], off
	global_load_dwordx4 v[82:85], v[56:57], off offset:16
	v_fmac_f64_e32 v[18:19], v[50:51], v[30:31]
	v_fmac_f64_e32 v[6:7], v[32:33], v[30:31]
	s_waitcnt vmcnt(4)
	v_cvt_f64_f32_e32 v[88:89], v90
	v_cvt_f64_f32_e32 v[90:91], v91
	;; [unrolled: 1-line block ×4, first 2 shown]
	s_waitcnt vmcnt(3)
	v_cvt_f64_f32_e32 v[58:59], v62
	v_cvt_f64_f32_e32 v[60:61], v63
	;; [unrolled: 1-line block ×4, first 2 shown]
	s_waitcnt vmcnt(2)
	v_fmac_f64_e32 v[22:23], v[34:35], v[26:27]
	v_fmac_f64_e32 v[20:21], v[36:37], v[26:27]
	v_fmac_f64_e32 v[18:19], v[38:39], v[26:27]
	v_fmac_f64_e32 v[6:7], v[40:41], v[26:27]
	v_fmac_f64_e32 v[22:23], v[42:43], v[28:29]
	v_fmac_f64_e32 v[20:21], v[44:45], v[28:29]
	v_fmac_f64_e32 v[18:19], v[46:47], v[28:29]
	v_fmac_f64_e32 v[6:7], v[48:49], v[28:29]
	s_waitcnt vmcnt(1)
	v_fmac_f64_e32 v[22:23], v[88:89], v[52:53]
	v_fmac_f64_e32 v[20:21], v[90:91], v[52:53]
	v_fmac_f64_e32 v[18:19], v[94:95], v[52:53]
	v_fmac_f64_e32 v[6:7], v[92:93], v[52:53]
	v_fmac_f64_e32 v[22:23], v[58:59], v[54:55]
	v_fmac_f64_e32 v[20:21], v[60:61], v[54:55]
	v_fmac_f64_e32 v[18:19], v[62:63], v[54:55]
	v_fmac_f64_e32 v[6:7], v[64:65], v[54:55]
	;; [unrolled: 9-line block ×3, first 2 shown]
	s_andn2_b64 exec, exec, s[8:9]
	s_cbranch_execnz .LBB164_35
; %bb.36:
	s_or_b64 exec, exec, s[8:9]
.LBB164_37:
	s_or_b64 exec, exec, s[14:15]
.LBB164_38:
	s_or_b64 exec, exec, s[10:11]
.LBB164_39:
	v_mov_b32_dpp v4, v22 row_shr:1 row_mask:0xf bank_mask:0xf
	v_mov_b32_dpp v5, v23 row_shr:1 row_mask:0xf bank_mask:0xf
	;; [unrolled: 1-line block ×4, first 2 shown]
	v_add_f64 v[4:5], v[22:23], v[4:5]
	v_add_f64 v[14:15], v[20:21], v[14:15]
	v_mov_b32_dpp v20, v18 row_shr:1 row_mask:0xf bank_mask:0xf
	v_mov_b32_dpp v21, v19 row_shr:1 row_mask:0xf bank_mask:0xf
	;; [unrolled: 1-line block ×4, first 2 shown]
	v_add_f64 v[18:19], v[18:19], v[20:21]
	v_add_f64 v[6:7], v[6:7], v[22:23]
	v_mov_b32_dpp v12, v4 row_shr:2 row_mask:0xf bank_mask:0xf
	v_mov_b32_dpp v13, v5 row_shr:2 row_mask:0xf bank_mask:0xf
	v_mov_b32_dpp v16, v14 row_shr:2 row_mask:0xf bank_mask:0xf
	v_mov_b32_dpp v17, v15 row_shr:2 row_mask:0xf bank_mask:0xf
	v_mov_b32_dpp v20, v18 row_shr:2 row_mask:0xf bank_mask:0xf
	v_mov_b32_dpp v21, v19 row_shr:2 row_mask:0xf bank_mask:0xf
	v_mov_b32_dpp v22, v6 row_shr:2 row_mask:0xf bank_mask:0xf
	v_mov_b32_dpp v23, v7 row_shr:2 row_mask:0xf bank_mask:0xf
	v_add_f64 v[4:5], v[4:5], v[12:13]
	v_add_f64 v[14:15], v[14:15], v[16:17]
	v_add_f64 v[18:19], v[18:19], v[20:21]
	v_add_f64 v[6:7], v[6:7], v[22:23]
	v_mov_b32_dpp v12, v4 row_shr:4 row_mask:0xf bank_mask:0xe
	v_mov_b32_dpp v13, v5 row_shr:4 row_mask:0xf bank_mask:0xe
	v_mov_b32_dpp v16, v14 row_shr:4 row_mask:0xf bank_mask:0xe
	v_mov_b32_dpp v17, v15 row_shr:4 row_mask:0xf bank_mask:0xe
	v_mov_b32_dpp v20, v18 row_shr:4 row_mask:0xf bank_mask:0xe
	v_mov_b32_dpp v21, v19 row_shr:4 row_mask:0xf bank_mask:0xe
	v_mov_b32_dpp v22, v6 row_shr:4 row_mask:0xf bank_mask:0xe
	v_mov_b32_dpp v23, v7 row_shr:4 row_mask:0xf bank_mask:0xe
	v_add_f64 v[4:5], v[4:5], v[12:13]
	v_add_f64 v[14:15], v[14:15], v[16:17]
	;; [unrolled: 12-line block ×3, first 2 shown]
	v_add_f64 v[18:19], v[18:19], v[20:21]
	v_add_f64 v[6:7], v[6:7], v[22:23]
	v_mov_b32_dpp v12, v4 row_bcast:15 row_mask:0xa bank_mask:0xf
	v_mov_b32_dpp v13, v5 row_bcast:15 row_mask:0xa bank_mask:0xf
	;; [unrolled: 1-line block ×8, first 2 shown]
	v_add_f64 v[4:5], v[4:5], v[12:13]
	v_add_f64 v[14:15], v[14:15], v[16:17]
	;; [unrolled: 1-line block ×4, first 2 shown]
	v_mov_b32_dpp v12, v4 row_bcast:31 row_mask:0xc bank_mask:0xf
	v_mov_b32_dpp v13, v5 row_bcast:31 row_mask:0xc bank_mask:0xf
	;; [unrolled: 1-line block ×8, first 2 shown]
	v_cmp_eq_u32_e32 vcc, 63, v0
	s_and_b64 exec, exec, vcc
	s_cbranch_execz .LBB164_10
; %bb.40:
	s_load_dwordx2 s[0:1], s[0:1], 0x58
	v_add_f64 v[0:1], v[4:5], v[12:13]
	v_add_f64 v[12:13], v[14:15], v[16:17]
	;; [unrolled: 1-line block ×4, first 2 shown]
	v_cmp_eq_f64_e32 vcc, 0, v[8:9]
	v_mul_f64 v[4:5], v[2:3], v[0:1]
	v_mul_f64 v[6:7], v[2:3], v[12:13]
	;; [unrolled: 1-line block ×4, first 2 shown]
	v_lshlrev_b64 v[10:11], 5, v[10:11]
	s_and_saveexec_b64 s[2:3], vcc
	s_xor_b64 s[2:3], exec, s[2:3]
	s_cbranch_execz .LBB164_42
; %bb.41:
	s_waitcnt lgkmcnt(0)
	v_lshl_add_u64 v[8:9], s[0:1], 0, v[10:11]
	global_store_dwordx4 v[8:9], v[4:7], off
	global_store_dwordx4 v[8:9], v[0:3], off offset:16
                                        ; implicit-def: $vgpr10_vgpr11
                                        ; implicit-def: $vgpr8_vgpr9
                                        ; implicit-def: $vgpr4_vgpr5
                                        ; implicit-def: $vgpr0_vgpr1
.LBB164_42:
	s_andn2_saveexec_b64 s[2:3], s[2:3]
	s_cbranch_execz .LBB164_10
; %bb.43:
	s_waitcnt lgkmcnt(0)
	v_lshl_add_u64 v[18:19], s[0:1], 0, v[10:11]
	global_load_dwordx4 v[10:13], v[18:19], off
	global_load_dwordx4 v[14:17], v[18:19], off offset:16
	s_waitcnt vmcnt(1)
	v_fmac_f64_e32 v[4:5], v[8:9], v[10:11]
	v_fmac_f64_e32 v[6:7], v[8:9], v[12:13]
	s_waitcnt vmcnt(0)
	v_fmac_f64_e32 v[0:1], v[8:9], v[14:15]
	v_fmac_f64_e32 v[2:3], v[8:9], v[16:17]
	global_store_dwordx4 v[18:19], v[4:7], off
	global_store_dwordx4 v[18:19], v[0:3], off offset:16
	s_endpgm
	.section	.rodata,"a",@progbits
	.p2align	6, 0x0
	.amdhsa_kernel _ZN9rocsparseL18bsrxmvn_4x4_kernelILj128ELj64EdllfddEEvT3_20rocsparse_direction_NS_24const_host_device_scalarIT1_EES1_PKS1_PKT2_SA_S7_PKT4_PKT5_S5_PT6_21rocsparse_index_base_b
		.amdhsa_group_segment_fixed_size 0
		.amdhsa_private_segment_fixed_size 0
		.amdhsa_kernarg_size 104
		.amdhsa_user_sgpr_count 2
		.amdhsa_user_sgpr_dispatch_ptr 0
		.amdhsa_user_sgpr_queue_ptr 0
		.amdhsa_user_sgpr_kernarg_segment_ptr 1
		.amdhsa_user_sgpr_dispatch_id 0
		.amdhsa_user_sgpr_kernarg_preload_length 0
		.amdhsa_user_sgpr_kernarg_preload_offset 0
		.amdhsa_user_sgpr_private_segment_size 0
		.amdhsa_uses_dynamic_stack 0
		.amdhsa_enable_private_segment 0
		.amdhsa_system_sgpr_workgroup_id_x 1
		.amdhsa_system_sgpr_workgroup_id_y 0
		.amdhsa_system_sgpr_workgroup_id_z 0
		.amdhsa_system_sgpr_workgroup_info 0
		.amdhsa_system_vgpr_workitem_id 0
		.amdhsa_next_free_vgpr 116
		.amdhsa_next_free_sgpr 30
		.amdhsa_accum_offset 116
		.amdhsa_reserve_vcc 1
		.amdhsa_float_round_mode_32 0
		.amdhsa_float_round_mode_16_64 0
		.amdhsa_float_denorm_mode_32 3
		.amdhsa_float_denorm_mode_16_64 3
		.amdhsa_dx10_clamp 1
		.amdhsa_ieee_mode 1
		.amdhsa_fp16_overflow 0
		.amdhsa_tg_split 0
		.amdhsa_exception_fp_ieee_invalid_op 0
		.amdhsa_exception_fp_denorm_src 0
		.amdhsa_exception_fp_ieee_div_zero 0
		.amdhsa_exception_fp_ieee_overflow 0
		.amdhsa_exception_fp_ieee_underflow 0
		.amdhsa_exception_fp_ieee_inexact 0
		.amdhsa_exception_int_div_zero 0
	.end_amdhsa_kernel
	.section	.text._ZN9rocsparseL18bsrxmvn_4x4_kernelILj128ELj64EdllfddEEvT3_20rocsparse_direction_NS_24const_host_device_scalarIT1_EES1_PKS1_PKT2_SA_S7_PKT4_PKT5_S5_PT6_21rocsparse_index_base_b,"axG",@progbits,_ZN9rocsparseL18bsrxmvn_4x4_kernelILj128ELj64EdllfddEEvT3_20rocsparse_direction_NS_24const_host_device_scalarIT1_EES1_PKS1_PKT2_SA_S7_PKT4_PKT5_S5_PT6_21rocsparse_index_base_b,comdat
.Lfunc_end164:
	.size	_ZN9rocsparseL18bsrxmvn_4x4_kernelILj128ELj64EdllfddEEvT3_20rocsparse_direction_NS_24const_host_device_scalarIT1_EES1_PKS1_PKT2_SA_S7_PKT4_PKT5_S5_PT6_21rocsparse_index_base_b, .Lfunc_end164-_ZN9rocsparseL18bsrxmvn_4x4_kernelILj128ELj64EdllfddEEvT3_20rocsparse_direction_NS_24const_host_device_scalarIT1_EES1_PKS1_PKT2_SA_S7_PKT4_PKT5_S5_PT6_21rocsparse_index_base_b
                                        ; -- End function
	.set _ZN9rocsparseL18bsrxmvn_4x4_kernelILj128ELj64EdllfddEEvT3_20rocsparse_direction_NS_24const_host_device_scalarIT1_EES1_PKS1_PKT2_SA_S7_PKT4_PKT5_S5_PT6_21rocsparse_index_base_b.num_vgpr, 116
	.set _ZN9rocsparseL18bsrxmvn_4x4_kernelILj128ELj64EdllfddEEvT3_20rocsparse_direction_NS_24const_host_device_scalarIT1_EES1_PKS1_PKT2_SA_S7_PKT4_PKT5_S5_PT6_21rocsparse_index_base_b.num_agpr, 0
	.set _ZN9rocsparseL18bsrxmvn_4x4_kernelILj128ELj64EdllfddEEvT3_20rocsparse_direction_NS_24const_host_device_scalarIT1_EES1_PKS1_PKT2_SA_S7_PKT4_PKT5_S5_PT6_21rocsparse_index_base_b.numbered_sgpr, 30
	.set _ZN9rocsparseL18bsrxmvn_4x4_kernelILj128ELj64EdllfddEEvT3_20rocsparse_direction_NS_24const_host_device_scalarIT1_EES1_PKS1_PKT2_SA_S7_PKT4_PKT5_S5_PT6_21rocsparse_index_base_b.num_named_barrier, 0
	.set _ZN9rocsparseL18bsrxmvn_4x4_kernelILj128ELj64EdllfddEEvT3_20rocsparse_direction_NS_24const_host_device_scalarIT1_EES1_PKS1_PKT2_SA_S7_PKT4_PKT5_S5_PT6_21rocsparse_index_base_b.private_seg_size, 0
	.set _ZN9rocsparseL18bsrxmvn_4x4_kernelILj128ELj64EdllfddEEvT3_20rocsparse_direction_NS_24const_host_device_scalarIT1_EES1_PKS1_PKT2_SA_S7_PKT4_PKT5_S5_PT6_21rocsparse_index_base_b.uses_vcc, 1
	.set _ZN9rocsparseL18bsrxmvn_4x4_kernelILj128ELj64EdllfddEEvT3_20rocsparse_direction_NS_24const_host_device_scalarIT1_EES1_PKS1_PKT2_SA_S7_PKT4_PKT5_S5_PT6_21rocsparse_index_base_b.uses_flat_scratch, 0
	.set _ZN9rocsparseL18bsrxmvn_4x4_kernelILj128ELj64EdllfddEEvT3_20rocsparse_direction_NS_24const_host_device_scalarIT1_EES1_PKS1_PKT2_SA_S7_PKT4_PKT5_S5_PT6_21rocsparse_index_base_b.has_dyn_sized_stack, 0
	.set _ZN9rocsparseL18bsrxmvn_4x4_kernelILj128ELj64EdllfddEEvT3_20rocsparse_direction_NS_24const_host_device_scalarIT1_EES1_PKS1_PKT2_SA_S7_PKT4_PKT5_S5_PT6_21rocsparse_index_base_b.has_recursion, 0
	.set _ZN9rocsparseL18bsrxmvn_4x4_kernelILj128ELj64EdllfddEEvT3_20rocsparse_direction_NS_24const_host_device_scalarIT1_EES1_PKS1_PKT2_SA_S7_PKT4_PKT5_S5_PT6_21rocsparse_index_base_b.has_indirect_call, 0
	.section	.AMDGPU.csdata,"",@progbits
; Kernel info:
; codeLenInByte = 4544
; TotalNumSgprs: 36
; NumVgprs: 116
; NumAgprs: 0
; TotalNumVgprs: 116
; ScratchSize: 0
; MemoryBound: 0
; FloatMode: 240
; IeeeMode: 1
; LDSByteSize: 0 bytes/workgroup (compile time only)
; SGPRBlocks: 4
; VGPRBlocks: 14
; NumSGPRsForWavesPerEU: 36
; NumVGPRsForWavesPerEU: 116
; AccumOffset: 116
; Occupancy: 4
; WaveLimiterHint : 1
; COMPUTE_PGM_RSRC2:SCRATCH_EN: 0
; COMPUTE_PGM_RSRC2:USER_SGPR: 2
; COMPUTE_PGM_RSRC2:TRAP_HANDLER: 0
; COMPUTE_PGM_RSRC2:TGID_X_EN: 1
; COMPUTE_PGM_RSRC2:TGID_Y_EN: 0
; COMPUTE_PGM_RSRC2:TGID_Z_EN: 0
; COMPUTE_PGM_RSRC2:TIDIG_COMP_CNT: 0
; COMPUTE_PGM_RSRC3_GFX90A:ACCUM_OFFSET: 28
; COMPUTE_PGM_RSRC3_GFX90A:TG_SPLIT: 0
	.section	.text._ZN9rocsparseL18bsrxmvn_4x4_kernelILj128ELj4E21rocsparse_complex_numIdEiiS1_IfES2_S2_EEvT3_20rocsparse_direction_NS_24const_host_device_scalarIT1_EES4_PKS4_PKT2_SD_SA_PKT4_PKT5_S8_PT6_21rocsparse_index_base_b,"axG",@progbits,_ZN9rocsparseL18bsrxmvn_4x4_kernelILj128ELj4E21rocsparse_complex_numIdEiiS1_IfES2_S2_EEvT3_20rocsparse_direction_NS_24const_host_device_scalarIT1_EES4_PKS4_PKT2_SD_SA_PKT4_PKT5_S8_PT6_21rocsparse_index_base_b,comdat
	.globl	_ZN9rocsparseL18bsrxmvn_4x4_kernelILj128ELj4E21rocsparse_complex_numIdEiiS1_IfES2_S2_EEvT3_20rocsparse_direction_NS_24const_host_device_scalarIT1_EES4_PKS4_PKT2_SD_SA_PKT4_PKT5_S8_PT6_21rocsparse_index_base_b ; -- Begin function _ZN9rocsparseL18bsrxmvn_4x4_kernelILj128ELj4E21rocsparse_complex_numIdEiiS1_IfES2_S2_EEvT3_20rocsparse_direction_NS_24const_host_device_scalarIT1_EES4_PKS4_PKT2_SD_SA_PKT4_PKT5_S8_PT6_21rocsparse_index_base_b
	.p2align	8
	.type	_ZN9rocsparseL18bsrxmvn_4x4_kernelILj128ELj4E21rocsparse_complex_numIdEiiS1_IfES2_S2_EEvT3_20rocsparse_direction_NS_24const_host_device_scalarIT1_EES4_PKS4_PKT2_SD_SA_PKT4_PKT5_S8_PT6_21rocsparse_index_base_b,@function
_ZN9rocsparseL18bsrxmvn_4x4_kernelILj128ELj4E21rocsparse_complex_numIdEiiS1_IfES2_S2_EEvT3_20rocsparse_direction_NS_24const_host_device_scalarIT1_EES4_PKS4_PKT2_SD_SA_PKT4_PKT5_S8_PT6_21rocsparse_index_base_b: ; @_ZN9rocsparseL18bsrxmvn_4x4_kernelILj128ELj4E21rocsparse_complex_numIdEiiS1_IfES2_S2_EEvT3_20rocsparse_direction_NS_24const_host_device_scalarIT1_EES4_PKS4_PKT2_SD_SA_PKT4_PKT5_S8_PT6_21rocsparse_index_base_b
; %bb.0:
	s_load_dwordx2 s[4:5], s[0:1], 0x8
	s_load_dwordx2 s[12:13], s[0:1], 0x68
	s_add_u32 s3, s0, 8
	s_addc_u32 s8, s1, 0
	s_add_u32 s9, s0, 0x50
	s_load_dwordx2 s[6:7], s[0:1], 0x50
	s_addc_u32 s10, s1, 0
	s_waitcnt lgkmcnt(0)
	s_bitcmp1_b32 s13, 0
	s_cselect_b32 s5, s8, s5
	s_cselect_b32 s3, s3, s4
	v_mov_b32_e32 v2, s3
	v_mov_b32_e32 v3, s5
	flat_load_dwordx4 v[6:9], v[2:3]
	s_cselect_b32 s3, s10, s7
	s_cselect_b32 s4, s9, s6
	v_mov_b32_e32 v2, s4
	v_mov_b32_e32 v3, s3
	flat_load_dwordx4 v[2:5], v[2:3]
	s_waitcnt vmcnt(0) lgkmcnt(0)
	v_cmp_eq_f64_e32 vcc, 0, v[6:7]
	v_cmp_eq_f64_e64 s[4:5], 0, v[8:9]
	s_and_b64 s[8:9], vcc, s[4:5]
	s_mov_b64 s[4:5], -1
	s_and_saveexec_b64 s[6:7], s[8:9]
; %bb.1:
	v_cmp_neq_f64_e32 vcc, 1.0, v[2:3]
	v_cmp_neq_f64_e64 s[4:5], 0, v[4:5]
	s_or_b64 s[4:5], vcc, s[4:5]
	s_orn2_b64 s[4:5], s[4:5], exec
; %bb.2:
	s_or_b64 exec, exec, s[6:7]
	s_and_saveexec_b64 s[6:7], s[4:5]
	s_cbranch_execz .LBB165_8
; %bb.3:
	s_load_dwordx2 s[4:5], s[0:1], 0x20
	s_load_dwordx2 s[14:15], s[0:1], 0x0
	v_lshrrev_b32_e32 v1, 2, v0
	v_lshl_or_b32 v38, s2, 5, v1
	s_mov_b64 s[2:3], 0
	s_waitcnt lgkmcnt(0)
	s_cmp_lg_u64 s[4:5], 0
	s_cbranch_scc0 .LBB165_9
; %bb.4:
	s_load_dword s6, s[0:1], 0x18
                                        ; implicit-def: $vgpr1
	s_waitcnt lgkmcnt(0)
	v_cmp_gt_i32_e32 vcc, s6, v38
	s_and_saveexec_b64 s[6:7], vcc
	s_xor_b64 s[6:7], exec, s[6:7]
	s_cbranch_execz .LBB165_6
; %bb.5:
	v_ashrrev_i32_e32 v39, 31, v38
	v_lshl_add_u64 v[10:11], v[38:39], 2, s[4:5]
	global_load_dword v1, v[10:11], off
	s_mov_b64 s[2:3], exec
	s_waitcnt vmcnt(0)
	v_subrev_u32_e32 v1, s12, v1
.LBB165_6:
	s_or_b64 exec, exec, s[6:7]
	s_branch .LBB165_10
.LBB165_7:
	v_cmp_gt_i32_e32 vcc, s14, v38
	s_andn2_b64 s[2:3], s[2:3], exec
	s_and_b64 s[4:5], vcc, exec
	s_or_b64 s[2:3], s[2:3], s[4:5]
	s_and_b64 exec, exec, s[2:3]
	s_cbranch_execnz .LBB165_11
.LBB165_8:
	s_endpgm
.LBB165_9:
                                        ; implicit-def: $vgpr1
	s_cbranch_execnz .LBB165_7
.LBB165_10:
	v_mov_b32_e32 v38, v1
	s_and_b64 exec, exec, s[2:3]
	s_cbranch_execz .LBB165_8
.LBB165_11:
	s_load_dwordx8 s[4:11], s[0:1], 0x28
	v_ashrrev_i32_e32 v39, 31, v38
	v_lshlrev_b64 v[10:11], 2, v[38:39]
	v_and_b32_e32 v39, 3, v0
	s_waitcnt lgkmcnt(0)
	v_lshl_add_u64 v[12:13], s[4:5], 0, v[10:11]
	s_cmp_eq_u64 s[6:7], 0
	global_load_dword v67, v[12:13], off
	v_lshl_add_u64 v[12:13], v[12:13], 0, 4
	v_lshl_add_u64 v[10:11], s[6:7], 0, v[10:11]
	s_cselect_b64 vcc, -1, 0
	v_cndmask_b32_e32 v11, v11, v13, vcc
	v_cndmask_b32_e32 v10, v10, v12, vcc
	global_load_dword v1, v[10:11], off
	s_load_dwordx2 s[4:5], s[0:1], 0x48
	s_cmp_eq_u32 s15, 1
	s_waitcnt vmcnt(1)
	v_subrev_u32_e32 v0, s12, v67
	v_add_u32_e32 v40, v0, v39
	v_ashrrev_i32_e32 v41, 31, v40
	s_waitcnt vmcnt(0)
	v_subrev_u32_e32 v66, s12, v1
	v_lshlrev_b64 v[0:1], 7, v[40:41]
	v_lshl_add_u64 v[42:43], s[10:11], 0, v[0:1]
	v_cmp_lt_i32_e64 s[2:3], v40, v66
	s_cbranch_scc1 .LBB165_23
; %bb.12:
	v_mov_b64_e32 v[44:45], 0
	v_mov_b64_e32 v[18:19], 0
	v_mov_b64_e32 v[48:49], 0
	v_mov_b64_e32 v[56:57], 0
	v_mov_b64_e32 v[46:47], 0
	v_mov_b64_e32 v[54:55], 0
	v_mov_b64_e32 v[0:1], 0
	v_mov_b64_e32 v[20:21], 0
	s_and_saveexec_b64 s[6:7], s[2:3]
	s_cbranch_execz .LBB165_22
; %bb.13:
	v_add_u32_e32 v0, v67, v39
	v_subrev_u32_e32 v0, s12, v0
	v_add_u32_e32 v0, 4, v0
	v_max_i32_e32 v0, v0, v66
	v_not_b32_e32 v1, v67
	v_add3_u32 v0, s12, v0, v1
	v_sub_u32_e32 v14, v0, v39
	v_and_b32_e32 v0, 12, v14
	v_cmp_ne_u32_e32 vcc, 12, v0
	v_mov_b64_e32 v[20:21], 0
	v_mov_b64_e32 v[0:1], 0
	;; [unrolled: 1-line block ×9, first 2 shown]
	v_mov_b32_e32 v50, v40
	s_and_saveexec_b64 s[10:11], vcc
	s_cbranch_execz .LBB165_17
; %bb.14:
	v_lshrrev_b32_e32 v0, 2, v14
	v_add_u32_e32 v0, 1, v0
	v_and_b32_e32 v0, 3, v0
	v_sub_u32_e32 v15, 0, v0
	v_mov_b64_e32 v[44:45], 0
	s_mov_b64 s[14:15], 0
	s_mov_b64 s[16:17], 0x200
	v_mov_b32_e32 v50, v40
	v_mov_b64_e32 v[52:53], v[42:43]
	v_mov_b64_e32 v[18:19], 0
	;; [unrolled: 1-line block ×8, first 2 shown]
.LBB165_15:                             ; =>This Inner Loop Header: Depth=1
	global_load_dwordx4 v[22:25], v[52:53], off
	global_load_dwordx4 v[26:29], v[52:53], off offset:16
	global_load_dwordx4 v[10:13], v[52:53], off offset:32
	v_ashrrev_i32_e32 v51, 31, v50
	v_lshl_add_u64 v[16:17], v[50:51], 2, s[8:9]
	global_load_dwordx4 v[30:33], v[52:53], off offset:64
	global_load_dwordx4 v[34:37], v[52:53], off offset:96
	global_load_dword v41, v[16:17], off
	global_load_dwordx4 v[58:61], v[52:53], off offset:48
	global_load_dwordx4 v[62:65], v[52:53], off offset:80
	global_load_dwordx4 v[68:71], v[52:53], off offset:112
	v_add_co_u32_e32 v15, vcc, 1, v15
	v_lshl_add_u64 v[52:53], v[52:53], 0, s[16:17]
	v_add_u32_e32 v50, 4, v50
	s_or_b64 s[14:15], vcc, s[14:15]
	s_waitcnt vmcnt(8)
	v_cvt_f64_f32_e32 v[16:17], v22
	v_cvt_f64_f32_e32 v[76:77], v23
	s_waitcnt vmcnt(6)
	v_cvt_f64_f32_e32 v[90:91], v10
	s_waitcnt vmcnt(3)
	v_subrev_u32_e32 v10, s12, v41
	v_lshlrev_b32_e32 v10, 2, v10
	v_cvt_f64_f32_e32 v[92:93], v11
	v_ashrrev_i32_e32 v11, 31, v10
	s_waitcnt lgkmcnt(0)
	v_lshl_add_u64 v[102:103], v[10:11], 4, s[4:5]
	v_cvt_f64_f32_e32 v[78:79], v24
	v_cvt_f64_f32_e32 v[80:81], v25
	;; [unrolled: 1-line block ×8, first 2 shown]
	global_load_dwordx4 v[10:13], v[102:103], off
	global_load_dwordx4 v[22:25], v[102:103], off offset:16
	global_load_dwordx4 v[26:29], v[102:103], off offset:32
	;; [unrolled: 1-line block ×3, first 2 shown]
	v_cvt_f64_f32_e32 v[98:99], v30
	v_cvt_f64_f32_e32 v[30:31], v31
	;; [unrolled: 1-line block ×8, first 2 shown]
	s_waitcnt vmcnt(6)
	v_cvt_f64_f32_e32 v[102:103], v58
	v_cvt_f64_f32_e32 v[58:59], v59
	s_waitcnt vmcnt(5)
	v_cvt_f64_f32_e32 v[108:109], v62
	v_cvt_f64_f32_e32 v[62:63], v63
	s_waitcnt vmcnt(4)
	v_cvt_f64_f32_e32 v[114:115], v68
	v_cvt_f64_f32_e32 v[68:69], v69
	v_cvt_f64_f32_e32 v[104:105], v60
	v_cvt_f64_f32_e32 v[60:61], v61
	;; [unrolled: 1-line block ×6, first 2 shown]
	s_waitcnt vmcnt(3)
	v_fmac_f64_e32 v[18:19], v[16:17], v[10:11]
	v_fmac_f64_e32 v[44:45], v[76:77], v[10:11]
	v_fmac_f64_e32 v[56:57], v[90:91], v[10:11]
	v_fmac_f64_e32 v[48:49], v[92:93], v[10:11]
	v_fmac_f64_e32 v[54:55], v[98:99], v[10:11]
	v_fmac_f64_e32 v[46:47], v[30:31], v[10:11]
	v_fmac_f64_e32 v[20:21], v[100:101], v[10:11]
	v_fmac_f64_e32 v[0:1], v[34:35], v[10:11]
	v_fma_f64 v[10:11], -v[76:77], v[12:13], v[18:19]
	v_fmac_f64_e32 v[44:45], v[16:17], v[12:13]
	v_fma_f64 v[16:17], -v[92:93], v[12:13], v[56:57]
	v_fmac_f64_e32 v[48:49], v[90:91], v[12:13]
	v_fma_f64 v[18:19], -v[30:31], v[12:13], v[54:55]
	v_fmac_f64_e32 v[46:47], v[98:99], v[12:13]
	v_fma_f64 v[20:21], -v[34:35], v[12:13], v[20:21]
	v_fmac_f64_e32 v[0:1], v[100:101], v[12:13]
	s_waitcnt vmcnt(2)
	v_fmac_f64_e32 v[10:11], v[78:79], v[22:23]
	v_fmac_f64_e32 v[44:45], v[80:81], v[22:23]
	v_fmac_f64_e32 v[16:17], v[94:95], v[22:23]
	v_fmac_f64_e32 v[48:49], v[96:97], v[22:23]
	v_fmac_f64_e32 v[18:19], v[106:107], v[22:23]
	v_fmac_f64_e32 v[46:47], v[32:33], v[22:23]
	v_fmac_f64_e32 v[20:21], v[112:113], v[22:23]
	v_fmac_f64_e32 v[0:1], v[36:37], v[22:23]
	v_fma_f64 v[10:11], -v[80:81], v[24:25], v[10:11]
	v_fmac_f64_e32 v[44:45], v[78:79], v[24:25]
	v_fma_f64 v[12:13], -v[96:97], v[24:25], v[16:17]
	v_fmac_f64_e32 v[48:49], v[94:95], v[24:25]
	v_fma_f64 v[16:17], -v[32:33], v[24:25], v[18:19]
	v_fmac_f64_e32 v[46:47], v[106:107], v[24:25]
	v_fma_f64 v[18:19], -v[36:37], v[24:25], v[20:21]
	v_fmac_f64_e32 v[0:1], v[112:113], v[24:25]
	;; [unrolled: 17-line block ×4, first 2 shown]
	s_andn2_b64 exec, exec, s[14:15]
	s_cbranch_execnz .LBB165_15
; %bb.16:
	s_or_b64 exec, exec, s[14:15]
.LBB165_17:
	s_or_b64 exec, exec, s[10:11]
	v_cmp_lt_u32_e32 vcc, 11, v14
	s_and_saveexec_b64 s[10:11], vcc
	s_cbranch_execz .LBB165_21
; %bb.18:
	s_mov_b64 s[14:15], 0
	s_mov_b64 s[16:17], 0x800
.LBB165_19:                             ; =>This Inner Loop Header: Depth=1
	v_ashrrev_i32_e32 v51, 31, v50
	v_lshl_add_u64 v[58:59], v[50:51], 2, s[8:9]
	global_load_dword v10, v[58:59], off
	global_load_dwordx4 v[22:25], v[52:53], off offset:48
	global_load_dwordx4 v[28:31], v[52:53], off offset:32
	;; [unrolled: 1-line block ×3, first 2 shown]
	global_load_dwordx4 v[60:63], v[52:53], off
	v_add_u32_e32 v50, 16, v50
	v_cmp_ge_i32_e32 vcc, v50, v66
	s_or_b64 s[14:15], vcc, s[14:15]
	s_waitcnt vmcnt(4)
	v_subrev_u32_e32 v10, s12, v10
	v_lshlrev_b32_e32 v10, 2, v10
	v_ashrrev_i32_e32 v11, 31, v10
	s_waitcnt vmcnt(0)
	v_cvt_f64_f32_e32 v[26:27], v60
	v_cvt_f64_f32_e32 v[36:37], v61
	s_waitcnt lgkmcnt(0)
	v_lshl_add_u64 v[60:61], v[10:11], 4, s[4:5]
	global_load_dwordx4 v[10:13], v[60:61], off offset:48
	global_load_dwordx4 v[14:17], v[60:61], off offset:32
	;; [unrolled: 1-line block ×3, first 2 shown]
	global_load_dwordx4 v[72:75], v[60:61], off
	s_waitcnt vmcnt(0)
	v_fmac_f64_e32 v[18:19], v[26:27], v[72:73]
	v_fmac_f64_e32 v[44:45], v[36:37], v[72:73]
	v_fma_f64 v[18:19], -v[36:37], v[74:75], v[18:19]
	v_fmac_f64_e32 v[44:45], v[26:27], v[74:75]
	v_cvt_f64_f32_e32 v[26:27], v62
	v_cvt_f64_f32_e32 v[36:37], v63
	v_fmac_f64_e32 v[18:19], v[26:27], v[68:69]
	v_fmac_f64_e32 v[44:45], v[36:37], v[68:69]
	v_fma_f64 v[18:19], -v[36:37], v[70:71], v[18:19]
	v_fmac_f64_e32 v[44:45], v[26:27], v[70:71]
	v_cvt_f64_f32_e32 v[26:27], v32
	v_cvt_f64_f32_e32 v[32:33], v33
	v_fmac_f64_e32 v[18:19], v[26:27], v[14:15]
	v_fma_f64 v[18:19], -v[32:33], v[16:17], v[18:19]
	v_fmac_f64_e32 v[44:45], v[32:33], v[14:15]
	v_cvt_f64_f32_e32 v[32:33], v34
	v_cvt_f64_f32_e32 v[34:35], v35
	v_fmac_f64_e32 v[18:19], v[32:33], v[10:11]
	v_fmac_f64_e32 v[44:45], v[26:27], v[16:17]
	v_fma_f64 v[26:27], -v[34:35], v[12:13], v[18:19]
	v_cvt_f64_f32_e32 v[18:19], v28
	v_cvt_f64_f32_e32 v[28:29], v29
	v_fmac_f64_e32 v[44:45], v[34:35], v[10:11]
	v_fmac_f64_e32 v[56:57], v[18:19], v[72:73]
	v_fmac_f64_e32 v[48:49], v[28:29], v[72:73]
	v_fmac_f64_e32 v[44:45], v[32:33], v[12:13]
	v_fma_f64 v[32:33], -v[28:29], v[74:75], v[56:57]
	v_fmac_f64_e32 v[48:49], v[18:19], v[74:75]
	v_cvt_f64_f32_e32 v[18:19], v30
	v_cvt_f64_f32_e32 v[28:29], v31
	v_fmac_f64_e32 v[32:33], v[18:19], v[68:69]
	v_fmac_f64_e32 v[48:49], v[28:29], v[68:69]
	v_fma_f64 v[30:31], -v[28:29], v[70:71], v[32:33]
	v_fmac_f64_e32 v[48:49], v[18:19], v[70:71]
	v_cvt_f64_f32_e32 v[18:19], v22
	v_cvt_f64_f32_e32 v[22:23], v23
	v_fmac_f64_e32 v[30:31], v[18:19], v[14:15]
	v_fmac_f64_e32 v[48:49], v[22:23], v[14:15]
	v_fma_f64 v[28:29], -v[22:23], v[16:17], v[30:31]
	v_fmac_f64_e32 v[48:49], v[18:19], v[16:17]
	v_cvt_f64_f32_e32 v[18:19], v24
	v_cvt_f64_f32_e32 v[22:23], v25
	v_fmac_f64_e32 v[28:29], v[18:19], v[10:11]
	v_fma_f64 v[28:29], -v[22:23], v[12:13], v[28:29]
	v_fmac_f64_e32 v[48:49], v[22:23], v[10:11]
	global_load_dwordx4 v[22:25], v[52:53], off offset:112
	global_load_dwordx4 v[30:33], v[52:53], off offset:96
	;; [unrolled: 1-line block ×4, first 2 shown]
	v_fmac_f64_e32 v[48:49], v[18:19], v[12:13]
	s_waitcnt vmcnt(0)
	v_cvt_f64_f32_e32 v[18:19], v60
	v_cvt_f64_f32_e32 v[56:57], v61
	v_fmac_f64_e32 v[54:55], v[18:19], v[72:73]
	v_fmac_f64_e32 v[46:47], v[56:57], v[72:73]
	v_fma_f64 v[54:55], -v[56:57], v[74:75], v[54:55]
	v_fmac_f64_e32 v[46:47], v[18:19], v[74:75]
	v_cvt_f64_f32_e32 v[18:19], v62
	v_cvt_f64_f32_e32 v[56:57], v63
	v_fmac_f64_e32 v[54:55], v[18:19], v[68:69]
	v_fmac_f64_e32 v[46:47], v[56:57], v[68:69]
	v_fma_f64 v[54:55], -v[56:57], v[70:71], v[54:55]
	v_fmac_f64_e32 v[46:47], v[18:19], v[70:71]
	;; [unrolled: 6-line block ×3, first 2 shown]
	v_cvt_f64_f32_e32 v[34:35], v37
	v_cvt_f64_f32_e32 v[18:19], v36
	v_fmac_f64_e32 v[46:47], v[34:35], v[10:11]
	v_fmac_f64_e32 v[54:55], v[18:19], v[10:11]
	;; [unrolled: 1-line block ×3, first 2 shown]
	v_cvt_f64_f32_e32 v[18:19], v30
	v_cvt_f64_f32_e32 v[30:31], v31
	v_fmac_f64_e32 v[20:21], v[18:19], v[72:73]
	v_fmac_f64_e32 v[0:1], v[30:31], v[72:73]
	v_fma_f64 v[20:21], -v[30:31], v[74:75], v[20:21]
	v_fmac_f64_e32 v[0:1], v[18:19], v[74:75]
	v_cvt_f64_f32_e32 v[18:19], v32
	v_cvt_f64_f32_e32 v[30:31], v33
	v_fmac_f64_e32 v[20:21], v[18:19], v[68:69]
	v_fmac_f64_e32 v[0:1], v[30:31], v[68:69]
	v_fma_f64 v[20:21], -v[30:31], v[70:71], v[20:21]
	v_fmac_f64_e32 v[0:1], v[18:19], v[70:71]
	;; [unrolled: 6-line block ×3, first 2 shown]
	v_cvt_f64_f32_e32 v[14:15], v24
	v_cvt_f64_f32_e32 v[16:17], v25
	v_fmac_f64_e32 v[20:21], v[14:15], v[10:11]
	v_fmac_f64_e32 v[0:1], v[16:17], v[10:11]
	global_load_dword v10, v[58:59], off offset:16
	v_fma_f64 v[56:57], -v[34:35], v[12:13], v[54:55]
	global_load_dwordx4 v[30:33], v[52:53], off offset:560
	global_load_dwordx4 v[34:37], v[52:53], off offset:544
	;; [unrolled: 1-line block ×4, first 2 shown]
	v_fma_f64 v[54:55], -v[16:17], v[12:13], v[20:21]
	v_fmac_f64_e32 v[0:1], v[14:15], v[12:13]
	s_waitcnt vmcnt(4)
	v_subrev_u32_e32 v10, s12, v10
	v_lshlrev_b32_e32 v10, 2, v10
	v_ashrrev_i32_e32 v11, 31, v10
	v_lshl_add_u64 v[72:73], v[10:11], 4, s[4:5]
	global_load_dwordx4 v[10:13], v[72:73], off offset:48
	global_load_dwordx4 v[14:17], v[72:73], off offset:32
	;; [unrolled: 1-line block ×3, first 2 shown]
	global_load_dwordx4 v[22:25], v[72:73], off
	s_waitcnt vmcnt(4)
	v_cvt_f64_f32_e32 v[64:65], v68
	v_cvt_f64_f32_e32 v[68:69], v69
	s_waitcnt vmcnt(0)
	v_fmac_f64_e32 v[26:27], v[64:65], v[22:23]
	v_fmac_f64_e32 v[44:45], v[68:69], v[22:23]
	v_fma_f64 v[26:27], -v[68:69], v[24:25], v[26:27]
	v_fmac_f64_e32 v[44:45], v[64:65], v[24:25]
	v_cvt_f64_f32_e32 v[64:65], v70
	v_cvt_f64_f32_e32 v[68:69], v71
	v_fmac_f64_e32 v[26:27], v[64:65], v[18:19]
	v_fmac_f64_e32 v[44:45], v[68:69], v[18:19]
	v_fma_f64 v[26:27], -v[68:69], v[20:21], v[26:27]
	v_fmac_f64_e32 v[44:45], v[64:65], v[20:21]
	v_cvt_f64_f32_e32 v[64:65], v60
	v_cvt_f64_f32_e32 v[60:61], v61
	;; [unrolled: 6-line block ×3, first 2 shown]
	v_fmac_f64_e32 v[26:27], v[64:65], v[10:11]
	v_fma_f64 v[60:61], -v[62:63], v[12:13], v[26:27]
	v_cvt_f64_f32_e32 v[26:27], v34
	v_cvt_f64_f32_e32 v[34:35], v35
	v_fmac_f64_e32 v[28:29], v[26:27], v[22:23]
	v_fmac_f64_e32 v[48:49], v[34:35], v[22:23]
	v_fma_f64 v[28:29], -v[34:35], v[24:25], v[28:29]
	v_fmac_f64_e32 v[48:49], v[26:27], v[24:25]
	v_cvt_f64_f32_e32 v[26:27], v36
	v_cvt_f64_f32_e32 v[34:35], v37
	v_fmac_f64_e32 v[28:29], v[26:27], v[18:19]
	v_fmac_f64_e32 v[48:49], v[34:35], v[18:19]
	v_fma_f64 v[28:29], -v[34:35], v[20:21], v[28:29]
	v_fmac_f64_e32 v[48:49], v[26:27], v[20:21]
	;; [unrolled: 6-line block ×3, first 2 shown]
	v_cvt_f64_f32_e32 v[26:27], v32
	v_cvt_f64_f32_e32 v[30:31], v33
	v_fmac_f64_e32 v[44:45], v[62:63], v[10:11]
	v_fmac_f64_e32 v[28:29], v[26:27], v[10:11]
	;; [unrolled: 1-line block ×4, first 2 shown]
	v_fma_f64 v[64:65], -v[30:31], v[12:13], v[28:29]
	v_fmac_f64_e32 v[48:49], v[26:27], v[12:13]
	global_load_dwordx4 v[26:29], v[52:53], off offset:624
	global_load_dwordx4 v[30:33], v[52:53], off offset:608
	;; [unrolled: 1-line block ×4, first 2 shown]
	s_waitcnt vmcnt(0)
	v_cvt_f64_f32_e32 v[62:63], v68
	v_cvt_f64_f32_e32 v[68:69], v69
	v_fmac_f64_e32 v[56:57], v[62:63], v[22:23]
	v_fmac_f64_e32 v[46:47], v[68:69], v[22:23]
	v_fma_f64 v[56:57], -v[68:69], v[24:25], v[56:57]
	v_fmac_f64_e32 v[46:47], v[62:63], v[24:25]
	v_cvt_f64_f32_e32 v[62:63], v70
	v_cvt_f64_f32_e32 v[68:69], v71
	v_fmac_f64_e32 v[56:57], v[62:63], v[18:19]
	v_fmac_f64_e32 v[46:47], v[68:69], v[18:19]
	v_fma_f64 v[56:57], -v[68:69], v[20:21], v[56:57]
	v_fmac_f64_e32 v[46:47], v[62:63], v[20:21]
	;; [unrolled: 6-line block ×3, first 2 shown]
	v_cvt_f64_f32_e32 v[34:35], v36
	v_cvt_f64_f32_e32 v[36:37], v37
	v_fmac_f64_e32 v[46:47], v[36:37], v[10:11]
	v_fmac_f64_e32 v[56:57], v[34:35], v[10:11]
	;; [unrolled: 1-line block ×3, first 2 shown]
	v_cvt_f64_f32_e32 v[34:35], v30
	v_cvt_f64_f32_e32 v[30:31], v31
	v_fmac_f64_e32 v[54:55], v[34:35], v[22:23]
	v_fmac_f64_e32 v[0:1], v[30:31], v[22:23]
	v_fma_f64 v[72:73], -v[36:37], v[12:13], v[56:57]
	v_fma_f64 v[36:37], -v[30:31], v[24:25], v[54:55]
	v_fmac_f64_e32 v[0:1], v[34:35], v[24:25]
	v_cvt_f64_f32_e32 v[22:23], v32
	v_cvt_f64_f32_e32 v[24:25], v33
	v_fmac_f64_e32 v[36:37], v[22:23], v[18:19]
	v_fmac_f64_e32 v[0:1], v[24:25], v[18:19]
	v_fma_f64 v[30:31], -v[24:25], v[20:21], v[36:37]
	v_fmac_f64_e32 v[0:1], v[22:23], v[20:21]
	v_cvt_f64_f32_e32 v[18:19], v26
	v_cvt_f64_f32_e32 v[20:21], v27
	v_fmac_f64_e32 v[30:31], v[18:19], v[14:15]
	v_fmac_f64_e32 v[0:1], v[20:21], v[14:15]
	;; [unrolled: 6-line block ×3, first 2 shown]
	global_load_dword v10, v[58:59], off offset:32
	v_fma_f64 v[74:75], -v[16:17], v[12:13], v[22:23]
	v_fmac_f64_e32 v[0:1], v[14:15], v[12:13]
	s_waitcnt vmcnt(0)
	v_subrev_u32_e32 v10, s12, v10
	v_lshlrev_b32_e32 v26, 2, v10
	v_ashrrev_i32_e32 v27, 31, v26
	global_load_dwordx4 v[10:13], v[52:53], off offset:1072
	global_load_dwordx4 v[14:17], v[52:53], off offset:1056
	;; [unrolled: 1-line block ×4, first 2 shown]
	v_lshl_add_u64 v[56:57], v[26:27], 4, s[4:5]
	global_load_dwordx4 v[26:29], v[56:57], off offset:48
	global_load_dwordx4 v[30:33], v[56:57], off offset:32
	global_load_dwordx4 v[34:37], v[56:57], off offset:16
	global_load_dwordx4 v[68:71], v[56:57], off
	s_waitcnt vmcnt(4)
	v_cvt_f64_f32_e32 v[54:55], v22
	v_cvt_f64_f32_e32 v[22:23], v23
	s_waitcnt vmcnt(0)
	v_fmac_f64_e32 v[60:61], v[54:55], v[68:69]
	v_fmac_f64_e32 v[44:45], v[22:23], v[68:69]
	v_fma_f64 v[56:57], -v[22:23], v[70:71], v[60:61]
	v_fmac_f64_e32 v[44:45], v[54:55], v[70:71]
	v_cvt_f64_f32_e32 v[22:23], v24
	v_cvt_f64_f32_e32 v[24:25], v25
	v_fmac_f64_e32 v[56:57], v[22:23], v[34:35]
	v_fmac_f64_e32 v[44:45], v[24:25], v[34:35]
	v_fma_f64 v[54:55], -v[24:25], v[36:37], v[56:57]
	v_fmac_f64_e32 v[44:45], v[22:23], v[36:37]
	v_cvt_f64_f32_e32 v[22:23], v18
	v_cvt_f64_f32_e32 v[18:19], v19
	v_fmac_f64_e32 v[54:55], v[22:23], v[30:31]
	v_fmac_f64_e32 v[44:45], v[18:19], v[30:31]
	v_fma_f64 v[24:25], -v[18:19], v[32:33], v[54:55]
	v_fmac_f64_e32 v[44:45], v[22:23], v[32:33]
	v_cvt_f64_f32_e32 v[18:19], v20
	v_cvt_f64_f32_e32 v[20:21], v21
	v_fmac_f64_e32 v[44:45], v[20:21], v[26:27]
	v_fmac_f64_e32 v[24:25], v[18:19], v[26:27]
	;; [unrolled: 1-line block ×3, first 2 shown]
	v_cvt_f64_f32_e32 v[18:19], v14
	v_cvt_f64_f32_e32 v[14:15], v15
	v_fmac_f64_e32 v[64:65], v[18:19], v[68:69]
	v_fmac_f64_e32 v[48:49], v[14:15], v[68:69]
	v_fma_f64 v[62:63], -v[20:21], v[28:29], v[24:25]
	v_fma_f64 v[20:21], -v[14:15], v[70:71], v[64:65]
	v_fmac_f64_e32 v[48:49], v[18:19], v[70:71]
	v_cvt_f64_f32_e32 v[14:15], v16
	v_cvt_f64_f32_e32 v[16:17], v17
	v_fmac_f64_e32 v[20:21], v[14:15], v[34:35]
	v_fmac_f64_e32 v[48:49], v[16:17], v[34:35]
	v_fma_f64 v[18:19], -v[16:17], v[36:37], v[20:21]
	v_fmac_f64_e32 v[48:49], v[14:15], v[36:37]
	v_cvt_f64_f32_e32 v[14:15], v10
	v_cvt_f64_f32_e32 v[10:11], v11
	v_fmac_f64_e32 v[18:19], v[14:15], v[30:31]
	v_fmac_f64_e32 v[48:49], v[10:11], v[30:31]
	;; [unrolled: 6-line block ×3, first 2 shown]
	v_fma_f64 v[56:57], -v[12:13], v[28:29], v[16:17]
	v_fmac_f64_e32 v[48:49], v[10:11], v[28:29]
	global_load_dwordx4 v[10:13], v[52:53], off offset:1136
	global_load_dwordx4 v[14:17], v[52:53], off offset:1120
	;; [unrolled: 1-line block ×4, first 2 shown]
	s_waitcnt vmcnt(0)
	v_cvt_f64_f32_e32 v[54:55], v22
	v_cvt_f64_f32_e32 v[22:23], v23
	v_fmac_f64_e32 v[72:73], v[54:55], v[68:69]
	v_fmac_f64_e32 v[46:47], v[22:23], v[68:69]
	v_fma_f64 v[60:61], -v[22:23], v[70:71], v[72:73]
	v_fmac_f64_e32 v[46:47], v[54:55], v[70:71]
	v_cvt_f64_f32_e32 v[22:23], v24
	v_cvt_f64_f32_e32 v[24:25], v25
	v_fmac_f64_e32 v[60:61], v[22:23], v[34:35]
	v_fmac_f64_e32 v[46:47], v[24:25], v[34:35]
	v_fma_f64 v[54:55], -v[24:25], v[36:37], v[60:61]
	v_fmac_f64_e32 v[46:47], v[22:23], v[36:37]
	;; [unrolled: 6-line block ×3, first 2 shown]
	v_cvt_f64_f32_e32 v[18:19], v20
	v_cvt_f64_f32_e32 v[20:21], v21
	v_fmac_f64_e32 v[46:47], v[20:21], v[26:27]
	v_fmac_f64_e32 v[24:25], v[18:19], v[26:27]
	;; [unrolled: 1-line block ×3, first 2 shown]
	v_cvt_f64_f32_e32 v[18:19], v14
	v_cvt_f64_f32_e32 v[14:15], v15
	v_fmac_f64_e32 v[74:75], v[18:19], v[68:69]
	v_fmac_f64_e32 v[0:1], v[14:15], v[68:69]
	v_fma_f64 v[54:55], -v[20:21], v[28:29], v[24:25]
	v_fma_f64 v[20:21], -v[14:15], v[70:71], v[74:75]
	v_fmac_f64_e32 v[0:1], v[18:19], v[70:71]
	v_cvt_f64_f32_e32 v[14:15], v16
	v_cvt_f64_f32_e32 v[16:17], v17
	v_fmac_f64_e32 v[20:21], v[14:15], v[34:35]
	v_fmac_f64_e32 v[0:1], v[16:17], v[34:35]
	v_fma_f64 v[18:19], -v[16:17], v[36:37], v[20:21]
	v_fmac_f64_e32 v[0:1], v[14:15], v[36:37]
	v_cvt_f64_f32_e32 v[14:15], v10
	v_cvt_f64_f32_e32 v[10:11], v11
	v_fmac_f64_e32 v[18:19], v[14:15], v[30:31]
	v_fmac_f64_e32 v[0:1], v[10:11], v[30:31]
	;; [unrolled: 6-line block ×3, first 2 shown]
	v_fmac_f64_e32 v[0:1], v[10:11], v[28:29]
	global_load_dword v10, v[58:59], off offset:48
	v_fma_f64 v[60:61], -v[12:13], v[28:29], v[16:17]
	s_waitcnt vmcnt(0)
	v_subrev_u32_e32 v10, s12, v10
	v_lshlrev_b32_e32 v22, 2, v10
	global_load_dwordx4 v[10:13], v[52:53], off offset:1584
	global_load_dwordx4 v[14:17], v[52:53], off offset:1568
	;; [unrolled: 1-line block ×4, first 2 shown]
	v_ashrrev_i32_e32 v23, 31, v22
	s_waitcnt vmcnt(0)
	v_cvt_f64_f32_e32 v[58:59], v68
	v_cvt_f64_f32_e32 v[64:65], v69
	v_lshl_add_u64 v[68:69], v[22:23], 4, s[4:5]
	global_load_dwordx4 v[22:25], v[68:69], off offset:48
	global_load_dwordx4 v[26:29], v[68:69], off offset:32
	;; [unrolled: 1-line block ×3, first 2 shown]
	global_load_dwordx4 v[34:37], v[68:69], off
	s_waitcnt vmcnt(0)
	v_fmac_f64_e32 v[62:63], v[58:59], v[34:35]
	v_fmac_f64_e32 v[44:45], v[64:65], v[34:35]
	v_fma_f64 v[62:63], -v[64:65], v[36:37], v[62:63]
	v_fmac_f64_e32 v[44:45], v[58:59], v[36:37]
	v_cvt_f64_f32_e32 v[58:59], v70
	v_cvt_f64_f32_e32 v[64:65], v71
	v_fmac_f64_e32 v[62:63], v[58:59], v[30:31]
	v_fmac_f64_e32 v[44:45], v[64:65], v[30:31]
	v_fma_f64 v[62:63], -v[64:65], v[32:33], v[62:63]
	v_fmac_f64_e32 v[44:45], v[58:59], v[32:33]
	v_cvt_f64_f32_e32 v[58:59], v18
	v_cvt_f64_f32_e32 v[18:19], v19
	;; [unrolled: 6-line block ×3, first 2 shown]
	v_fmac_f64_e32 v[62:63], v[58:59], v[22:23]
	v_fma_f64 v[18:19], -v[20:21], v[24:25], v[62:63]
	v_fmac_f64_e32 v[44:45], v[20:21], v[22:23]
	v_cvt_f64_f32_e32 v[20:21], v14
	v_cvt_f64_f32_e32 v[14:15], v15
	v_fmac_f64_e32 v[56:57], v[20:21], v[34:35]
	v_fmac_f64_e32 v[48:49], v[14:15], v[34:35]
	v_fma_f64 v[56:57], -v[14:15], v[36:37], v[56:57]
	v_fmac_f64_e32 v[48:49], v[20:21], v[36:37]
	v_cvt_f64_f32_e32 v[14:15], v16
	v_cvt_f64_f32_e32 v[16:17], v17
	v_fmac_f64_e32 v[56:57], v[14:15], v[30:31]
	;; [unrolled: 6-line block ×4, first 2 shown]
	v_fmac_f64_e32 v[48:49], v[12:13], v[22:23]
	v_fma_f64 v[56:57], -v[12:13], v[24:25], v[16:17]
	v_fmac_f64_e32 v[48:49], v[10:11], v[24:25]
	global_load_dwordx4 v[10:13], v[52:53], off offset:1648
	global_load_dwordx4 v[14:17], v[52:53], off offset:1632
	;; [unrolled: 1-line block ×4, first 2 shown]
	v_fmac_f64_e32 v[44:45], v[58:59], v[24:25]
	v_lshl_add_u64 v[52:53], v[52:53], 0, s[16:17]
	s_waitcnt vmcnt(0)
	v_cvt_f64_f32_e32 v[20:21], v68
	v_cvt_f64_f32_e32 v[58:59], v69
	v_fmac_f64_e32 v[54:55], v[20:21], v[34:35]
	v_fmac_f64_e32 v[46:47], v[58:59], v[34:35]
	v_fma_f64 v[54:55], -v[58:59], v[36:37], v[54:55]
	v_fmac_f64_e32 v[46:47], v[20:21], v[36:37]
	v_cvt_f64_f32_e32 v[20:21], v70
	v_cvt_f64_f32_e32 v[58:59], v71
	v_fmac_f64_e32 v[54:55], v[20:21], v[30:31]
	v_fmac_f64_e32 v[46:47], v[58:59], v[30:31]
	v_fma_f64 v[54:55], -v[58:59], v[32:33], v[54:55]
	v_fmac_f64_e32 v[46:47], v[20:21], v[32:33]
	v_cvt_f64_f32_e32 v[20:21], v62
	v_cvt_f64_f32_e32 v[58:59], v63
	v_fmac_f64_e32 v[54:55], v[20:21], v[26:27]
	v_fmac_f64_e32 v[46:47], v[58:59], v[26:27]
	v_fma_f64 v[54:55], -v[58:59], v[28:29], v[54:55]
	v_fmac_f64_e32 v[46:47], v[20:21], v[28:29]
	v_cvt_f64_f32_e32 v[58:59], v65
	v_cvt_f64_f32_e32 v[20:21], v64
	v_fmac_f64_e32 v[46:47], v[58:59], v[22:23]
	v_fmac_f64_e32 v[54:55], v[20:21], v[22:23]
	;; [unrolled: 1-line block ×3, first 2 shown]
	v_cvt_f64_f32_e32 v[20:21], v14
	v_cvt_f64_f32_e32 v[14:15], v15
	v_fmac_f64_e32 v[60:61], v[20:21], v[34:35]
	v_fmac_f64_e32 v[0:1], v[14:15], v[34:35]
	v_fma_f64 v[54:55], -v[58:59], v[24:25], v[54:55]
	v_fma_f64 v[58:59], -v[14:15], v[36:37], v[60:61]
	v_fmac_f64_e32 v[0:1], v[20:21], v[36:37]
	v_cvt_f64_f32_e32 v[14:15], v16
	v_cvt_f64_f32_e32 v[16:17], v17
	v_fmac_f64_e32 v[58:59], v[14:15], v[30:31]
	v_fmac_f64_e32 v[0:1], v[16:17], v[30:31]
	v_fma_f64 v[20:21], -v[16:17], v[32:33], v[58:59]
	v_fmac_f64_e32 v[0:1], v[14:15], v[32:33]
	v_cvt_f64_f32_e32 v[14:15], v10
	v_cvt_f64_f32_e32 v[10:11], v11
	v_fmac_f64_e32 v[20:21], v[14:15], v[26:27]
	v_fmac_f64_e32 v[0:1], v[10:11], v[26:27]
	;; [unrolled: 6-line block ×3, first 2 shown]
	v_fma_f64 v[20:21], -v[12:13], v[24:25], v[16:17]
	v_fmac_f64_e32 v[0:1], v[10:11], v[24:25]
	s_andn2_b64 exec, exec, s[14:15]
	s_cbranch_execnz .LBB165_19
; %bb.20:
	s_or_b64 exec, exec, s[14:15]
.LBB165_21:
	s_or_b64 exec, exec, s[10:11]
.LBB165_22:
	s_or_b64 exec, exec, s[6:7]
	s_cbranch_execz .LBB165_24
	s_branch .LBB165_35
.LBB165_23:
                                        ; implicit-def: $vgpr44_vgpr45
                                        ; implicit-def: $vgpr18_vgpr19
                                        ; implicit-def: $vgpr48_vgpr49
                                        ; implicit-def: $vgpr56_vgpr57
                                        ; implicit-def: $vgpr46_vgpr47
                                        ; implicit-def: $vgpr54_vgpr55
                                        ; implicit-def: $vgpr0_vgpr1
                                        ; implicit-def: $vgpr20_vgpr21
.LBB165_24:
	v_mov_b64_e32 v[44:45], 0
	v_mov_b64_e32 v[18:19], 0
	;; [unrolled: 1-line block ×8, first 2 shown]
	s_and_saveexec_b64 s[6:7], s[2:3]
	s_cbranch_execz .LBB165_34
; %bb.25:
	v_add_u32_e32 v0, v67, v39
	v_subrev_u32_e32 v0, s12, v0
	v_add_u32_e32 v0, 4, v0
	v_max_i32_e32 v0, v0, v66
	v_not_b32_e32 v1, v67
	v_add3_u32 v0, s12, v0, v1
	v_sub_u32_e32 v14, v0, v39
	v_and_b32_e32 v0, 12, v14
	v_cmp_ne_u32_e32 vcc, 12, v0
	v_mov_b64_e32 v[20:21], 0
	v_mov_b64_e32 v[0:1], 0
	;; [unrolled: 1-line block ×8, first 2 shown]
	s_and_saveexec_b64 s[2:3], vcc
	s_cbranch_execz .LBB165_29
; %bb.26:
	v_lshrrev_b32_e32 v0, 2, v14
	v_add_u32_e32 v0, 1, v0
	v_and_b32_e32 v0, 3, v0
	v_sub_u32_e32 v15, 0, v0
	v_mov_b64_e32 v[44:45], 0
	s_mov_b64 s[10:11], 0
	s_mov_b64 s[14:15], 0x200
	v_mov_b64_e32 v[18:19], 0
	v_mov_b64_e32 v[48:49], 0
	;; [unrolled: 1-line block ×7, first 2 shown]
.LBB165_27:                             ; =>This Inner Loop Header: Depth=1
	global_load_dwordx4 v[22:25], v[42:43], off
	global_load_dwordx4 v[26:29], v[42:43], off offset:16
	global_load_dwordx4 v[30:33], v[42:43], off offset:32
	;; [unrolled: 1-line block ×4, first 2 shown]
	v_ashrrev_i32_e32 v41, 31, v40
	v_lshl_add_u64 v[16:17], v[40:41], 2, s[8:9]
	global_load_dword v41, v[16:17], off
	global_load_dwordx4 v[50:53], v[42:43], off offset:80
	global_load_dwordx4 v[58:61], v[42:43], off offset:96
	;; [unrolled: 1-line block ×3, first 2 shown]
	v_add_co_u32_e32 v15, vcc, 1, v15
	v_lshl_add_u64 v[42:43], v[42:43], 0, s[14:15]
	v_add_u32_e32 v40, 4, v40
	s_or_b64 s[10:11], vcc, s[10:11]
	s_waitcnt vmcnt(8)
	v_cvt_f64_f32_e32 v[16:17], v22
	v_cvt_f64_f32_e32 v[72:73], v23
	;; [unrolled: 1-line block ×3, first 2 shown]
	s_waitcnt vmcnt(5)
	v_cvt_f64_f32_e32 v[96:97], v12
	s_waitcnt vmcnt(3)
	v_subrev_u32_e32 v12, s12, v41
	v_lshlrev_b32_e32 v22, 2, v12
	v_ashrrev_i32_e32 v23, 31, v22
	s_waitcnt lgkmcnt(0)
	v_lshl_add_u64 v[98:99], v[22:23], 4, s[4:5]
	v_cvt_f64_f32_e32 v[76:77], v25
	v_cvt_f64_f32_e32 v[78:79], v26
	;; [unrolled: 1-line block ×9, first 2 shown]
	global_load_dwordx4 v[22:25], v[98:99], off
	global_load_dwordx4 v[26:29], v[98:99], off offset:16
	global_load_dwordx4 v[30:33], v[98:99], off offset:32
	;; [unrolled: 1-line block ×3, first 2 shown]
	v_cvt_f64_f32_e32 v[94:95], v10
	v_cvt_f64_f32_e32 v[10:11], v11
	;; [unrolled: 1-line block ×7, first 2 shown]
	s_waitcnt vmcnt(6)
	v_cvt_f64_f32_e32 v[102:103], v50
	v_cvt_f64_f32_e32 v[50:51], v51
	v_cvt_f64_f32_e32 v[104:105], v52
	v_cvt_f64_f32_e32 v[52:53], v53
	s_waitcnt vmcnt(5)
	v_cvt_f64_f32_e32 v[106:107], v58
	v_cvt_f64_f32_e32 v[58:59], v59
	v_cvt_f64_f32_e32 v[108:109], v60
	v_cvt_f64_f32_e32 v[60:61], v61
	;; [unrolled: 5-line block ×3, first 2 shown]
	s_waitcnt vmcnt(3)
	v_fmac_f64_e32 v[18:19], v[16:17], v[22:23]
	v_fmac_f64_e32 v[44:45], v[72:73], v[22:23]
	v_fmac_f64_e32 v[56:57], v[74:75], v[22:23]
	v_fmac_f64_e32 v[48:49], v[76:77], v[22:23]
	v_fmac_f64_e32 v[54:55], v[78:79], v[22:23]
	v_fmac_f64_e32 v[46:47], v[80:81], v[22:23]
	v_fmac_f64_e32 v[20:21], v[82:83], v[22:23]
	v_fmac_f64_e32 v[0:1], v[84:85], v[22:23]
	v_fma_f64 v[18:19], -v[72:73], v[24:25], v[18:19]
	v_fmac_f64_e32 v[44:45], v[16:17], v[24:25]
	v_fma_f64 v[16:17], -v[76:77], v[24:25], v[56:57]
	v_fmac_f64_e32 v[48:49], v[74:75], v[24:25]
	v_fma_f64 v[22:23], -v[80:81], v[24:25], v[54:55]
	v_fmac_f64_e32 v[46:47], v[78:79], v[24:25]
	v_fma_f64 v[20:21], -v[84:85], v[24:25], v[20:21]
	v_fmac_f64_e32 v[0:1], v[82:83], v[24:25]
	s_waitcnt vmcnt(2)
	v_fmac_f64_e32 v[18:19], v[86:87], v[26:27]
	v_fmac_f64_e32 v[44:45], v[88:89], v[26:27]
	v_fmac_f64_e32 v[16:17], v[90:91], v[26:27]
	v_fmac_f64_e32 v[48:49], v[92:93], v[26:27]
	v_fmac_f64_e32 v[22:23], v[94:95], v[26:27]
	v_fmac_f64_e32 v[46:47], v[10:11], v[26:27]
	v_fmac_f64_e32 v[20:21], v[96:97], v[26:27]
	v_fmac_f64_e32 v[0:1], v[12:13], v[26:27]
	v_fma_f64 v[18:19], -v[88:89], v[28:29], v[18:19]
	v_fmac_f64_e32 v[44:45], v[86:87], v[28:29]
	v_fma_f64 v[16:17], -v[92:93], v[28:29], v[16:17]
	v_fmac_f64_e32 v[48:49], v[90:91], v[28:29]
	v_fma_f64 v[10:11], -v[10:11], v[28:29], v[22:23]
	v_fmac_f64_e32 v[46:47], v[94:95], v[28:29]
	v_fma_f64 v[12:13], -v[12:13], v[28:29], v[20:21]
	v_fmac_f64_e32 v[0:1], v[96:97], v[28:29]
	;; [unrolled: 17-line block ×4, first 2 shown]
	s_andn2_b64 exec, exec, s[10:11]
	s_cbranch_execnz .LBB165_27
; %bb.28:
	s_or_b64 exec, exec, s[10:11]
.LBB165_29:
	s_or_b64 exec, exec, s[2:3]
	v_cmp_lt_u32_e32 vcc, 11, v14
	s_and_saveexec_b64 s[2:3], vcc
	s_cbranch_execz .LBB165_33
; %bb.30:
	s_mov_b64 s[10:11], 0
	s_mov_b64 s[14:15], 0x800
.LBB165_31:                             ; =>This Inner Loop Header: Depth=1
	v_ashrrev_i32_e32 v41, 31, v40
	v_lshl_add_u64 v[30:31], v[40:41], 2, s[8:9]
	global_load_dword v10, v[30:31], off
	global_load_dwordx4 v[14:17], v[42:43], off offset:48
	global_load_dwordx4 v[22:25], v[42:43], off offset:32
	;; [unrolled: 1-line block ×3, first 2 shown]
	global_load_dwordx4 v[32:35], v[42:43], off
	v_add_u32_e32 v40, 16, v40
	v_cmp_ge_i32_e32 vcc, v40, v66
	s_or_b64 s[10:11], vcc, s[10:11]
	s_waitcnt vmcnt(4)
	v_subrev_u32_e32 v10, s12, v10
	v_lshlrev_b32_e32 v10, 2, v10
	v_ashrrev_i32_e32 v11, 31, v10
	s_waitcnt lgkmcnt(0)
	v_lshl_add_u64 v[68:69], v[10:11], 4, s[4:5]
	global_load_dwordx4 v[10:13], v[68:69], off offset:48
	global_load_dwordx4 v[50:53], v[68:69], off offset:32
	global_load_dwordx4 v[58:61], v[68:69], off offset:16
	global_load_dwordx4 v[62:65], v[68:69], off
	s_waitcnt vmcnt(4)
	v_cvt_f64_f32_e32 v[36:37], v32
	v_cvt_f64_f32_e32 v[32:33], v33
	s_waitcnt vmcnt(0)
	v_fmac_f64_e32 v[18:19], v[36:37], v[62:63]
	v_fma_f64 v[18:19], -v[32:33], v[64:65], v[18:19]
	v_fmac_f64_e32 v[44:45], v[32:33], v[62:63]
	v_cvt_f64_f32_e32 v[32:33], v34
	v_cvt_f64_f32_e32 v[34:35], v35
	v_fmac_f64_e32 v[48:49], v[34:35], v[62:63]
	v_fmac_f64_e32 v[56:57], v[32:33], v[62:63]
	;; [unrolled: 1-line block ×3, first 2 shown]
	v_cvt_f64_f32_e32 v[32:33], v26
	v_cvt_f64_f32_e32 v[26:27], v27
	v_fmac_f64_e32 v[54:55], v[32:33], v[62:63]
	v_fmac_f64_e32 v[44:45], v[36:37], v[64:65]
	v_fma_f64 v[36:37], -v[34:35], v[64:65], v[56:57]
	v_fma_f64 v[34:35], -v[26:27], v[64:65], v[54:55]
	v_fmac_f64_e32 v[46:47], v[26:27], v[62:63]
	v_cvt_f64_f32_e32 v[26:27], v28
	v_cvt_f64_f32_e32 v[28:29], v29
	v_fmac_f64_e32 v[0:1], v[28:29], v[62:63]
	v_fmac_f64_e32 v[20:21], v[26:27], v[62:63]
	;; [unrolled: 1-line block ×3, first 2 shown]
	v_cvt_f64_f32_e32 v[26:27], v22
	v_cvt_f64_f32_e32 v[22:23], v23
	v_fmac_f64_e32 v[18:19], v[26:27], v[58:59]
	v_fmac_f64_e32 v[46:47], v[32:33], v[64:65]
	v_fma_f64 v[32:33], -v[22:23], v[60:61], v[18:19]
	v_fmac_f64_e32 v[44:45], v[22:23], v[58:59]
	v_cvt_f64_f32_e32 v[22:23], v25
	v_cvt_f64_f32_e32 v[18:19], v24
	v_fmac_f64_e32 v[48:49], v[22:23], v[58:59]
	v_fmac_f64_e32 v[36:37], v[18:19], v[58:59]
	;; [unrolled: 1-line block ×3, first 2 shown]
	v_cvt_f64_f32_e32 v[18:19], v14
	v_cvt_f64_f32_e32 v[14:15], v15
	v_fmac_f64_e32 v[34:35], v[18:19], v[58:59]
	v_fma_f64 v[20:21], -v[28:29], v[64:65], v[20:21]
	v_fma_f64 v[34:35], -v[14:15], v[60:61], v[34:35]
	v_fmac_f64_e32 v[46:47], v[14:15], v[58:59]
	v_cvt_f64_f32_e32 v[14:15], v16
	v_cvt_f64_f32_e32 v[16:17], v17
	v_fmac_f64_e32 v[20:21], v[14:15], v[58:59]
	v_fmac_f64_e32 v[0:1], v[16:17], v[58:59]
	;; [unrolled: 1-line block ×3, first 2 shown]
	v_fma_f64 v[36:37], -v[22:23], v[60:61], v[36:37]
	v_fmac_f64_e32 v[46:47], v[18:19], v[60:61]
	v_fma_f64 v[54:55], -v[16:17], v[60:61], v[20:21]
	v_fmac_f64_e32 v[0:1], v[14:15], v[60:61]
	global_load_dwordx4 v[14:17], v[42:43], off offset:112
	global_load_dwordx4 v[18:21], v[42:43], off offset:96
	;; [unrolled: 1-line block ×4, first 2 shown]
	s_waitcnt vmcnt(0)
	v_cvt_f64_f32_e32 v[56:57], v26
	v_cvt_f64_f32_e32 v[26:27], v27
	v_fmac_f64_e32 v[32:33], v[56:57], v[50:51]
	v_fma_f64 v[32:33], -v[26:27], v[52:53], v[32:33]
	v_fmac_f64_e32 v[44:45], v[26:27], v[50:51]
	v_cvt_f64_f32_e32 v[26:27], v28
	v_cvt_f64_f32_e32 v[28:29], v29
	v_fmac_f64_e32 v[48:49], v[28:29], v[50:51]
	v_fmac_f64_e32 v[36:37], v[26:27], v[50:51]
	v_fmac_f64_e32 v[48:49], v[26:27], v[52:53]
	v_cvt_f64_f32_e32 v[26:27], v22
	v_cvt_f64_f32_e32 v[22:23], v23
	v_fmac_f64_e32 v[34:35], v[26:27], v[50:51]
	v_fma_f64 v[36:37], -v[28:29], v[52:53], v[36:37]
	v_fma_f64 v[28:29], -v[22:23], v[52:53], v[34:35]
	v_fmac_f64_e32 v[46:47], v[22:23], v[50:51]
	v_cvt_f64_f32_e32 v[22:23], v24
	v_cvt_f64_f32_e32 v[24:25], v25
	v_fmac_f64_e32 v[0:1], v[24:25], v[50:51]
	v_fmac_f64_e32 v[54:55], v[22:23], v[50:51]
	;; [unrolled: 1-line block ×3, first 2 shown]
	v_cvt_f64_f32_e32 v[22:23], v18
	v_fmac_f64_e32 v[44:45], v[56:57], v[52:53]
	v_cvt_f64_f32_e32 v[18:19], v19
	v_fmac_f64_e32 v[32:33], v[22:23], v[10:11]
	v_fma_f64 v[50:51], -v[18:19], v[12:13], v[32:33]
	v_fmac_f64_e32 v[44:45], v[18:19], v[10:11]
	v_cvt_f64_f32_e32 v[18:19], v20
	v_cvt_f64_f32_e32 v[20:21], v21
	v_fmac_f64_e32 v[48:49], v[20:21], v[10:11]
	v_fmac_f64_e32 v[36:37], v[18:19], v[10:11]
	;; [unrolled: 1-line block ×3, first 2 shown]
	v_cvt_f64_f32_e32 v[18:19], v14
	v_fmac_f64_e32 v[46:47], v[26:27], v[52:53]
	v_cvt_f64_f32_e32 v[14:15], v15
	v_fmac_f64_e32 v[28:29], v[18:19], v[10:11]
	v_fma_f64 v[26:27], -v[24:25], v[52:53], v[54:55]
	v_fma_f64 v[60:61], -v[14:15], v[12:13], v[28:29]
	v_fmac_f64_e32 v[46:47], v[14:15], v[10:11]
	v_cvt_f64_f32_e32 v[14:15], v16
	v_cvt_f64_f32_e32 v[16:17], v17
	v_fmac_f64_e32 v[26:27], v[14:15], v[10:11]
	v_fmac_f64_e32 v[0:1], v[16:17], v[10:11]
	global_load_dword v10, v[30:31], off offset:16
	v_fmac_f64_e32 v[44:45], v[22:23], v[12:13]
	v_fma_f64 v[36:37], -v[20:21], v[12:13], v[36:37]
	v_fmac_f64_e32 v[46:47], v[18:19], v[12:13]
	v_fma_f64 v[62:63], -v[16:17], v[12:13], v[26:27]
	global_load_dwordx4 v[18:21], v[42:43], off offset:560
	global_load_dwordx4 v[22:25], v[42:43], off offset:544
	;; [unrolled: 1-line block ×4, first 2 shown]
	v_fmac_f64_e32 v[0:1], v[14:15], v[12:13]
	s_waitcnt vmcnt(4)
	v_subrev_u32_e32 v10, s12, v10
	v_lshlrev_b32_e32 v10, 2, v10
	v_ashrrev_i32_e32 v11, 31, v10
	v_lshl_add_u64 v[68:69], v[10:11], 4, s[4:5]
	global_load_dwordx4 v[10:13], v[68:69], off offset:48
	global_load_dwordx4 v[14:17], v[68:69], off offset:32
	;; [unrolled: 1-line block ×3, first 2 shown]
	global_load_dwordx4 v[56:59], v[68:69], off
	s_waitcnt vmcnt(4)
	v_cvt_f64_f32_e32 v[64:65], v32
	v_cvt_f64_f32_e32 v[32:33], v33
	s_waitcnt vmcnt(0)
	v_fmac_f64_e32 v[50:51], v[64:65], v[56:57]
	v_fma_f64 v[50:51], -v[32:33], v[58:59], v[50:51]
	v_fmac_f64_e32 v[44:45], v[32:33], v[56:57]
	v_cvt_f64_f32_e32 v[32:33], v34
	v_cvt_f64_f32_e32 v[34:35], v35
	v_fmac_f64_e32 v[48:49], v[34:35], v[56:57]
	v_fmac_f64_e32 v[36:37], v[32:33], v[56:57]
	;; [unrolled: 1-line block ×3, first 2 shown]
	v_cvt_f64_f32_e32 v[32:33], v26
	v_cvt_f64_f32_e32 v[26:27], v27
	v_fmac_f64_e32 v[60:61], v[32:33], v[56:57]
	v_fma_f64 v[36:37], -v[34:35], v[58:59], v[36:37]
	v_fma_f64 v[34:35], -v[26:27], v[58:59], v[60:61]
	v_fmac_f64_e32 v[46:47], v[26:27], v[56:57]
	v_cvt_f64_f32_e32 v[26:27], v28
	v_cvt_f64_f32_e32 v[28:29], v29
	v_fmac_f64_e32 v[0:1], v[28:29], v[56:57]
	v_fmac_f64_e32 v[62:63], v[26:27], v[56:57]
	;; [unrolled: 1-line block ×3, first 2 shown]
	v_cvt_f64_f32_e32 v[26:27], v22
	v_fmac_f64_e32 v[44:45], v[64:65], v[58:59]
	v_cvt_f64_f32_e32 v[22:23], v23
	v_fmac_f64_e32 v[50:51], v[26:27], v[52:53]
	v_fma_f64 v[50:51], -v[22:23], v[54:55], v[50:51]
	v_fmac_f64_e32 v[44:45], v[22:23], v[52:53]
	v_cvt_f64_f32_e32 v[22:23], v24
	v_cvt_f64_f32_e32 v[24:25], v25
	v_fmac_f64_e32 v[48:49], v[24:25], v[52:53]
	v_fmac_f64_e32 v[36:37], v[22:23], v[52:53]
	;; [unrolled: 1-line block ×3, first 2 shown]
	v_cvt_f64_f32_e32 v[22:23], v18
	v_fmac_f64_e32 v[46:47], v[32:33], v[58:59]
	v_cvt_f64_f32_e32 v[18:19], v19
	v_fmac_f64_e32 v[34:35], v[22:23], v[52:53]
	v_fma_f64 v[60:61], -v[28:29], v[58:59], v[62:63]
	v_fma_f64 v[34:35], -v[18:19], v[54:55], v[34:35]
	v_fmac_f64_e32 v[46:47], v[18:19], v[52:53]
	v_cvt_f64_f32_e32 v[18:19], v20
	v_cvt_f64_f32_e32 v[20:21], v21
	v_fmac_f64_e32 v[60:61], v[18:19], v[52:53]
	v_fmac_f64_e32 v[0:1], v[20:21], v[52:53]
	v_fmac_f64_e32 v[44:45], v[26:27], v[54:55]
	v_fma_f64 v[32:33], -v[24:25], v[54:55], v[36:37]
	v_fmac_f64_e32 v[46:47], v[22:23], v[54:55]
	v_fma_f64 v[36:37], -v[20:21], v[54:55], v[60:61]
	v_fmac_f64_e32 v[0:1], v[18:19], v[54:55]
	global_load_dwordx4 v[18:21], v[42:43], off offset:624
	global_load_dwordx4 v[22:25], v[42:43], off offset:608
	;; [unrolled: 1-line block ×4, first 2 shown]
	s_waitcnt vmcnt(0)
	v_cvt_f64_f32_e32 v[56:57], v52
	v_cvt_f64_f32_e32 v[52:53], v53
	v_fmac_f64_e32 v[50:51], v[56:57], v[14:15]
	v_fma_f64 v[50:51], -v[52:53], v[16:17], v[50:51]
	v_fmac_f64_e32 v[44:45], v[52:53], v[14:15]
	v_cvt_f64_f32_e32 v[52:53], v54
	v_cvt_f64_f32_e32 v[54:55], v55
	v_fmac_f64_e32 v[48:49], v[54:55], v[14:15]
	v_fmac_f64_e32 v[32:33], v[52:53], v[14:15]
	;; [unrolled: 1-line block ×3, first 2 shown]
	v_cvt_f64_f32_e32 v[52:53], v26
	v_cvt_f64_f32_e32 v[26:27], v27
	v_fmac_f64_e32 v[34:35], v[52:53], v[14:15]
	v_fma_f64 v[34:35], -v[26:27], v[16:17], v[34:35]
	v_fmac_f64_e32 v[46:47], v[26:27], v[14:15]
	v_cvt_f64_f32_e32 v[26:27], v28
	v_cvt_f64_f32_e32 v[28:29], v29
	v_fmac_f64_e32 v[36:37], v[26:27], v[14:15]
	v_fmac_f64_e32 v[0:1], v[28:29], v[14:15]
	;; [unrolled: 1-line block ×3, first 2 shown]
	v_fma_f64 v[32:33], -v[54:55], v[16:17], v[32:33]
	v_fmac_f64_e32 v[46:47], v[52:53], v[16:17]
	v_fma_f64 v[36:37], -v[28:29], v[16:17], v[36:37]
	v_fmac_f64_e32 v[0:1], v[26:27], v[16:17]
	v_cvt_f64_f32_e32 v[14:15], v22
	v_cvt_f64_f32_e32 v[16:17], v23
	v_fmac_f64_e32 v[50:51], v[14:15], v[10:11]
	v_fmac_f64_e32 v[44:45], v[16:17], v[10:11]
	v_fma_f64 v[58:59], -v[16:17], v[12:13], v[50:51]
	v_fmac_f64_e32 v[44:45], v[14:15], v[12:13]
	v_cvt_f64_f32_e32 v[14:15], v24
	v_cvt_f64_f32_e32 v[16:17], v25
	v_fmac_f64_e32 v[32:33], v[14:15], v[10:11]
	;; [unrolled: 6-line block ×4, first 2 shown]
	v_fmac_f64_e32 v[0:1], v[16:17], v[10:11]
	global_load_dword v10, v[30:31], off offset:32
	v_fma_f64 v[36:37], -v[16:17], v[12:13], v[36:37]
	v_fmac_f64_e32 v[0:1], v[14:15], v[12:13]
	s_waitcnt vmcnt(0)
	v_subrev_u32_e32 v10, s12, v10
	v_lshlrev_b32_e32 v26, 2, v10
	v_ashrrev_i32_e32 v27, 31, v26
	global_load_dwordx4 v[10:13], v[42:43], off offset:1072
	global_load_dwordx4 v[14:17], v[42:43], off offset:1056
	;; [unrolled: 1-line block ×4, first 2 shown]
	v_lshl_add_u64 v[68:69], v[26:27], 4, s[4:5]
	global_load_dwordx4 v[26:29], v[68:69], off offset:48
	global_load_dwordx4 v[32:35], v[68:69], off offset:32
	;; [unrolled: 1-line block ×3, first 2 shown]
	global_load_dwordx4 v[54:57], v[68:69], off
	s_waitcnt vmcnt(4)
	v_cvt_f64_f32_e32 v[64:65], v22
	v_cvt_f64_f32_e32 v[22:23], v23
	s_waitcnt vmcnt(0)
	v_fmac_f64_e32 v[58:59], v[64:65], v[54:55]
	v_fma_f64 v[58:59], -v[22:23], v[56:57], v[58:59]
	v_fmac_f64_e32 v[44:45], v[22:23], v[54:55]
	v_cvt_f64_f32_e32 v[22:23], v24
	v_cvt_f64_f32_e32 v[24:25], v25
	v_fmac_f64_e32 v[48:49], v[24:25], v[54:55]
	v_fmac_f64_e32 v[60:61], v[22:23], v[54:55]
	;; [unrolled: 1-line block ×3, first 2 shown]
	v_cvt_f64_f32_e32 v[22:23], v18
	v_cvt_f64_f32_e32 v[18:19], v19
	v_fmac_f64_e32 v[62:63], v[22:23], v[54:55]
	v_fma_f64 v[60:61], -v[24:25], v[56:57], v[60:61]
	v_fma_f64 v[24:25], -v[18:19], v[56:57], v[62:63]
	v_fmac_f64_e32 v[46:47], v[18:19], v[54:55]
	v_cvt_f64_f32_e32 v[18:19], v20
	v_cvt_f64_f32_e32 v[20:21], v21
	v_fmac_f64_e32 v[0:1], v[20:21], v[54:55]
	v_fmac_f64_e32 v[36:37], v[18:19], v[54:55]
	;; [unrolled: 1-line block ×3, first 2 shown]
	v_cvt_f64_f32_e32 v[18:19], v14
	v_fmac_f64_e32 v[44:45], v[64:65], v[56:57]
	v_cvt_f64_f32_e32 v[14:15], v15
	v_fmac_f64_e32 v[58:59], v[18:19], v[50:51]
	v_fmac_f64_e32 v[46:47], v[22:23], v[56:57]
	v_fma_f64 v[22:23], -v[20:21], v[56:57], v[36:37]
	v_fma_f64 v[36:37], -v[14:15], v[52:53], v[58:59]
	v_fmac_f64_e32 v[44:45], v[14:15], v[50:51]
	v_cvt_f64_f32_e32 v[14:15], v16
	v_cvt_f64_f32_e32 v[16:17], v17
	v_fmac_f64_e32 v[48:49], v[16:17], v[50:51]
	v_fmac_f64_e32 v[60:61], v[14:15], v[50:51]
	v_fmac_f64_e32 v[48:49], v[14:15], v[52:53]
	v_cvt_f64_f32_e32 v[14:15], v10
	v_cvt_f64_f32_e32 v[10:11], v11
	v_fmac_f64_e32 v[24:25], v[14:15], v[50:51]
	v_fma_f64 v[56:57], -v[10:11], v[52:53], v[24:25]
	v_fmac_f64_e32 v[46:47], v[10:11], v[50:51]
	v_cvt_f64_f32_e32 v[10:11], v12
	v_cvt_f64_f32_e32 v[12:13], v13
	v_fmac_f64_e32 v[22:23], v[10:11], v[50:51]
	v_fmac_f64_e32 v[0:1], v[12:13], v[50:51]
	;; [unrolled: 1-line block ×3, first 2 shown]
	v_fma_f64 v[54:55], -v[16:17], v[52:53], v[60:61]
	v_fmac_f64_e32 v[46:47], v[14:15], v[52:53]
	v_fma_f64 v[58:59], -v[12:13], v[52:53], v[22:23]
	v_fmac_f64_e32 v[0:1], v[10:11], v[52:53]
	global_load_dwordx4 v[10:13], v[42:43], off offset:1136
	global_load_dwordx4 v[14:17], v[42:43], off offset:1120
	;; [unrolled: 1-line block ×4, first 2 shown]
	s_waitcnt vmcnt(0)
	v_cvt_f64_f32_e32 v[50:51], v22
	v_cvt_f64_f32_e32 v[22:23], v23
	v_fmac_f64_e32 v[36:37], v[50:51], v[32:33]
	v_fma_f64 v[36:37], -v[22:23], v[34:35], v[36:37]
	v_fmac_f64_e32 v[44:45], v[22:23], v[32:33]
	v_cvt_f64_f32_e32 v[22:23], v24
	v_cvt_f64_f32_e32 v[24:25], v25
	v_fmac_f64_e32 v[48:49], v[24:25], v[32:33]
	v_fmac_f64_e32 v[54:55], v[22:23], v[32:33]
	;; [unrolled: 1-line block ×3, first 2 shown]
	v_cvt_f64_f32_e32 v[22:23], v18
	v_cvt_f64_f32_e32 v[18:19], v19
	v_fmac_f64_e32 v[56:57], v[22:23], v[32:33]
	v_fma_f64 v[52:53], -v[24:25], v[34:35], v[54:55]
	v_fma_f64 v[24:25], -v[18:19], v[34:35], v[56:57]
	v_fmac_f64_e32 v[46:47], v[18:19], v[32:33]
	v_cvt_f64_f32_e32 v[18:19], v20
	v_cvt_f64_f32_e32 v[20:21], v21
	v_fmac_f64_e32 v[0:1], v[20:21], v[32:33]
	v_fmac_f64_e32 v[58:59], v[18:19], v[32:33]
	;; [unrolled: 1-line block ×3, first 2 shown]
	v_cvt_f64_f32_e32 v[18:19], v14
	v_fmac_f64_e32 v[44:45], v[50:51], v[34:35]
	v_cvt_f64_f32_e32 v[14:15], v15
	v_fmac_f64_e32 v[36:37], v[18:19], v[26:27]
	v_fma_f64 v[50:51], -v[14:15], v[28:29], v[36:37]
	v_fmac_f64_e32 v[44:45], v[14:15], v[26:27]
	v_cvt_f64_f32_e32 v[14:15], v16
	v_cvt_f64_f32_e32 v[16:17], v17
	v_fmac_f64_e32 v[48:49], v[16:17], v[26:27]
	v_fmac_f64_e32 v[52:53], v[14:15], v[26:27]
	;; [unrolled: 1-line block ×3, first 2 shown]
	v_cvt_f64_f32_e32 v[14:15], v10
	v_fmac_f64_e32 v[46:47], v[22:23], v[34:35]
	v_cvt_f64_f32_e32 v[10:11], v11
	v_fmac_f64_e32 v[24:25], v[14:15], v[26:27]
	v_fma_f64 v[22:23], -v[20:21], v[34:35], v[58:59]
	v_fma_f64 v[34:35], -v[10:11], v[28:29], v[24:25]
	v_fmac_f64_e32 v[46:47], v[10:11], v[26:27]
	v_cvt_f64_f32_e32 v[10:11], v12
	v_cvt_f64_f32_e32 v[12:13], v13
	v_fmac_f64_e32 v[0:1], v[12:13], v[26:27]
	v_fmac_f64_e32 v[22:23], v[10:11], v[26:27]
	;; [unrolled: 1-line block ×3, first 2 shown]
	global_load_dword v10, v[30:31], off offset:48
	v_fmac_f64_e32 v[44:45], v[18:19], v[28:29]
	v_fma_f64 v[36:37], -v[16:17], v[28:29], v[52:53]
	v_fmac_f64_e32 v[46:47], v[14:15], v[28:29]
	v_fma_f64 v[32:33], -v[12:13], v[28:29], v[22:23]
	s_waitcnt vmcnt(0)
	v_subrev_u32_e32 v10, s12, v10
	v_lshlrev_b32_e32 v22, 2, v10
	global_load_dwordx4 v[10:13], v[42:43], off offset:1584
	global_load_dwordx4 v[14:17], v[42:43], off offset:1568
	;; [unrolled: 1-line block ×4, first 2 shown]
	v_ashrrev_i32_e32 v23, 31, v22
	v_lshl_add_u64 v[64:65], v[22:23], 4, s[4:5]
	s_waitcnt vmcnt(0)
	v_cvt_f64_f32_e32 v[60:61], v28
	v_cvt_f64_f32_e32 v[62:63], v29
	global_load_dwordx4 v[22:25], v[64:65], off offset:48
	global_load_dwordx4 v[26:29], v[64:65], off offset:32
	;; [unrolled: 1-line block ×3, first 2 shown]
	global_load_dwordx4 v[56:59], v[64:65], off
	s_waitcnt vmcnt(0)
	v_fmac_f64_e32 v[44:45], v[62:63], v[56:57]
	v_fmac_f64_e32 v[50:51], v[60:61], v[56:57]
	;; [unrolled: 1-line block ×3, first 2 shown]
	v_cvt_f64_f32_e32 v[60:61], v30
	v_cvt_f64_f32_e32 v[30:31], v31
	v_fmac_f64_e32 v[36:37], v[60:61], v[56:57]
	v_fma_f64 v[36:37], -v[30:31], v[58:59], v[36:37]
	v_fmac_f64_e32 v[48:49], v[30:31], v[56:57]
	v_cvt_f64_f32_e32 v[30:31], v18
	v_cvt_f64_f32_e32 v[18:19], v19
	v_fmac_f64_e32 v[34:35], v[30:31], v[56:57]
	v_fma_f64 v[34:35], -v[18:19], v[58:59], v[34:35]
	v_fmac_f64_e32 v[46:47], v[18:19], v[56:57]
	;; [unrolled: 5-line block ×3, first 2 shown]
	v_fmac_f64_e32 v[0:1], v[18:19], v[58:59]
	v_cvt_f64_f32_e32 v[18:19], v14
	v_cvt_f64_f32_e32 v[14:15], v15
	v_fmac_f64_e32 v[50:51], v[18:19], v[52:53]
	v_fmac_f64_e32 v[48:49], v[60:61], v[58:59]
	v_fma_f64 v[50:51], -v[14:15], v[54:55], v[50:51]
	v_fmac_f64_e32 v[44:45], v[14:15], v[52:53]
	v_cvt_f64_f32_e32 v[14:15], v16
	v_cvt_f64_f32_e32 v[16:17], v17
	v_fmac_f64_e32 v[48:49], v[16:17], v[52:53]
	v_fmac_f64_e32 v[36:37], v[14:15], v[52:53]
	v_fmac_f64_e32 v[48:49], v[14:15], v[54:55]
	v_cvt_f64_f32_e32 v[14:15], v10
	v_fmac_f64_e32 v[46:47], v[30:31], v[58:59]
	v_cvt_f64_f32_e32 v[10:11], v11
	v_fmac_f64_e32 v[34:35], v[14:15], v[52:53]
	v_fma_f64 v[30:31], -v[20:21], v[58:59], v[32:33]
	v_fma_f64 v[34:35], -v[10:11], v[54:55], v[34:35]
	v_fmac_f64_e32 v[46:47], v[10:11], v[52:53]
	v_cvt_f64_f32_e32 v[10:11], v12
	v_cvt_f64_f32_e32 v[12:13], v13
	v_fmac_f64_e32 v[30:31], v[10:11], v[52:53]
	v_fmac_f64_e32 v[0:1], v[12:13], v[52:53]
	;; [unrolled: 1-line block ×3, first 2 shown]
	v_fma_f64 v[36:37], -v[16:17], v[54:55], v[36:37]
	v_fmac_f64_e32 v[46:47], v[14:15], v[54:55]
	v_fma_f64 v[56:57], -v[12:13], v[54:55], v[30:31]
	v_fmac_f64_e32 v[0:1], v[10:11], v[54:55]
	global_load_dwordx4 v[10:13], v[42:43], off offset:1648
	global_load_dwordx4 v[14:17], v[42:43], off offset:1632
	global_load_dwordx4 v[18:21], v[42:43], off offset:1616
	global_load_dwordx4 v[30:33], v[42:43], off offset:1600
	v_lshl_add_u64 v[42:43], v[42:43], 0, s[14:15]
	s_waitcnt vmcnt(0)
	v_cvt_f64_f32_e32 v[52:53], v30
	v_cvt_f64_f32_e32 v[30:31], v31
	v_fmac_f64_e32 v[50:51], v[52:53], v[26:27]
	v_fma_f64 v[50:51], -v[30:31], v[28:29], v[50:51]
	v_fmac_f64_e32 v[44:45], v[30:31], v[26:27]
	v_cvt_f64_f32_e32 v[30:31], v32
	v_cvt_f64_f32_e32 v[32:33], v33
	v_fmac_f64_e32 v[48:49], v[32:33], v[26:27]
	v_fmac_f64_e32 v[36:37], v[30:31], v[26:27]
	;; [unrolled: 1-line block ×3, first 2 shown]
	v_cvt_f64_f32_e32 v[30:31], v18
	v_cvt_f64_f32_e32 v[18:19], v19
	v_fmac_f64_e32 v[34:35], v[30:31], v[26:27]
	v_fma_f64 v[36:37], -v[32:33], v[28:29], v[36:37]
	v_fma_f64 v[32:33], -v[18:19], v[28:29], v[34:35]
	v_fmac_f64_e32 v[46:47], v[18:19], v[26:27]
	v_cvt_f64_f32_e32 v[18:19], v20
	v_cvt_f64_f32_e32 v[20:21], v21
	v_fmac_f64_e32 v[56:57], v[18:19], v[26:27]
	v_fmac_f64_e32 v[46:47], v[30:31], v[28:29]
	v_fma_f64 v[30:31], -v[20:21], v[28:29], v[56:57]
	v_fmac_f64_e32 v[0:1], v[20:21], v[26:27]
	v_cvt_f64_f32_e32 v[20:21], v14
	v_fmac_f64_e32 v[44:45], v[52:53], v[28:29]
	v_cvt_f64_f32_e32 v[14:15], v15
	v_fmac_f64_e32 v[50:51], v[20:21], v[22:23]
	v_fmac_f64_e32 v[0:1], v[18:19], v[28:29]
	v_fma_f64 v[18:19], -v[14:15], v[24:25], v[50:51]
	v_fmac_f64_e32 v[44:45], v[14:15], v[22:23]
	v_cvt_f64_f32_e32 v[14:15], v16
	v_cvt_f64_f32_e32 v[16:17], v17
	v_fmac_f64_e32 v[48:49], v[16:17], v[22:23]
	v_fmac_f64_e32 v[36:37], v[14:15], v[22:23]
	;; [unrolled: 1-line block ×3, first 2 shown]
	v_cvt_f64_f32_e32 v[14:15], v10
	v_cvt_f64_f32_e32 v[10:11], v11
	v_fmac_f64_e32 v[32:33], v[14:15], v[22:23]
	v_fma_f64 v[54:55], -v[10:11], v[24:25], v[32:33]
	v_fmac_f64_e32 v[46:47], v[10:11], v[22:23]
	v_cvt_f64_f32_e32 v[10:11], v12
	v_cvt_f64_f32_e32 v[12:13], v13
	v_fmac_f64_e32 v[30:31], v[10:11], v[22:23]
	v_fmac_f64_e32 v[0:1], v[12:13], v[22:23]
	;; [unrolled: 1-line block ×3, first 2 shown]
	v_fma_f64 v[56:57], -v[16:17], v[24:25], v[36:37]
	v_fmac_f64_e32 v[46:47], v[14:15], v[24:25]
	v_fma_f64 v[20:21], -v[12:13], v[24:25], v[30:31]
	v_fmac_f64_e32 v[0:1], v[10:11], v[24:25]
	s_andn2_b64 exec, exec, s[10:11]
	s_cbranch_execnz .LBB165_31
; %bb.32:
	s_or_b64 exec, exec, s[10:11]
.LBB165_33:
	s_or_b64 exec, exec, s[2:3]
.LBB165_34:
	s_or_b64 exec, exec, s[6:7]
.LBB165_35:
	v_mov_b32_dpp v10, v18 row_shr:1 row_mask:0xf bank_mask:0xf
	v_mov_b32_dpp v11, v19 row_shr:1 row_mask:0xf bank_mask:0xf
	v_add_f64 v[10:11], v[18:19], v[10:11]
	v_mov_b32_dpp v14, v44 row_shr:1 row_mask:0xf bank_mask:0xf
	v_mov_b32_dpp v15, v45 row_shr:1 row_mask:0xf bank_mask:0xf
	;; [unrolled: 1-line block ×14, first 2 shown]
	v_add_f64 v[14:15], v[44:45], v[14:15]
	v_add_f64 v[18:19], v[56:57], v[18:19]
	;; [unrolled: 1-line block ×7, first 2 shown]
	v_mov_b32_dpp v12, v10 row_shr:2 row_mask:0xf bank_mask:0xf
	v_mov_b32_dpp v13, v11 row_shr:2 row_mask:0xf bank_mask:0xf
	;; [unrolled: 1-line block ×16, first 2 shown]
	v_cmp_eq_u32_e32 vcc, 3, v39
	s_and_b64 exec, exec, vcc
	s_cbranch_execz .LBB165_8
; %bb.36:
	s_load_dwordx2 s[2:3], s[0:1], 0x60
	v_add_f64 v[42:43], v[10:11], v[12:13]
	v_add_f64 v[10:11], v[14:15], v[16:17]
	;; [unrolled: 1-line block ×8, first 2 shown]
	v_cmp_eq_f64_e32 vcc, 0, v[2:3]
	v_cmp_eq_f64_e64 s[0:1], 0, v[4:5]
	v_mul_f64 v[22:23], v[10:11], -v[8:9]
	v_mul_f64 v[24:25], v[6:7], v[10:11]
	v_mul_f64 v[18:19], v[12:13], -v[8:9]
	v_mul_f64 v[20:21], v[6:7], v[12:13]
	;; [unrolled: 2-line block ×4, first 2 shown]
	s_and_b64 s[0:1], vcc, s[0:1]
	v_fmac_f64_e32 v[22:23], v[6:7], v[42:43]
	v_fmac_f64_e32 v[24:25], v[8:9], v[42:43]
	v_lshlrev_b32_e32 v0, 2, v38
	v_fmac_f64_e32 v[18:19], v[6:7], v[44:45]
	v_fmac_f64_e32 v[20:21], v[8:9], v[44:45]
	;; [unrolled: 1-line block ×6, first 2 shown]
	s_waitcnt lgkmcnt(0)
	s_and_saveexec_b64 s[4:5], s[0:1]
	s_xor_b64 s[0:1], exec, s[4:5]
	s_cbranch_execz .LBB165_38
; %bb.37:
	v_ashrrev_i32_e32 v1, 31, v0
	v_lshl_add_u64 v[0:1], v[0:1], 4, s[2:3]
	global_store_dwordx4 v[0:1], v[22:25], off
	global_store_dwordx4 v[0:1], v[18:21], off offset:16
	global_store_dwordx4 v[0:1], v[14:17], off offset:32
	global_store_dwordx4 v[0:1], v[10:13], off offset:48
                                        ; implicit-def: $vgpr4_vgpr5
                                        ; implicit-def: $vgpr22_vgpr23
                                        ; implicit-def: $vgpr0
                                        ; implicit-def: $vgpr18_vgpr19
                                        ; implicit-def: $vgpr14_vgpr15
                                        ; implicit-def: $vgpr10_vgpr11
.LBB165_38:
	s_andn2_saveexec_b64 s[0:1], s[0:1]
	s_cbranch_execz .LBB165_8
; %bb.39:
	v_ashrrev_i32_e32 v1, 31, v0
	v_lshl_add_u64 v[0:1], v[0:1], 4, s[2:3]
	global_load_dwordx4 v[6:9], v[0:1], off
	global_load_dwordx4 v[26:29], v[0:1], off offset:16
	global_load_dwordx4 v[30:33], v[0:1], off offset:32
	;; [unrolled: 1-line block ×3, first 2 shown]
	s_waitcnt vmcnt(3)
	v_fmac_f64_e32 v[22:23], v[2:3], v[6:7]
	v_fmac_f64_e32 v[24:25], v[4:5], v[6:7]
	s_waitcnt vmcnt(2)
	v_fmac_f64_e32 v[18:19], v[2:3], v[26:27]
	v_fmac_f64_e32 v[20:21], v[4:5], v[26:27]
	;; [unrolled: 3-line block ×4, first 2 shown]
	v_fma_f64 v[22:23], -v[4:5], v[8:9], v[22:23]
	v_fmac_f64_e32 v[24:25], v[2:3], v[8:9]
	v_fma_f64 v[18:19], -v[4:5], v[28:29], v[18:19]
	v_fmac_f64_e32 v[20:21], v[2:3], v[28:29]
	;; [unrolled: 2-line block ×4, first 2 shown]
	global_store_dwordx4 v[0:1], v[22:25], off
	global_store_dwordx4 v[0:1], v[18:21], off offset:16
	global_store_dwordx4 v[0:1], v[14:17], off offset:32
	;; [unrolled: 1-line block ×3, first 2 shown]
	s_endpgm
	.section	.rodata,"a",@progbits
	.p2align	6, 0x0
	.amdhsa_kernel _ZN9rocsparseL18bsrxmvn_4x4_kernelILj128ELj4E21rocsparse_complex_numIdEiiS1_IfES2_S2_EEvT3_20rocsparse_direction_NS_24const_host_device_scalarIT1_EES4_PKS4_PKT2_SD_SA_PKT4_PKT5_S8_PT6_21rocsparse_index_base_b
		.amdhsa_group_segment_fixed_size 0
		.amdhsa_private_segment_fixed_size 0
		.amdhsa_kernarg_size 112
		.amdhsa_user_sgpr_count 2
		.amdhsa_user_sgpr_dispatch_ptr 0
		.amdhsa_user_sgpr_queue_ptr 0
		.amdhsa_user_sgpr_kernarg_segment_ptr 1
		.amdhsa_user_sgpr_dispatch_id 0
		.amdhsa_user_sgpr_kernarg_preload_length 0
		.amdhsa_user_sgpr_kernarg_preload_offset 0
		.amdhsa_user_sgpr_private_segment_size 0
		.amdhsa_uses_dynamic_stack 0
		.amdhsa_enable_private_segment 0
		.amdhsa_system_sgpr_workgroup_id_x 1
		.amdhsa_system_sgpr_workgroup_id_y 0
		.amdhsa_system_sgpr_workgroup_id_z 0
		.amdhsa_system_sgpr_workgroup_info 0
		.amdhsa_system_vgpr_workitem_id 0
		.amdhsa_next_free_vgpr 118
		.amdhsa_next_free_sgpr 18
		.amdhsa_accum_offset 120
		.amdhsa_reserve_vcc 1
		.amdhsa_float_round_mode_32 0
		.amdhsa_float_round_mode_16_64 0
		.amdhsa_float_denorm_mode_32 3
		.amdhsa_float_denorm_mode_16_64 3
		.amdhsa_dx10_clamp 1
		.amdhsa_ieee_mode 1
		.amdhsa_fp16_overflow 0
		.amdhsa_tg_split 0
		.amdhsa_exception_fp_ieee_invalid_op 0
		.amdhsa_exception_fp_denorm_src 0
		.amdhsa_exception_fp_ieee_div_zero 0
		.amdhsa_exception_fp_ieee_overflow 0
		.amdhsa_exception_fp_ieee_underflow 0
		.amdhsa_exception_fp_ieee_inexact 0
		.amdhsa_exception_int_div_zero 0
	.end_amdhsa_kernel
	.section	.text._ZN9rocsparseL18bsrxmvn_4x4_kernelILj128ELj4E21rocsparse_complex_numIdEiiS1_IfES2_S2_EEvT3_20rocsparse_direction_NS_24const_host_device_scalarIT1_EES4_PKS4_PKT2_SD_SA_PKT4_PKT5_S8_PT6_21rocsparse_index_base_b,"axG",@progbits,_ZN9rocsparseL18bsrxmvn_4x4_kernelILj128ELj4E21rocsparse_complex_numIdEiiS1_IfES2_S2_EEvT3_20rocsparse_direction_NS_24const_host_device_scalarIT1_EES4_PKS4_PKT2_SD_SA_PKT4_PKT5_S8_PT6_21rocsparse_index_base_b,comdat
.Lfunc_end165:
	.size	_ZN9rocsparseL18bsrxmvn_4x4_kernelILj128ELj4E21rocsparse_complex_numIdEiiS1_IfES2_S2_EEvT3_20rocsparse_direction_NS_24const_host_device_scalarIT1_EES4_PKS4_PKT2_SD_SA_PKT4_PKT5_S8_PT6_21rocsparse_index_base_b, .Lfunc_end165-_ZN9rocsparseL18bsrxmvn_4x4_kernelILj128ELj4E21rocsparse_complex_numIdEiiS1_IfES2_S2_EEvT3_20rocsparse_direction_NS_24const_host_device_scalarIT1_EES4_PKS4_PKT2_SD_SA_PKT4_PKT5_S8_PT6_21rocsparse_index_base_b
                                        ; -- End function
	.set _ZN9rocsparseL18bsrxmvn_4x4_kernelILj128ELj4E21rocsparse_complex_numIdEiiS1_IfES2_S2_EEvT3_20rocsparse_direction_NS_24const_host_device_scalarIT1_EES4_PKS4_PKT2_SD_SA_PKT4_PKT5_S8_PT6_21rocsparse_index_base_b.num_vgpr, 118
	.set _ZN9rocsparseL18bsrxmvn_4x4_kernelILj128ELj4E21rocsparse_complex_numIdEiiS1_IfES2_S2_EEvT3_20rocsparse_direction_NS_24const_host_device_scalarIT1_EES4_PKS4_PKT2_SD_SA_PKT4_PKT5_S8_PT6_21rocsparse_index_base_b.num_agpr, 0
	.set _ZN9rocsparseL18bsrxmvn_4x4_kernelILj128ELj4E21rocsparse_complex_numIdEiiS1_IfES2_S2_EEvT3_20rocsparse_direction_NS_24const_host_device_scalarIT1_EES4_PKS4_PKT2_SD_SA_PKT4_PKT5_S8_PT6_21rocsparse_index_base_b.numbered_sgpr, 18
	.set _ZN9rocsparseL18bsrxmvn_4x4_kernelILj128ELj4E21rocsparse_complex_numIdEiiS1_IfES2_S2_EEvT3_20rocsparse_direction_NS_24const_host_device_scalarIT1_EES4_PKS4_PKT2_SD_SA_PKT4_PKT5_S8_PT6_21rocsparse_index_base_b.num_named_barrier, 0
	.set _ZN9rocsparseL18bsrxmvn_4x4_kernelILj128ELj4E21rocsparse_complex_numIdEiiS1_IfES2_S2_EEvT3_20rocsparse_direction_NS_24const_host_device_scalarIT1_EES4_PKS4_PKT2_SD_SA_PKT4_PKT5_S8_PT6_21rocsparse_index_base_b.private_seg_size, 0
	.set _ZN9rocsparseL18bsrxmvn_4x4_kernelILj128ELj4E21rocsparse_complex_numIdEiiS1_IfES2_S2_EEvT3_20rocsparse_direction_NS_24const_host_device_scalarIT1_EES4_PKS4_PKT2_SD_SA_PKT4_PKT5_S8_PT6_21rocsparse_index_base_b.uses_vcc, 1
	.set _ZN9rocsparseL18bsrxmvn_4x4_kernelILj128ELj4E21rocsparse_complex_numIdEiiS1_IfES2_S2_EEvT3_20rocsparse_direction_NS_24const_host_device_scalarIT1_EES4_PKS4_PKT2_SD_SA_PKT4_PKT5_S8_PT6_21rocsparse_index_base_b.uses_flat_scratch, 0
	.set _ZN9rocsparseL18bsrxmvn_4x4_kernelILj128ELj4E21rocsparse_complex_numIdEiiS1_IfES2_S2_EEvT3_20rocsparse_direction_NS_24const_host_device_scalarIT1_EES4_PKS4_PKT2_SD_SA_PKT4_PKT5_S8_PT6_21rocsparse_index_base_b.has_dyn_sized_stack, 0
	.set _ZN9rocsparseL18bsrxmvn_4x4_kernelILj128ELj4E21rocsparse_complex_numIdEiiS1_IfES2_S2_EEvT3_20rocsparse_direction_NS_24const_host_device_scalarIT1_EES4_PKS4_PKT2_SD_SA_PKT4_PKT5_S8_PT6_21rocsparse_index_base_b.has_recursion, 0
	.set _ZN9rocsparseL18bsrxmvn_4x4_kernelILj128ELj4E21rocsparse_complex_numIdEiiS1_IfES2_S2_EEvT3_20rocsparse_direction_NS_24const_host_device_scalarIT1_EES4_PKS4_PKT2_SD_SA_PKT4_PKT5_S8_PT6_21rocsparse_index_base_b.has_indirect_call, 0
	.section	.AMDGPU.csdata,"",@progbits
; Kernel info:
; codeLenInByte = 7804
; TotalNumSgprs: 24
; NumVgprs: 118
; NumAgprs: 0
; TotalNumVgprs: 118
; ScratchSize: 0
; MemoryBound: 0
; FloatMode: 240
; IeeeMode: 1
; LDSByteSize: 0 bytes/workgroup (compile time only)
; SGPRBlocks: 2
; VGPRBlocks: 14
; NumSGPRsForWavesPerEU: 24
; NumVGPRsForWavesPerEU: 118
; AccumOffset: 120
; Occupancy: 4
; WaveLimiterHint : 1
; COMPUTE_PGM_RSRC2:SCRATCH_EN: 0
; COMPUTE_PGM_RSRC2:USER_SGPR: 2
; COMPUTE_PGM_RSRC2:TRAP_HANDLER: 0
; COMPUTE_PGM_RSRC2:TGID_X_EN: 1
; COMPUTE_PGM_RSRC2:TGID_Y_EN: 0
; COMPUTE_PGM_RSRC2:TGID_Z_EN: 0
; COMPUTE_PGM_RSRC2:TIDIG_COMP_CNT: 0
; COMPUTE_PGM_RSRC3_GFX90A:ACCUM_OFFSET: 29
; COMPUTE_PGM_RSRC3_GFX90A:TG_SPLIT: 0
	.section	.text._ZN9rocsparseL18bsrxmvn_4x4_kernelILj128ELj8E21rocsparse_complex_numIdEiiS1_IfES2_S2_EEvT3_20rocsparse_direction_NS_24const_host_device_scalarIT1_EES4_PKS4_PKT2_SD_SA_PKT4_PKT5_S8_PT6_21rocsparse_index_base_b,"axG",@progbits,_ZN9rocsparseL18bsrxmvn_4x4_kernelILj128ELj8E21rocsparse_complex_numIdEiiS1_IfES2_S2_EEvT3_20rocsparse_direction_NS_24const_host_device_scalarIT1_EES4_PKS4_PKT2_SD_SA_PKT4_PKT5_S8_PT6_21rocsparse_index_base_b,comdat
	.globl	_ZN9rocsparseL18bsrxmvn_4x4_kernelILj128ELj8E21rocsparse_complex_numIdEiiS1_IfES2_S2_EEvT3_20rocsparse_direction_NS_24const_host_device_scalarIT1_EES4_PKS4_PKT2_SD_SA_PKT4_PKT5_S8_PT6_21rocsparse_index_base_b ; -- Begin function _ZN9rocsparseL18bsrxmvn_4x4_kernelILj128ELj8E21rocsparse_complex_numIdEiiS1_IfES2_S2_EEvT3_20rocsparse_direction_NS_24const_host_device_scalarIT1_EES4_PKS4_PKT2_SD_SA_PKT4_PKT5_S8_PT6_21rocsparse_index_base_b
	.p2align	8
	.type	_ZN9rocsparseL18bsrxmvn_4x4_kernelILj128ELj8E21rocsparse_complex_numIdEiiS1_IfES2_S2_EEvT3_20rocsparse_direction_NS_24const_host_device_scalarIT1_EES4_PKS4_PKT2_SD_SA_PKT4_PKT5_S8_PT6_21rocsparse_index_base_b,@function
_ZN9rocsparseL18bsrxmvn_4x4_kernelILj128ELj8E21rocsparse_complex_numIdEiiS1_IfES2_S2_EEvT3_20rocsparse_direction_NS_24const_host_device_scalarIT1_EES4_PKS4_PKT2_SD_SA_PKT4_PKT5_S8_PT6_21rocsparse_index_base_b: ; @_ZN9rocsparseL18bsrxmvn_4x4_kernelILj128ELj8E21rocsparse_complex_numIdEiiS1_IfES2_S2_EEvT3_20rocsparse_direction_NS_24const_host_device_scalarIT1_EES4_PKS4_PKT2_SD_SA_PKT4_PKT5_S8_PT6_21rocsparse_index_base_b
; %bb.0:
	s_load_dwordx2 s[4:5], s[0:1], 0x8
	s_load_dwordx2 s[12:13], s[0:1], 0x68
	s_add_u32 s3, s0, 8
	s_addc_u32 s8, s1, 0
	s_add_u32 s9, s0, 0x50
	s_load_dwordx2 s[6:7], s[0:1], 0x50
	s_addc_u32 s10, s1, 0
	s_waitcnt lgkmcnt(0)
	s_bitcmp1_b32 s13, 0
	s_cselect_b32 s5, s8, s5
	s_cselect_b32 s3, s3, s4
	v_mov_b32_e32 v2, s3
	v_mov_b32_e32 v3, s5
	flat_load_dwordx4 v[6:9], v[2:3]
	s_cselect_b32 s3, s10, s7
	s_cselect_b32 s4, s9, s6
	v_mov_b32_e32 v2, s4
	v_mov_b32_e32 v3, s3
	flat_load_dwordx4 v[2:5], v[2:3]
	s_waitcnt vmcnt(0) lgkmcnt(0)
	v_cmp_eq_f64_e32 vcc, 0, v[6:7]
	v_cmp_eq_f64_e64 s[4:5], 0, v[8:9]
	s_and_b64 s[8:9], vcc, s[4:5]
	s_mov_b64 s[4:5], -1
	s_and_saveexec_b64 s[6:7], s[8:9]
; %bb.1:
	v_cmp_neq_f64_e32 vcc, 1.0, v[2:3]
	v_cmp_neq_f64_e64 s[4:5], 0, v[4:5]
	s_or_b64 s[4:5], vcc, s[4:5]
	s_orn2_b64 s[4:5], s[4:5], exec
; %bb.2:
	s_or_b64 exec, exec, s[6:7]
	s_and_saveexec_b64 s[6:7], s[4:5]
	s_cbranch_execz .LBB166_8
; %bb.3:
	s_load_dwordx2 s[4:5], s[0:1], 0x20
	s_load_dwordx2 s[14:15], s[0:1], 0x0
	v_lshrrev_b32_e32 v1, 3, v0
	v_lshl_or_b32 v38, s2, 4, v1
	s_mov_b64 s[2:3], 0
	s_waitcnt lgkmcnt(0)
	s_cmp_lg_u64 s[4:5], 0
	s_cbranch_scc0 .LBB166_9
; %bb.4:
	s_load_dword s6, s[0:1], 0x18
                                        ; implicit-def: $vgpr1
	s_waitcnt lgkmcnt(0)
	v_cmp_gt_i32_e32 vcc, s6, v38
	s_and_saveexec_b64 s[6:7], vcc
	s_xor_b64 s[6:7], exec, s[6:7]
	s_cbranch_execz .LBB166_6
; %bb.5:
	v_ashrrev_i32_e32 v39, 31, v38
	v_lshl_add_u64 v[10:11], v[38:39], 2, s[4:5]
	global_load_dword v1, v[10:11], off
	s_mov_b64 s[2:3], exec
	s_waitcnt vmcnt(0)
	v_subrev_u32_e32 v1, s12, v1
.LBB166_6:
	s_or_b64 exec, exec, s[6:7]
	s_branch .LBB166_10
.LBB166_7:
	v_cmp_gt_i32_e32 vcc, s14, v38
	s_andn2_b64 s[2:3], s[2:3], exec
	s_and_b64 s[4:5], vcc, exec
	s_or_b64 s[2:3], s[2:3], s[4:5]
	s_and_b64 exec, exec, s[2:3]
	s_cbranch_execnz .LBB166_11
.LBB166_8:
	s_endpgm
.LBB166_9:
                                        ; implicit-def: $vgpr1
	s_cbranch_execnz .LBB166_7
.LBB166_10:
	v_mov_b32_e32 v38, v1
	s_and_b64 exec, exec, s[2:3]
	s_cbranch_execz .LBB166_8
.LBB166_11:
	s_load_dwordx8 s[4:11], s[0:1], 0x28
	v_ashrrev_i32_e32 v39, 31, v38
	v_lshlrev_b64 v[10:11], 2, v[38:39]
	v_and_b32_e32 v39, 7, v0
	s_waitcnt lgkmcnt(0)
	v_lshl_add_u64 v[12:13], s[4:5], 0, v[10:11]
	s_cmp_eq_u64 s[6:7], 0
	global_load_dword v65, v[12:13], off
	v_lshl_add_u64 v[12:13], v[12:13], 0, 4
	v_lshl_add_u64 v[10:11], s[6:7], 0, v[10:11]
	s_cselect_b64 vcc, -1, 0
	v_cndmask_b32_e32 v11, v11, v13, vcc
	v_cndmask_b32_e32 v10, v10, v12, vcc
	global_load_dword v1, v[10:11], off
	s_load_dwordx2 s[4:5], s[0:1], 0x48
	s_cmp_eq_u32 s15, 1
	s_waitcnt vmcnt(1)
	v_subrev_u32_e32 v0, s12, v65
	v_add_u32_e32 v46, v0, v39
	v_ashrrev_i32_e32 v47, 31, v46
	s_waitcnt vmcnt(0)
	v_subrev_u32_e32 v64, s12, v1
	v_lshlrev_b64 v[0:1], 7, v[46:47]
	v_lshl_add_u64 v[48:49], s[10:11], 0, v[0:1]
	v_cmp_lt_i32_e64 s[2:3], v46, v64
	s_cbranch_scc1 .LBB166_23
; %bb.12:
	v_mov_b64_e32 v[44:45], 0
	v_mov_b64_e32 v[54:55], 0
	;; [unrolled: 1-line block ×8, first 2 shown]
	s_and_saveexec_b64 s[6:7], s[2:3]
	s_cbranch_execz .LBB166_22
; %bb.13:
	v_add_u32_e32 v0, v65, v39
	v_subrev_u32_e32 v0, s12, v0
	v_add_u32_e32 v0, 8, v0
	v_max_i32_e32 v0, v0, v64
	v_not_b32_e32 v1, v65
	v_add3_u32 v0, s12, v0, v1
	v_sub_u32_e32 v14, v0, v39
	v_and_b32_e32 v0, 24, v14
	v_cmp_ne_u32_e32 vcc, 24, v0
	v_mov_b64_e32 v[18:19], 0
	v_mov_b64_e32 v[0:1], 0
	;; [unrolled: 1-line block ×9, first 2 shown]
	v_mov_b32_e32 v50, v46
	s_and_saveexec_b64 s[10:11], vcc
	s_cbranch_execz .LBB166_17
; %bb.14:
	v_lshrrev_b32_e32 v0, 3, v14
	v_add_u32_e32 v0, 1, v0
	v_and_b32_e32 v0, 3, v0
	v_sub_u32_e32 v15, 0, v0
	v_mov_b64_e32 v[44:45], 0
	s_mov_b64 s[14:15], 0
	s_mov_b64 s[16:17], 0x400
	v_mov_b32_e32 v50, v46
	v_mov_b64_e32 v[52:53], v[48:49]
	v_mov_b64_e32 v[54:55], 0
	v_mov_b64_e32 v[42:43], 0
	v_mov_b64_e32 v[56:57], 0
	v_mov_b64_e32 v[40:41], 0
	v_mov_b64_e32 v[20:21], 0
	v_mov_b64_e32 v[0:1], 0
	v_mov_b64_e32 v[18:19], 0
.LBB166_15:                             ; =>This Inner Loop Header: Depth=1
	global_load_dwordx4 v[22:25], v[52:53], off
	global_load_dwordx4 v[26:29], v[52:53], off offset:16
	global_load_dwordx4 v[10:13], v[52:53], off offset:32
	v_ashrrev_i32_e32 v51, 31, v50
	v_lshl_add_u64 v[16:17], v[50:51], 2, s[8:9]
	global_load_dwordx4 v[30:33], v[52:53], off offset:64
	global_load_dwordx4 v[34:37], v[52:53], off offset:96
	global_load_dword v47, v[16:17], off
	global_load_dwordx4 v[58:61], v[52:53], off offset:48
	global_load_dwordx4 v[66:69], v[52:53], off offset:80
	;; [unrolled: 1-line block ×3, first 2 shown]
	v_add_co_u32_e32 v15, vcc, 1, v15
	v_lshl_add_u64 v[52:53], v[52:53], 0, s[16:17]
	v_add_u32_e32 v50, 8, v50
	s_or_b64 s[14:15], vcc, s[14:15]
	s_waitcnt vmcnt(8)
	v_cvt_f64_f32_e32 v[16:17], v22
	v_cvt_f64_f32_e32 v[62:63], v23
	s_waitcnt vmcnt(6)
	v_cvt_f64_f32_e32 v[90:91], v10
	s_waitcnt vmcnt(3)
	v_subrev_u32_e32 v10, s12, v47
	v_lshlrev_b32_e32 v10, 2, v10
	v_cvt_f64_f32_e32 v[92:93], v11
	v_ashrrev_i32_e32 v11, 31, v10
	s_waitcnt lgkmcnt(0)
	v_lshl_add_u64 v[102:103], v[10:11], 4, s[4:5]
	v_cvt_f64_f32_e32 v[78:79], v24
	v_cvt_f64_f32_e32 v[80:81], v25
	;; [unrolled: 1-line block ×8, first 2 shown]
	global_load_dwordx4 v[10:13], v[102:103], off
	global_load_dwordx4 v[22:25], v[102:103], off offset:16
	global_load_dwordx4 v[26:29], v[102:103], off offset:32
	;; [unrolled: 1-line block ×3, first 2 shown]
	v_cvt_f64_f32_e32 v[98:99], v30
	v_cvt_f64_f32_e32 v[30:31], v31
	;; [unrolled: 1-line block ×8, first 2 shown]
	s_waitcnt vmcnt(6)
	v_cvt_f64_f32_e32 v[102:103], v58
	v_cvt_f64_f32_e32 v[58:59], v59
	s_waitcnt vmcnt(5)
	v_cvt_f64_f32_e32 v[108:109], v66
	v_cvt_f64_f32_e32 v[66:67], v67
	;; [unrolled: 3-line block ×3, first 2 shown]
	v_cvt_f64_f32_e32 v[104:105], v60
	v_cvt_f64_f32_e32 v[60:61], v61
	;; [unrolled: 1-line block ×6, first 2 shown]
	s_waitcnt vmcnt(3)
	v_fmac_f64_e32 v[54:55], v[16:17], v[10:11]
	v_fmac_f64_e32 v[44:45], v[62:63], v[10:11]
	v_fmac_f64_e32 v[56:57], v[90:91], v[10:11]
	v_fmac_f64_e32 v[42:43], v[92:93], v[10:11]
	v_fmac_f64_e32 v[20:21], v[98:99], v[10:11]
	v_fmac_f64_e32 v[40:41], v[30:31], v[10:11]
	v_fmac_f64_e32 v[18:19], v[100:101], v[10:11]
	v_fmac_f64_e32 v[0:1], v[34:35], v[10:11]
	v_fma_f64 v[10:11], -v[62:63], v[12:13], v[54:55]
	v_fmac_f64_e32 v[44:45], v[16:17], v[12:13]
	v_fma_f64 v[16:17], -v[92:93], v[12:13], v[56:57]
	v_fmac_f64_e32 v[42:43], v[90:91], v[12:13]
	v_fma_f64 v[20:21], -v[30:31], v[12:13], v[20:21]
	v_fmac_f64_e32 v[40:41], v[98:99], v[12:13]
	v_fma_f64 v[18:19], -v[34:35], v[12:13], v[18:19]
	v_fmac_f64_e32 v[0:1], v[100:101], v[12:13]
	s_waitcnt vmcnt(2)
	v_fmac_f64_e32 v[10:11], v[78:79], v[22:23]
	v_fmac_f64_e32 v[44:45], v[80:81], v[22:23]
	v_fmac_f64_e32 v[16:17], v[94:95], v[22:23]
	v_fmac_f64_e32 v[42:43], v[96:97], v[22:23]
	v_fmac_f64_e32 v[20:21], v[106:107], v[22:23]
	v_fmac_f64_e32 v[40:41], v[32:33], v[22:23]
	v_fmac_f64_e32 v[18:19], v[112:113], v[22:23]
	v_fmac_f64_e32 v[0:1], v[36:37], v[22:23]
	v_fma_f64 v[10:11], -v[80:81], v[24:25], v[10:11]
	v_fmac_f64_e32 v[44:45], v[78:79], v[24:25]
	v_fma_f64 v[12:13], -v[96:97], v[24:25], v[16:17]
	v_fmac_f64_e32 v[42:43], v[94:95], v[24:25]
	v_fma_f64 v[16:17], -v[32:33], v[24:25], v[20:21]
	v_fmac_f64_e32 v[40:41], v[106:107], v[24:25]
	v_fma_f64 v[18:19], -v[36:37], v[24:25], v[18:19]
	v_fmac_f64_e32 v[0:1], v[112:113], v[24:25]
	;; [unrolled: 17-line block ×4, first 2 shown]
	s_andn2_b64 exec, exec, s[14:15]
	s_cbranch_execnz .LBB166_15
; %bb.16:
	s_or_b64 exec, exec, s[14:15]
.LBB166_17:
	s_or_b64 exec, exec, s[10:11]
	v_cmp_lt_u32_e32 vcc, 23, v14
	s_and_saveexec_b64 s[10:11], vcc
	s_cbranch_execz .LBB166_21
; %bb.18:
	s_mov_b64 s[14:15], 0
	s_mov_b64 s[16:17], 0x1000
.LBB166_19:                             ; =>This Inner Loop Header: Depth=1
	v_ashrrev_i32_e32 v51, 31, v50
	v_lshl_add_u64 v[58:59], v[50:51], 2, s[8:9]
	global_load_dword v10, v[58:59], off
	global_load_dwordx4 v[22:25], v[52:53], off offset:48
	global_load_dwordx4 v[28:31], v[52:53], off offset:32
	;; [unrolled: 1-line block ×3, first 2 shown]
	global_load_dwordx4 v[60:63], v[52:53], off
	v_add_u32_e32 v50, 32, v50
	v_cmp_ge_i32_e32 vcc, v50, v64
	s_or_b64 s[14:15], vcc, s[14:15]
	s_waitcnt vmcnt(4)
	v_subrev_u32_e32 v10, s12, v10
	v_lshlrev_b32_e32 v10, 2, v10
	v_ashrrev_i32_e32 v11, 31, v10
	s_waitcnt vmcnt(0)
	v_cvt_f64_f32_e32 v[26:27], v60
	v_cvt_f64_f32_e32 v[36:37], v61
	s_waitcnt lgkmcnt(0)
	v_lshl_add_u64 v[60:61], v[10:11], 4, s[4:5]
	global_load_dwordx4 v[10:13], v[60:61], off offset:48
	global_load_dwordx4 v[14:17], v[60:61], off offset:32
	;; [unrolled: 1-line block ×3, first 2 shown]
	global_load_dwordx4 v[70:73], v[60:61], off
	s_waitcnt vmcnt(0)
	v_fmac_f64_e32 v[54:55], v[26:27], v[70:71]
	v_fmac_f64_e32 v[44:45], v[36:37], v[70:71]
	v_fma_f64 v[54:55], -v[36:37], v[72:73], v[54:55]
	v_fmac_f64_e32 v[44:45], v[26:27], v[72:73]
	v_cvt_f64_f32_e32 v[26:27], v62
	v_cvt_f64_f32_e32 v[36:37], v63
	v_fmac_f64_e32 v[54:55], v[26:27], v[66:67]
	v_fmac_f64_e32 v[44:45], v[36:37], v[66:67]
	v_fma_f64 v[54:55], -v[36:37], v[68:69], v[54:55]
	v_fmac_f64_e32 v[44:45], v[26:27], v[68:69]
	v_cvt_f64_f32_e32 v[26:27], v32
	v_cvt_f64_f32_e32 v[32:33], v33
	;; [unrolled: 6-line block ×3, first 2 shown]
	v_fmac_f64_e32 v[44:45], v[34:35], v[10:11]
	v_fmac_f64_e32 v[36:37], v[32:33], v[10:11]
	;; [unrolled: 1-line block ×3, first 2 shown]
	v_cvt_f64_f32_e32 v[32:33], v28
	v_cvt_f64_f32_e32 v[28:29], v29
	v_fmac_f64_e32 v[56:57], v[32:33], v[70:71]
	v_fmac_f64_e32 v[42:43], v[28:29], v[70:71]
	v_fma_f64 v[26:27], -v[34:35], v[12:13], v[36:37]
	v_fma_f64 v[34:35], -v[28:29], v[72:73], v[56:57]
	v_fmac_f64_e32 v[42:43], v[32:33], v[72:73]
	v_cvt_f64_f32_e32 v[28:29], v30
	v_cvt_f64_f32_e32 v[30:31], v31
	v_fmac_f64_e32 v[34:35], v[28:29], v[66:67]
	v_fmac_f64_e32 v[42:43], v[30:31], v[66:67]
	v_fma_f64 v[32:33], -v[30:31], v[68:69], v[34:35]
	v_fmac_f64_e32 v[42:43], v[28:29], v[68:69]
	v_cvt_f64_f32_e32 v[28:29], v22
	v_cvt_f64_f32_e32 v[22:23], v23
	v_fmac_f64_e32 v[32:33], v[28:29], v[14:15]
	v_fmac_f64_e32 v[42:43], v[22:23], v[14:15]
	;; [unrolled: 6-line block ×3, first 2 shown]
	v_fma_f64 v[28:29], -v[24:25], v[12:13], v[30:31]
	v_fmac_f64_e32 v[42:43], v[22:23], v[12:13]
	global_load_dwordx4 v[22:25], v[52:53], off offset:112
	global_load_dwordx4 v[30:33], v[52:53], off offset:96
	;; [unrolled: 1-line block ×4, first 2 shown]
	s_waitcnt vmcnt(0)
	v_cvt_f64_f32_e32 v[60:61], v54
	v_cvt_f64_f32_e32 v[54:55], v55
	v_fmac_f64_e32 v[20:21], v[60:61], v[70:71]
	v_fmac_f64_e32 v[40:41], v[54:55], v[70:71]
	v_fma_f64 v[20:21], -v[54:55], v[72:73], v[20:21]
	v_fmac_f64_e32 v[40:41], v[60:61], v[72:73]
	v_cvt_f64_f32_e32 v[54:55], v56
	v_cvt_f64_f32_e32 v[56:57], v57
	v_fmac_f64_e32 v[20:21], v[54:55], v[66:67]
	v_fmac_f64_e32 v[40:41], v[56:57], v[66:67]
	v_fma_f64 v[20:21], -v[56:57], v[68:69], v[20:21]
	v_fmac_f64_e32 v[40:41], v[54:55], v[68:69]
	v_cvt_f64_f32_e32 v[54:55], v34
	v_cvt_f64_f32_e32 v[34:35], v35
	v_fmac_f64_e32 v[20:21], v[54:55], v[14:15]
	v_fma_f64 v[20:21], -v[34:35], v[16:17], v[20:21]
	v_fmac_f64_e32 v[40:41], v[34:35], v[14:15]
	v_cvt_f64_f32_e32 v[34:35], v36
	v_cvt_f64_f32_e32 v[36:37], v37
	v_fmac_f64_e32 v[20:21], v[34:35], v[10:11]
	v_fma_f64 v[56:57], -v[36:37], v[12:13], v[20:21]
	v_cvt_f64_f32_e32 v[20:21], v30
	v_cvt_f64_f32_e32 v[30:31], v31
	v_fmac_f64_e32 v[18:19], v[20:21], v[70:71]
	v_fmac_f64_e32 v[0:1], v[30:31], v[70:71]
	v_fma_f64 v[18:19], -v[30:31], v[72:73], v[18:19]
	v_fmac_f64_e32 v[0:1], v[20:21], v[72:73]
	v_cvt_f64_f32_e32 v[20:21], v32
	v_cvt_f64_f32_e32 v[30:31], v33
	v_fmac_f64_e32 v[18:19], v[20:21], v[66:67]
	v_fmac_f64_e32 v[0:1], v[30:31], v[66:67]
	v_fma_f64 v[18:19], -v[30:31], v[68:69], v[18:19]
	v_fmac_f64_e32 v[0:1], v[20:21], v[68:69]
	v_cvt_f64_f32_e32 v[20:21], v22
	v_cvt_f64_f32_e32 v[22:23], v23
	v_fmac_f64_e32 v[18:19], v[20:21], v[14:15]
	v_fmac_f64_e32 v[0:1], v[22:23], v[14:15]
	;; [unrolled: 1-line block ×3, first 2 shown]
	v_fma_f64 v[18:19], -v[22:23], v[16:17], v[18:19]
	v_fmac_f64_e32 v[0:1], v[20:21], v[16:17]
	v_cvt_f64_f32_e32 v[14:15], v24
	v_cvt_f64_f32_e32 v[16:17], v25
	v_fmac_f64_e32 v[40:41], v[36:37], v[10:11]
	v_fmac_f64_e32 v[18:19], v[14:15], v[10:11]
	;; [unrolled: 1-line block ×3, first 2 shown]
	global_load_dword v10, v[58:59], off offset:32
	v_fmac_f64_e32 v[40:41], v[34:35], v[12:13]
	global_load_dwordx4 v[30:33], v[52:53], off offset:1072
	global_load_dwordx4 v[34:37], v[52:53], off offset:1056
	;; [unrolled: 1-line block ×4, first 2 shown]
	v_fma_f64 v[54:55], -v[16:17], v[12:13], v[18:19]
	v_fmac_f64_e32 v[0:1], v[14:15], v[12:13]
	s_waitcnt vmcnt(4)
	v_subrev_u32_e32 v10, s12, v10
	v_lshlrev_b32_e32 v10, 2, v10
	v_ashrrev_i32_e32 v11, 31, v10
	v_lshl_add_u64 v[72:73], v[10:11], 4, s[4:5]
	global_load_dwordx4 v[10:13], v[72:73], off offset:48
	global_load_dwordx4 v[14:17], v[72:73], off offset:32
	;; [unrolled: 1-line block ×3, first 2 shown]
	global_load_dwordx4 v[22:25], v[72:73], off
	s_waitcnt vmcnt(4)
	v_cvt_f64_f32_e32 v[70:71], v66
	v_cvt_f64_f32_e32 v[66:67], v67
	s_waitcnt vmcnt(0)
	v_fmac_f64_e32 v[26:27], v[70:71], v[22:23]
	v_fmac_f64_e32 v[44:45], v[66:67], v[22:23]
	v_fma_f64 v[26:27], -v[66:67], v[24:25], v[26:27]
	v_fmac_f64_e32 v[44:45], v[70:71], v[24:25]
	v_cvt_f64_f32_e32 v[66:67], v68
	v_cvt_f64_f32_e32 v[68:69], v69
	v_fmac_f64_e32 v[26:27], v[66:67], v[18:19]
	v_fmac_f64_e32 v[44:45], v[68:69], v[18:19]
	v_fma_f64 v[26:27], -v[68:69], v[20:21], v[26:27]
	v_fmac_f64_e32 v[44:45], v[66:67], v[20:21]
	v_cvt_f64_f32_e32 v[66:67], v60
	v_cvt_f64_f32_e32 v[60:61], v61
	;; [unrolled: 6-line block ×3, first 2 shown]
	v_fmac_f64_e32 v[26:27], v[66:67], v[10:11]
	v_fma_f64 v[60:61], -v[62:63], v[12:13], v[26:27]
	v_cvt_f64_f32_e32 v[26:27], v34
	v_cvt_f64_f32_e32 v[34:35], v35
	v_fmac_f64_e32 v[28:29], v[26:27], v[22:23]
	v_fmac_f64_e32 v[42:43], v[34:35], v[22:23]
	v_fma_f64 v[28:29], -v[34:35], v[24:25], v[28:29]
	v_fmac_f64_e32 v[42:43], v[26:27], v[24:25]
	v_cvt_f64_f32_e32 v[26:27], v36
	v_cvt_f64_f32_e32 v[34:35], v37
	v_fmac_f64_e32 v[28:29], v[26:27], v[18:19]
	v_fmac_f64_e32 v[42:43], v[34:35], v[18:19]
	v_fma_f64 v[28:29], -v[34:35], v[20:21], v[28:29]
	v_fmac_f64_e32 v[42:43], v[26:27], v[20:21]
	;; [unrolled: 6-line block ×3, first 2 shown]
	v_cvt_f64_f32_e32 v[26:27], v32
	v_cvt_f64_f32_e32 v[30:31], v33
	v_fmac_f64_e32 v[44:45], v[62:63], v[10:11]
	v_fmac_f64_e32 v[28:29], v[26:27], v[10:11]
	;; [unrolled: 1-line block ×4, first 2 shown]
	v_fma_f64 v[62:63], -v[30:31], v[12:13], v[28:29]
	v_fmac_f64_e32 v[42:43], v[26:27], v[12:13]
	global_load_dwordx4 v[26:29], v[52:53], off offset:1136
	global_load_dwordx4 v[30:33], v[52:53], off offset:1120
	;; [unrolled: 1-line block ×4, first 2 shown]
	s_waitcnt vmcnt(0)
	v_cvt_f64_f32_e32 v[70:71], v66
	v_cvt_f64_f32_e32 v[66:67], v67
	v_fmac_f64_e32 v[56:57], v[70:71], v[22:23]
	v_fmac_f64_e32 v[40:41], v[66:67], v[22:23]
	v_fma_f64 v[56:57], -v[66:67], v[24:25], v[56:57]
	v_fmac_f64_e32 v[40:41], v[70:71], v[24:25]
	v_cvt_f64_f32_e32 v[66:67], v68
	v_cvt_f64_f32_e32 v[68:69], v69
	v_fmac_f64_e32 v[56:57], v[66:67], v[18:19]
	v_fmac_f64_e32 v[40:41], v[68:69], v[18:19]
	v_fma_f64 v[56:57], -v[68:69], v[20:21], v[56:57]
	v_fmac_f64_e32 v[40:41], v[66:67], v[20:21]
	;; [unrolled: 6-line block ×3, first 2 shown]
	v_cvt_f64_f32_e32 v[34:35], v36
	v_cvt_f64_f32_e32 v[36:37], v37
	v_fmac_f64_e32 v[40:41], v[36:37], v[10:11]
	v_fmac_f64_e32 v[56:57], v[34:35], v[10:11]
	;; [unrolled: 1-line block ×3, first 2 shown]
	v_cvt_f64_f32_e32 v[34:35], v30
	v_cvt_f64_f32_e32 v[30:31], v31
	v_fmac_f64_e32 v[54:55], v[34:35], v[22:23]
	v_fmac_f64_e32 v[0:1], v[30:31], v[22:23]
	v_fma_f64 v[70:71], -v[36:37], v[12:13], v[56:57]
	v_fma_f64 v[36:37], -v[30:31], v[24:25], v[54:55]
	v_fmac_f64_e32 v[0:1], v[34:35], v[24:25]
	v_cvt_f64_f32_e32 v[22:23], v32
	v_cvt_f64_f32_e32 v[24:25], v33
	v_fmac_f64_e32 v[36:37], v[22:23], v[18:19]
	v_fmac_f64_e32 v[0:1], v[24:25], v[18:19]
	v_fma_f64 v[30:31], -v[24:25], v[20:21], v[36:37]
	v_fmac_f64_e32 v[0:1], v[22:23], v[20:21]
	v_cvt_f64_f32_e32 v[18:19], v26
	v_cvt_f64_f32_e32 v[20:21], v27
	v_fmac_f64_e32 v[30:31], v[18:19], v[14:15]
	v_fmac_f64_e32 v[0:1], v[20:21], v[14:15]
	;; [unrolled: 6-line block ×3, first 2 shown]
	global_load_dword v10, v[58:59], off offset:64
	v_fma_f64 v[72:73], -v[16:17], v[12:13], v[22:23]
	v_fmac_f64_e32 v[0:1], v[14:15], v[12:13]
	s_waitcnt vmcnt(0)
	v_subrev_u32_e32 v10, s12, v10
	v_lshlrev_b32_e32 v26, 2, v10
	v_ashrrev_i32_e32 v27, 31, v26
	global_load_dwordx4 v[10:13], v[52:53], off offset:2096
	global_load_dwordx4 v[14:17], v[52:53], off offset:2080
	;; [unrolled: 1-line block ×4, first 2 shown]
	v_lshl_add_u64 v[56:57], v[26:27], 4, s[4:5]
	global_load_dwordx4 v[26:29], v[56:57], off offset:48
	global_load_dwordx4 v[30:33], v[56:57], off offset:32
	;; [unrolled: 1-line block ×3, first 2 shown]
	global_load_dwordx4 v[66:69], v[56:57], off
	s_waitcnt vmcnt(4)
	v_cvt_f64_f32_e32 v[54:55], v22
	v_cvt_f64_f32_e32 v[22:23], v23
	s_waitcnt vmcnt(0)
	v_fmac_f64_e32 v[60:61], v[54:55], v[66:67]
	v_fmac_f64_e32 v[44:45], v[22:23], v[66:67]
	v_fma_f64 v[56:57], -v[22:23], v[68:69], v[60:61]
	v_fmac_f64_e32 v[44:45], v[54:55], v[68:69]
	v_cvt_f64_f32_e32 v[22:23], v24
	v_cvt_f64_f32_e32 v[24:25], v25
	v_fmac_f64_e32 v[56:57], v[22:23], v[34:35]
	v_fmac_f64_e32 v[44:45], v[24:25], v[34:35]
	v_fma_f64 v[54:55], -v[24:25], v[36:37], v[56:57]
	v_fmac_f64_e32 v[44:45], v[22:23], v[36:37]
	v_cvt_f64_f32_e32 v[22:23], v18
	v_cvt_f64_f32_e32 v[18:19], v19
	;; [unrolled: 6-line block ×3, first 2 shown]
	v_fmac_f64_e32 v[44:45], v[20:21], v[26:27]
	v_fmac_f64_e32 v[24:25], v[18:19], v[26:27]
	;; [unrolled: 1-line block ×3, first 2 shown]
	v_cvt_f64_f32_e32 v[18:19], v14
	v_cvt_f64_f32_e32 v[14:15], v15
	v_fmac_f64_e32 v[62:63], v[18:19], v[66:67]
	v_fmac_f64_e32 v[42:43], v[14:15], v[66:67]
	v_fma_f64 v[54:55], -v[20:21], v[28:29], v[24:25]
	v_fma_f64 v[20:21], -v[14:15], v[68:69], v[62:63]
	v_fmac_f64_e32 v[42:43], v[18:19], v[68:69]
	v_cvt_f64_f32_e32 v[14:15], v16
	v_cvt_f64_f32_e32 v[16:17], v17
	v_fmac_f64_e32 v[20:21], v[14:15], v[34:35]
	v_fmac_f64_e32 v[42:43], v[16:17], v[34:35]
	v_fma_f64 v[18:19], -v[16:17], v[36:37], v[20:21]
	v_fmac_f64_e32 v[42:43], v[14:15], v[36:37]
	v_cvt_f64_f32_e32 v[14:15], v10
	v_cvt_f64_f32_e32 v[10:11], v11
	v_fmac_f64_e32 v[18:19], v[14:15], v[30:31]
	v_fmac_f64_e32 v[42:43], v[10:11], v[30:31]
	;; [unrolled: 6-line block ×3, first 2 shown]
	v_fma_f64 v[56:57], -v[12:13], v[28:29], v[16:17]
	v_fmac_f64_e32 v[42:43], v[10:11], v[28:29]
	global_load_dwordx4 v[10:13], v[52:53], off offset:2160
	global_load_dwordx4 v[14:17], v[52:53], off offset:2144
	;; [unrolled: 1-line block ×4, first 2 shown]
	s_waitcnt vmcnt(0)
	v_cvt_f64_f32_e32 v[60:61], v22
	v_cvt_f64_f32_e32 v[22:23], v23
	v_fmac_f64_e32 v[70:71], v[60:61], v[66:67]
	v_fmac_f64_e32 v[40:41], v[22:23], v[66:67]
	v_fma_f64 v[62:63], -v[22:23], v[68:69], v[70:71]
	v_fmac_f64_e32 v[40:41], v[60:61], v[68:69]
	v_cvt_f64_f32_e32 v[22:23], v24
	v_cvt_f64_f32_e32 v[24:25], v25
	v_fmac_f64_e32 v[62:63], v[22:23], v[34:35]
	v_fmac_f64_e32 v[40:41], v[24:25], v[34:35]
	v_fma_f64 v[60:61], -v[24:25], v[36:37], v[62:63]
	v_fmac_f64_e32 v[40:41], v[22:23], v[36:37]
	v_cvt_f64_f32_e32 v[22:23], v18
	v_cvt_f64_f32_e32 v[18:19], v19
	v_fmac_f64_e32 v[60:61], v[22:23], v[30:31]
	v_fmac_f64_e32 v[40:41], v[18:19], v[30:31]
	v_fma_f64 v[24:25], -v[18:19], v[32:33], v[60:61]
	v_fmac_f64_e32 v[40:41], v[22:23], v[32:33]
	v_cvt_f64_f32_e32 v[18:19], v20
	v_cvt_f64_f32_e32 v[20:21], v21
	v_fmac_f64_e32 v[40:41], v[20:21], v[26:27]
	v_fmac_f64_e32 v[24:25], v[18:19], v[26:27]
	;; [unrolled: 1-line block ×3, first 2 shown]
	v_cvt_f64_f32_e32 v[18:19], v14
	v_cvt_f64_f32_e32 v[14:15], v15
	v_fmac_f64_e32 v[72:73], v[18:19], v[66:67]
	v_fmac_f64_e32 v[0:1], v[14:15], v[66:67]
	v_fma_f64 v[62:63], -v[20:21], v[28:29], v[24:25]
	v_fma_f64 v[20:21], -v[14:15], v[68:69], v[72:73]
	v_fmac_f64_e32 v[0:1], v[18:19], v[68:69]
	v_cvt_f64_f32_e32 v[14:15], v16
	v_cvt_f64_f32_e32 v[16:17], v17
	v_fmac_f64_e32 v[20:21], v[14:15], v[34:35]
	v_fmac_f64_e32 v[0:1], v[16:17], v[34:35]
	v_fma_f64 v[18:19], -v[16:17], v[36:37], v[20:21]
	v_fmac_f64_e32 v[0:1], v[14:15], v[36:37]
	v_cvt_f64_f32_e32 v[14:15], v10
	v_cvt_f64_f32_e32 v[10:11], v11
	v_fmac_f64_e32 v[18:19], v[14:15], v[30:31]
	v_fmac_f64_e32 v[0:1], v[10:11], v[30:31]
	;; [unrolled: 6-line block ×3, first 2 shown]
	v_fmac_f64_e32 v[0:1], v[10:11], v[28:29]
	global_load_dword v10, v[58:59], off offset:96
	v_fma_f64 v[60:61], -v[12:13], v[28:29], v[16:17]
	s_waitcnt vmcnt(0)
	v_subrev_u32_e32 v10, s12, v10
	v_lshlrev_b32_e32 v22, 2, v10
	v_ashrrev_i32_e32 v23, 31, v22
	global_load_dwordx4 v[10:13], v[52:53], off offset:3120
	global_load_dwordx4 v[14:17], v[52:53], off offset:3104
	;; [unrolled: 1-line block ×4, first 2 shown]
	v_lshl_add_u64 v[70:71], v[22:23], 4, s[4:5]
	global_load_dwordx4 v[22:25], v[70:71], off offset:48
	global_load_dwordx4 v[26:29], v[70:71], off offset:32
	;; [unrolled: 1-line block ×3, first 2 shown]
	global_load_dwordx4 v[34:37], v[70:71], off
	s_waitcnt vmcnt(4)
	v_cvt_f64_f32_e32 v[58:59], v66
	v_cvt_f64_f32_e32 v[66:67], v67
	s_waitcnt vmcnt(0)
	v_fmac_f64_e32 v[54:55], v[58:59], v[34:35]
	v_fmac_f64_e32 v[44:45], v[66:67], v[34:35]
	v_fma_f64 v[54:55], -v[66:67], v[36:37], v[54:55]
	v_fmac_f64_e32 v[44:45], v[58:59], v[36:37]
	v_cvt_f64_f32_e32 v[58:59], v68
	v_cvt_f64_f32_e32 v[66:67], v69
	v_fmac_f64_e32 v[54:55], v[58:59], v[30:31]
	v_fmac_f64_e32 v[44:45], v[66:67], v[30:31]
	v_fma_f64 v[54:55], -v[66:67], v[32:33], v[54:55]
	v_fmac_f64_e32 v[44:45], v[58:59], v[32:33]
	v_cvt_f64_f32_e32 v[58:59], v18
	v_cvt_f64_f32_e32 v[18:19], v19
	;; [unrolled: 6-line block ×3, first 2 shown]
	v_fmac_f64_e32 v[44:45], v[20:21], v[22:23]
	v_fmac_f64_e32 v[54:55], v[18:19], v[22:23]
	;; [unrolled: 1-line block ×3, first 2 shown]
	v_cvt_f64_f32_e32 v[18:19], v14
	v_cvt_f64_f32_e32 v[14:15], v15
	v_fmac_f64_e32 v[56:57], v[18:19], v[34:35]
	v_fmac_f64_e32 v[42:43], v[14:15], v[34:35]
	v_fma_f64 v[54:55], -v[20:21], v[24:25], v[54:55]
	v_fma_f64 v[20:21], -v[14:15], v[36:37], v[56:57]
	v_fmac_f64_e32 v[42:43], v[18:19], v[36:37]
	v_cvt_f64_f32_e32 v[14:15], v16
	v_cvt_f64_f32_e32 v[16:17], v17
	v_fmac_f64_e32 v[20:21], v[14:15], v[30:31]
	v_fmac_f64_e32 v[42:43], v[16:17], v[30:31]
	v_fma_f64 v[18:19], -v[16:17], v[32:33], v[20:21]
	v_fmac_f64_e32 v[42:43], v[14:15], v[32:33]
	v_cvt_f64_f32_e32 v[14:15], v10
	v_cvt_f64_f32_e32 v[10:11], v11
	v_fmac_f64_e32 v[18:19], v[14:15], v[26:27]
	v_fmac_f64_e32 v[42:43], v[10:11], v[26:27]
	;; [unrolled: 6-line block ×3, first 2 shown]
	v_fma_f64 v[56:57], -v[12:13], v[24:25], v[16:17]
	v_fmac_f64_e32 v[42:43], v[10:11], v[24:25]
	global_load_dwordx4 v[10:13], v[52:53], off offset:3184
	global_load_dwordx4 v[14:17], v[52:53], off offset:3168
	;; [unrolled: 1-line block ×4, first 2 shown]
	v_lshl_add_u64 v[52:53], v[52:53], 0, s[16:17]
	s_waitcnt vmcnt(0)
	v_cvt_f64_f32_e32 v[58:59], v66
	v_cvt_f64_f32_e32 v[66:67], v67
	v_fmac_f64_e32 v[62:63], v[58:59], v[34:35]
	v_fmac_f64_e32 v[40:41], v[66:67], v[34:35]
	v_fma_f64 v[62:63], -v[66:67], v[36:37], v[62:63]
	v_fmac_f64_e32 v[40:41], v[58:59], v[36:37]
	v_cvt_f64_f32_e32 v[66:67], v69
	v_cvt_f64_f32_e32 v[58:59], v68
	v_fmac_f64_e32 v[40:41], v[66:67], v[30:31]
	v_fmac_f64_e32 v[62:63], v[58:59], v[30:31]
	;; [unrolled: 1-line block ×3, first 2 shown]
	v_cvt_f64_f32_e32 v[58:59], v18
	v_cvt_f64_f32_e32 v[18:19], v19
	v_fma_f64 v[62:63], -v[66:67], v[32:33], v[62:63]
	v_fmac_f64_e32 v[40:41], v[18:19], v[26:27]
	v_fmac_f64_e32 v[62:63], v[58:59], v[26:27]
	;; [unrolled: 1-line block ×3, first 2 shown]
	v_cvt_f64_f32_e32 v[58:59], v21
	v_fma_f64 v[62:63], -v[18:19], v[28:29], v[62:63]
	v_cvt_f64_f32_e32 v[18:19], v20
	v_fmac_f64_e32 v[40:41], v[58:59], v[22:23]
	v_fmac_f64_e32 v[62:63], v[18:19], v[22:23]
	;; [unrolled: 1-line block ×3, first 2 shown]
	v_cvt_f64_f32_e32 v[18:19], v14
	v_cvt_f64_f32_e32 v[14:15], v15
	v_fmac_f64_e32 v[60:61], v[18:19], v[34:35]
	v_fmac_f64_e32 v[0:1], v[14:15], v[34:35]
	v_fma_f64 v[20:21], -v[58:59], v[24:25], v[62:63]
	v_fma_f64 v[58:59], -v[14:15], v[36:37], v[60:61]
	v_fmac_f64_e32 v[0:1], v[18:19], v[36:37]
	v_cvt_f64_f32_e32 v[14:15], v16
	v_cvt_f64_f32_e32 v[16:17], v17
	v_fmac_f64_e32 v[58:59], v[14:15], v[30:31]
	v_fmac_f64_e32 v[0:1], v[16:17], v[30:31]
	v_fma_f64 v[18:19], -v[16:17], v[32:33], v[58:59]
	v_fmac_f64_e32 v[0:1], v[14:15], v[32:33]
	v_cvt_f64_f32_e32 v[14:15], v10
	v_cvt_f64_f32_e32 v[10:11], v11
	v_fmac_f64_e32 v[18:19], v[14:15], v[26:27]
	v_fmac_f64_e32 v[0:1], v[10:11], v[26:27]
	;; [unrolled: 6-line block ×3, first 2 shown]
	v_fma_f64 v[18:19], -v[12:13], v[24:25], v[16:17]
	v_fmac_f64_e32 v[0:1], v[10:11], v[24:25]
	s_andn2_b64 exec, exec, s[14:15]
	s_cbranch_execnz .LBB166_19
; %bb.20:
	s_or_b64 exec, exec, s[14:15]
.LBB166_21:
	s_or_b64 exec, exec, s[10:11]
.LBB166_22:
	s_or_b64 exec, exec, s[6:7]
	s_cbranch_execz .LBB166_24
	s_branch .LBB166_35
.LBB166_23:
                                        ; implicit-def: $vgpr44_vgpr45
                                        ; implicit-def: $vgpr54_vgpr55
                                        ; implicit-def: $vgpr42_vgpr43
                                        ; implicit-def: $vgpr56_vgpr57
                                        ; implicit-def: $vgpr40_vgpr41
                                        ; implicit-def: $vgpr20_vgpr21
                                        ; implicit-def: $vgpr0_vgpr1
                                        ; implicit-def: $vgpr18_vgpr19
.LBB166_24:
	v_mov_b64_e32 v[44:45], 0
	v_mov_b64_e32 v[54:55], 0
	;; [unrolled: 1-line block ×8, first 2 shown]
	s_and_saveexec_b64 s[6:7], s[2:3]
	s_cbranch_execz .LBB166_34
; %bb.25:
	v_add_u32_e32 v0, v65, v39
	v_subrev_u32_e32 v0, s12, v0
	v_add_u32_e32 v0, 8, v0
	v_max_i32_e32 v0, v0, v64
	v_not_b32_e32 v1, v65
	v_add3_u32 v0, s12, v0, v1
	v_sub_u32_e32 v14, v0, v39
	v_and_b32_e32 v0, 24, v14
	v_cmp_ne_u32_e32 vcc, 24, v0
	v_mov_b64_e32 v[18:19], 0
	v_mov_b64_e32 v[0:1], 0
	;; [unrolled: 1-line block ×8, first 2 shown]
	s_and_saveexec_b64 s[2:3], vcc
	s_cbranch_execz .LBB166_29
; %bb.26:
	v_lshrrev_b32_e32 v0, 3, v14
	v_add_u32_e32 v0, 1, v0
	v_and_b32_e32 v0, 3, v0
	v_sub_u32_e32 v15, 0, v0
	v_mov_b64_e32 v[44:45], 0
	s_mov_b64 s[10:11], 0
	s_mov_b64 s[14:15], 0x400
	v_mov_b64_e32 v[54:55], 0
	v_mov_b64_e32 v[42:43], 0
	;; [unrolled: 1-line block ×7, first 2 shown]
.LBB166_27:                             ; =>This Inner Loop Header: Depth=1
	global_load_dwordx4 v[22:25], v[48:49], off
	global_load_dwordx4 v[26:29], v[48:49], off offset:16
	global_load_dwordx4 v[30:33], v[48:49], off offset:32
	;; [unrolled: 1-line block ×4, first 2 shown]
	v_ashrrev_i32_e32 v47, 31, v46
	v_lshl_add_u64 v[16:17], v[46:47], 2, s[8:9]
	global_load_dword v47, v[16:17], off
	global_load_dwordx4 v[50:53], v[48:49], off offset:80
	global_load_dwordx4 v[58:61], v[48:49], off offset:96
	;; [unrolled: 1-line block ×3, first 2 shown]
	v_add_co_u32_e32 v15, vcc, 1, v15
	v_lshl_add_u64 v[48:49], v[48:49], 0, s[14:15]
	v_add_u32_e32 v46, 8, v46
	s_or_b64 s[10:11], vcc, s[10:11]
	s_waitcnt vmcnt(8)
	v_cvt_f64_f32_e32 v[16:17], v22
	v_cvt_f64_f32_e32 v[62:63], v23
	;; [unrolled: 1-line block ×3, first 2 shown]
	s_waitcnt vmcnt(5)
	v_cvt_f64_f32_e32 v[96:97], v12
	s_waitcnt vmcnt(3)
	v_subrev_u32_e32 v12, s12, v47
	v_lshlrev_b32_e32 v22, 2, v12
	v_ashrrev_i32_e32 v23, 31, v22
	s_waitcnt lgkmcnt(0)
	v_lshl_add_u64 v[98:99], v[22:23], 4, s[4:5]
	v_cvt_f64_f32_e32 v[76:77], v25
	v_cvt_f64_f32_e32 v[78:79], v26
	;; [unrolled: 1-line block ×9, first 2 shown]
	global_load_dwordx4 v[22:25], v[98:99], off
	global_load_dwordx4 v[26:29], v[98:99], off offset:16
	global_load_dwordx4 v[30:33], v[98:99], off offset:32
	;; [unrolled: 1-line block ×3, first 2 shown]
	v_cvt_f64_f32_e32 v[94:95], v10
	v_cvt_f64_f32_e32 v[10:11], v11
	;; [unrolled: 1-line block ×7, first 2 shown]
	s_waitcnt vmcnt(6)
	v_cvt_f64_f32_e32 v[102:103], v50
	v_cvt_f64_f32_e32 v[50:51], v51
	v_cvt_f64_f32_e32 v[104:105], v52
	v_cvt_f64_f32_e32 v[52:53], v53
	s_waitcnt vmcnt(5)
	v_cvt_f64_f32_e32 v[106:107], v58
	v_cvt_f64_f32_e32 v[58:59], v59
	v_cvt_f64_f32_e32 v[108:109], v60
	v_cvt_f64_f32_e32 v[60:61], v61
	s_waitcnt vmcnt(4)
	v_cvt_f64_f32_e32 v[110:111], v66
	v_cvt_f64_f32_e32 v[66:67], v67
	v_cvt_f64_f32_e32 v[112:113], v68
	v_cvt_f64_f32_e32 v[68:69], v69
	s_waitcnt vmcnt(3)
	v_fmac_f64_e32 v[54:55], v[16:17], v[22:23]
	v_fmac_f64_e32 v[44:45], v[62:63], v[22:23]
	v_fmac_f64_e32 v[56:57], v[74:75], v[22:23]
	v_fmac_f64_e32 v[42:43], v[76:77], v[22:23]
	v_fmac_f64_e32 v[20:21], v[78:79], v[22:23]
	v_fmac_f64_e32 v[40:41], v[80:81], v[22:23]
	v_fmac_f64_e32 v[18:19], v[82:83], v[22:23]
	v_fmac_f64_e32 v[0:1], v[84:85], v[22:23]
	v_fma_f64 v[22:23], -v[62:63], v[24:25], v[54:55]
	v_fmac_f64_e32 v[44:45], v[16:17], v[24:25]
	v_fma_f64 v[16:17], -v[76:77], v[24:25], v[56:57]
	v_fmac_f64_e32 v[42:43], v[74:75], v[24:25]
	v_fma_f64 v[20:21], -v[80:81], v[24:25], v[20:21]
	v_fmac_f64_e32 v[40:41], v[78:79], v[24:25]
	v_fma_f64 v[18:19], -v[84:85], v[24:25], v[18:19]
	v_fmac_f64_e32 v[0:1], v[82:83], v[24:25]
	s_waitcnt vmcnt(2)
	v_fmac_f64_e32 v[22:23], v[86:87], v[26:27]
	v_fmac_f64_e32 v[44:45], v[88:89], v[26:27]
	v_fmac_f64_e32 v[16:17], v[90:91], v[26:27]
	v_fmac_f64_e32 v[42:43], v[92:93], v[26:27]
	v_fmac_f64_e32 v[20:21], v[94:95], v[26:27]
	v_fmac_f64_e32 v[40:41], v[10:11], v[26:27]
	v_fmac_f64_e32 v[18:19], v[96:97], v[26:27]
	v_fmac_f64_e32 v[0:1], v[12:13], v[26:27]
	v_fma_f64 v[22:23], -v[88:89], v[28:29], v[22:23]
	v_fmac_f64_e32 v[44:45], v[86:87], v[28:29]
	v_fma_f64 v[16:17], -v[92:93], v[28:29], v[16:17]
	v_fmac_f64_e32 v[42:43], v[90:91], v[28:29]
	v_fma_f64 v[10:11], -v[10:11], v[28:29], v[20:21]
	v_fmac_f64_e32 v[40:41], v[94:95], v[28:29]
	v_fma_f64 v[12:13], -v[12:13], v[28:29], v[18:19]
	v_fmac_f64_e32 v[0:1], v[96:97], v[28:29]
	;; [unrolled: 17-line block ×4, first 2 shown]
	s_andn2_b64 exec, exec, s[10:11]
	s_cbranch_execnz .LBB166_27
; %bb.28:
	s_or_b64 exec, exec, s[10:11]
.LBB166_29:
	s_or_b64 exec, exec, s[2:3]
	v_cmp_lt_u32_e32 vcc, 23, v14
	s_and_saveexec_b64 s[2:3], vcc
	s_cbranch_execz .LBB166_33
; %bb.30:
	s_mov_b64 s[10:11], 0
	s_mov_b64 s[14:15], 0x1000
.LBB166_31:                             ; =>This Inner Loop Header: Depth=1
	v_ashrrev_i32_e32 v47, 31, v46
	v_lshl_add_u64 v[30:31], v[46:47], 2, s[8:9]
	global_load_dword v10, v[30:31], off
	global_load_dwordx4 v[14:17], v[48:49], off offset:48
	global_load_dwordx4 v[22:25], v[48:49], off offset:32
	global_load_dwordx4 v[26:29], v[48:49], off offset:16
	global_load_dwordx4 v[32:35], v[48:49], off
	v_add_u32_e32 v46, 32, v46
	v_cmp_ge_i32_e32 vcc, v46, v64
	s_or_b64 s[10:11], vcc, s[10:11]
	s_waitcnt vmcnt(4)
	v_subrev_u32_e32 v10, s12, v10
	v_lshlrev_b32_e32 v10, 2, v10
	v_ashrrev_i32_e32 v11, 31, v10
	s_waitcnt lgkmcnt(0)
	v_lshl_add_u64 v[62:63], v[10:11], 4, s[4:5]
	global_load_dwordx4 v[10:13], v[62:63], off offset:48
	global_load_dwordx4 v[50:53], v[62:63], off offset:32
	;; [unrolled: 1-line block ×3, first 2 shown]
	global_load_dwordx4 v[66:69], v[62:63], off
	s_waitcnt vmcnt(4)
	v_cvt_f64_f32_e32 v[36:37], v32
	v_cvt_f64_f32_e32 v[32:33], v33
	s_waitcnt vmcnt(0)
	v_fmac_f64_e32 v[54:55], v[36:37], v[66:67]
	v_fma_f64 v[54:55], -v[32:33], v[68:69], v[54:55]
	v_fmac_f64_e32 v[44:45], v[32:33], v[66:67]
	v_cvt_f64_f32_e32 v[32:33], v34
	v_cvt_f64_f32_e32 v[34:35], v35
	v_fmac_f64_e32 v[42:43], v[34:35], v[66:67]
	v_fmac_f64_e32 v[56:57], v[32:33], v[66:67]
	;; [unrolled: 1-line block ×3, first 2 shown]
	v_cvt_f64_f32_e32 v[32:33], v26
	v_cvt_f64_f32_e32 v[26:27], v27
	v_fmac_f64_e32 v[20:21], v[32:33], v[66:67]
	v_fma_f64 v[20:21], -v[26:27], v[68:69], v[20:21]
	v_fmac_f64_e32 v[40:41], v[26:27], v[66:67]
	v_cvt_f64_f32_e32 v[26:27], v28
	v_cvt_f64_f32_e32 v[28:29], v29
	v_fmac_f64_e32 v[0:1], v[28:29], v[66:67]
	v_fmac_f64_e32 v[18:19], v[26:27], v[66:67]
	;; [unrolled: 1-line block ×3, first 2 shown]
	v_cvt_f64_f32_e32 v[26:27], v22
	v_fmac_f64_e32 v[44:45], v[36:37], v[68:69]
	v_cvt_f64_f32_e32 v[22:23], v23
	v_fmac_f64_e32 v[54:55], v[26:27], v[58:59]
	v_fmac_f64_e32 v[40:41], v[32:33], v[68:69]
	v_fma_f64 v[32:33], -v[22:23], v[60:61], v[54:55]
	v_fmac_f64_e32 v[44:45], v[22:23], v[58:59]
	v_cvt_f64_f32_e32 v[22:23], v24
	v_cvt_f64_f32_e32 v[24:25], v25
	v_fma_f64 v[36:37], -v[34:35], v[68:69], v[56:57]
	v_fmac_f64_e32 v[42:43], v[24:25], v[58:59]
	v_fmac_f64_e32 v[36:37], v[22:23], v[58:59]
	;; [unrolled: 1-line block ×3, first 2 shown]
	v_cvt_f64_f32_e32 v[22:23], v14
	v_cvt_f64_f32_e32 v[14:15], v15
	v_fmac_f64_e32 v[20:21], v[22:23], v[58:59]
	v_fma_f64 v[18:19], -v[28:29], v[68:69], v[18:19]
	v_fma_f64 v[34:35], -v[24:25], v[60:61], v[36:37]
	;; [unrolled: 1-line block ×3, first 2 shown]
	v_fmac_f64_e32 v[40:41], v[14:15], v[58:59]
	v_cvt_f64_f32_e32 v[14:15], v16
	v_cvt_f64_f32_e32 v[16:17], v17
	v_fmac_f64_e32 v[18:19], v[14:15], v[58:59]
	v_fmac_f64_e32 v[0:1], v[16:17], v[58:59]
	;; [unrolled: 1-line block ×4, first 2 shown]
	v_fma_f64 v[54:55], -v[16:17], v[60:61], v[18:19]
	v_fmac_f64_e32 v[0:1], v[14:15], v[60:61]
	global_load_dwordx4 v[14:17], v[48:49], off offset:112
	global_load_dwordx4 v[18:21], v[48:49], off offset:96
	;; [unrolled: 1-line block ×4, first 2 shown]
	s_waitcnt vmcnt(0)
	v_cvt_f64_f32_e32 v[56:57], v26
	v_cvt_f64_f32_e32 v[26:27], v27
	v_fmac_f64_e32 v[32:33], v[56:57], v[50:51]
	v_fma_f64 v[32:33], -v[26:27], v[52:53], v[32:33]
	v_fmac_f64_e32 v[44:45], v[26:27], v[50:51]
	v_cvt_f64_f32_e32 v[26:27], v28
	v_cvt_f64_f32_e32 v[28:29], v29
	v_fmac_f64_e32 v[42:43], v[28:29], v[50:51]
	v_fmac_f64_e32 v[34:35], v[26:27], v[50:51]
	v_fmac_f64_e32 v[42:43], v[26:27], v[52:53]
	v_cvt_f64_f32_e32 v[26:27], v22
	v_cvt_f64_f32_e32 v[22:23], v23
	v_fmac_f64_e32 v[36:37], v[26:27], v[50:51]
	v_fma_f64 v[34:35], -v[28:29], v[52:53], v[34:35]
	v_fma_f64 v[28:29], -v[22:23], v[52:53], v[36:37]
	v_fmac_f64_e32 v[40:41], v[22:23], v[50:51]
	v_cvt_f64_f32_e32 v[22:23], v24
	v_cvt_f64_f32_e32 v[24:25], v25
	v_fmac_f64_e32 v[0:1], v[24:25], v[50:51]
	v_fmac_f64_e32 v[54:55], v[22:23], v[50:51]
	;; [unrolled: 1-line block ×3, first 2 shown]
	v_cvt_f64_f32_e32 v[22:23], v18
	v_fmac_f64_e32 v[44:45], v[56:57], v[52:53]
	v_cvt_f64_f32_e32 v[18:19], v19
	v_fmac_f64_e32 v[32:33], v[22:23], v[10:11]
	v_fma_f64 v[36:37], -v[18:19], v[12:13], v[32:33]
	v_fmac_f64_e32 v[44:45], v[18:19], v[10:11]
	v_cvt_f64_f32_e32 v[18:19], v20
	v_cvt_f64_f32_e32 v[20:21], v21
	v_fmac_f64_e32 v[42:43], v[20:21], v[10:11]
	v_fmac_f64_e32 v[34:35], v[18:19], v[10:11]
	;; [unrolled: 1-line block ×3, first 2 shown]
	v_cvt_f64_f32_e32 v[18:19], v14
	v_fmac_f64_e32 v[40:41], v[26:27], v[52:53]
	v_cvt_f64_f32_e32 v[14:15], v15
	v_fmac_f64_e32 v[28:29], v[18:19], v[10:11]
	v_fma_f64 v[26:27], -v[24:25], v[52:53], v[54:55]
	v_fma_f64 v[60:61], -v[14:15], v[12:13], v[28:29]
	v_fmac_f64_e32 v[40:41], v[14:15], v[10:11]
	v_cvt_f64_f32_e32 v[14:15], v16
	v_cvt_f64_f32_e32 v[16:17], v17
	v_fmac_f64_e32 v[26:27], v[14:15], v[10:11]
	v_fmac_f64_e32 v[0:1], v[16:17], v[10:11]
	global_load_dword v10, v[30:31], off offset:32
	v_fmac_f64_e32 v[44:45], v[22:23], v[12:13]
	v_fma_f64 v[50:51], -v[20:21], v[12:13], v[34:35]
	v_fmac_f64_e32 v[40:41], v[18:19], v[12:13]
	v_fma_f64 v[62:63], -v[16:17], v[12:13], v[26:27]
	global_load_dwordx4 v[18:21], v[48:49], off offset:1072
	global_load_dwordx4 v[22:25], v[48:49], off offset:1056
	;; [unrolled: 1-line block ×4, first 2 shown]
	v_fmac_f64_e32 v[0:1], v[14:15], v[12:13]
	s_waitcnt vmcnt(4)
	v_subrev_u32_e32 v10, s12, v10
	v_lshlrev_b32_e32 v10, 2, v10
	v_ashrrev_i32_e32 v11, 31, v10
	v_lshl_add_u64 v[68:69], v[10:11], 4, s[4:5]
	global_load_dwordx4 v[10:13], v[68:69], off offset:48
	global_load_dwordx4 v[14:17], v[68:69], off offset:32
	;; [unrolled: 1-line block ×3, first 2 shown]
	global_load_dwordx4 v[56:59], v[68:69], off
	s_waitcnt vmcnt(4)
	v_cvt_f64_f32_e32 v[66:67], v32
	v_cvt_f64_f32_e32 v[32:33], v33
	s_waitcnt vmcnt(0)
	v_fmac_f64_e32 v[36:37], v[66:67], v[56:57]
	v_fma_f64 v[36:37], -v[32:33], v[58:59], v[36:37]
	v_fmac_f64_e32 v[44:45], v[32:33], v[56:57]
	v_cvt_f64_f32_e32 v[32:33], v34
	v_cvt_f64_f32_e32 v[34:35], v35
	v_fmac_f64_e32 v[42:43], v[34:35], v[56:57]
	v_fmac_f64_e32 v[50:51], v[32:33], v[56:57]
	;; [unrolled: 1-line block ×3, first 2 shown]
	v_cvt_f64_f32_e32 v[32:33], v26
	v_cvt_f64_f32_e32 v[26:27], v27
	v_fmac_f64_e32 v[60:61], v[32:33], v[56:57]
	v_fmac_f64_e32 v[44:45], v[66:67], v[58:59]
	v_fma_f64 v[66:67], -v[34:35], v[58:59], v[50:51]
	v_fma_f64 v[34:35], -v[26:27], v[58:59], v[60:61]
	v_fmac_f64_e32 v[40:41], v[26:27], v[56:57]
	v_cvt_f64_f32_e32 v[26:27], v28
	v_cvt_f64_f32_e32 v[28:29], v29
	v_fmac_f64_e32 v[0:1], v[28:29], v[56:57]
	v_fmac_f64_e32 v[62:63], v[26:27], v[56:57]
	;; [unrolled: 1-line block ×3, first 2 shown]
	v_cvt_f64_f32_e32 v[26:27], v22
	v_cvt_f64_f32_e32 v[22:23], v23
	v_fmac_f64_e32 v[36:37], v[26:27], v[52:53]
	v_fma_f64 v[50:51], -v[22:23], v[54:55], v[36:37]
	v_fmac_f64_e32 v[44:45], v[22:23], v[52:53]
	v_cvt_f64_f32_e32 v[22:23], v24
	v_cvt_f64_f32_e32 v[24:25], v25
	v_fmac_f64_e32 v[42:43], v[24:25], v[52:53]
	v_fmac_f64_e32 v[66:67], v[22:23], v[52:53]
	v_fmac_f64_e32 v[42:43], v[22:23], v[54:55]
	v_cvt_f64_f32_e32 v[22:23], v18
	v_fmac_f64_e32 v[40:41], v[32:33], v[58:59]
	v_cvt_f64_f32_e32 v[18:19], v19
	v_fmac_f64_e32 v[34:35], v[22:23], v[52:53]
	v_fma_f64 v[60:61], -v[28:29], v[58:59], v[62:63]
	v_fma_f64 v[34:35], -v[18:19], v[54:55], v[34:35]
	v_fmac_f64_e32 v[40:41], v[18:19], v[52:53]
	v_cvt_f64_f32_e32 v[18:19], v20
	v_cvt_f64_f32_e32 v[20:21], v21
	v_fmac_f64_e32 v[60:61], v[18:19], v[52:53]
	v_fmac_f64_e32 v[0:1], v[20:21], v[52:53]
	;; [unrolled: 1-line block ×3, first 2 shown]
	v_fma_f64 v[32:33], -v[24:25], v[54:55], v[66:67]
	v_fmac_f64_e32 v[40:41], v[22:23], v[54:55]
	v_fma_f64 v[36:37], -v[20:21], v[54:55], v[60:61]
	v_fmac_f64_e32 v[0:1], v[18:19], v[54:55]
	global_load_dwordx4 v[18:21], v[48:49], off offset:1136
	global_load_dwordx4 v[22:25], v[48:49], off offset:1120
	;; [unrolled: 1-line block ×4, first 2 shown]
	s_waitcnt vmcnt(0)
	v_cvt_f64_f32_e32 v[56:57], v52
	v_cvt_f64_f32_e32 v[52:53], v53
	v_fmac_f64_e32 v[50:51], v[56:57], v[14:15]
	v_fma_f64 v[50:51], -v[52:53], v[16:17], v[50:51]
	v_fmac_f64_e32 v[44:45], v[52:53], v[14:15]
	v_cvt_f64_f32_e32 v[52:53], v54
	v_cvt_f64_f32_e32 v[54:55], v55
	v_fmac_f64_e32 v[42:43], v[54:55], v[14:15]
	v_fmac_f64_e32 v[32:33], v[52:53], v[14:15]
	;; [unrolled: 1-line block ×3, first 2 shown]
	v_cvt_f64_f32_e32 v[52:53], v26
	v_cvt_f64_f32_e32 v[26:27], v27
	v_fmac_f64_e32 v[34:35], v[52:53], v[14:15]
	v_fma_f64 v[34:35], -v[26:27], v[16:17], v[34:35]
	v_fmac_f64_e32 v[40:41], v[26:27], v[14:15]
	v_cvt_f64_f32_e32 v[26:27], v28
	v_cvt_f64_f32_e32 v[28:29], v29
	v_fmac_f64_e32 v[36:37], v[26:27], v[14:15]
	v_fmac_f64_e32 v[0:1], v[28:29], v[14:15]
	;; [unrolled: 1-line block ×3, first 2 shown]
	v_fma_f64 v[32:33], -v[54:55], v[16:17], v[32:33]
	v_fmac_f64_e32 v[40:41], v[52:53], v[16:17]
	v_fma_f64 v[36:37], -v[28:29], v[16:17], v[36:37]
	v_fmac_f64_e32 v[0:1], v[26:27], v[16:17]
	v_cvt_f64_f32_e32 v[14:15], v22
	v_cvt_f64_f32_e32 v[16:17], v23
	v_fmac_f64_e32 v[50:51], v[14:15], v[10:11]
	v_fmac_f64_e32 v[44:45], v[16:17], v[10:11]
	v_fma_f64 v[58:59], -v[16:17], v[12:13], v[50:51]
	v_fmac_f64_e32 v[44:45], v[14:15], v[12:13]
	v_cvt_f64_f32_e32 v[14:15], v24
	v_cvt_f64_f32_e32 v[16:17], v25
	v_fmac_f64_e32 v[32:33], v[14:15], v[10:11]
	v_fmac_f64_e32 v[42:43], v[16:17], v[10:11]
	v_fma_f64 v[60:61], -v[16:17], v[12:13], v[32:33]
	v_fmac_f64_e32 v[42:43], v[14:15], v[12:13]
	v_cvt_f64_f32_e32 v[14:15], v18
	v_cvt_f64_f32_e32 v[16:17], v19
	v_fmac_f64_e32 v[34:35], v[14:15], v[10:11]
	v_fmac_f64_e32 v[40:41], v[16:17], v[10:11]
	v_fma_f64 v[62:63], -v[16:17], v[12:13], v[34:35]
	v_fmac_f64_e32 v[40:41], v[14:15], v[12:13]
	v_cvt_f64_f32_e32 v[14:15], v20
	v_cvt_f64_f32_e32 v[16:17], v21
	v_fmac_f64_e32 v[36:37], v[14:15], v[10:11]
	v_fmac_f64_e32 v[0:1], v[16:17], v[10:11]
	global_load_dword v10, v[30:31], off offset:64
	v_fma_f64 v[36:37], -v[16:17], v[12:13], v[36:37]
	v_fmac_f64_e32 v[0:1], v[14:15], v[12:13]
	s_waitcnt vmcnt(0)
	v_subrev_u32_e32 v10, s12, v10
	v_lshlrev_b32_e32 v26, 2, v10
	v_ashrrev_i32_e32 v27, 31, v26
	global_load_dwordx4 v[10:13], v[48:49], off offset:2096
	global_load_dwordx4 v[14:17], v[48:49], off offset:2080
	;; [unrolled: 1-line block ×4, first 2 shown]
	v_lshl_add_u64 v[68:69], v[26:27], 4, s[4:5]
	global_load_dwordx4 v[26:29], v[68:69], off offset:48
	global_load_dwordx4 v[32:35], v[68:69], off offset:32
	global_load_dwordx4 v[50:53], v[68:69], off offset:16
	global_load_dwordx4 v[54:57], v[68:69], off
	s_waitcnt vmcnt(4)
	v_cvt_f64_f32_e32 v[66:67], v22
	v_cvt_f64_f32_e32 v[22:23], v23
	s_waitcnt vmcnt(0)
	v_fmac_f64_e32 v[58:59], v[66:67], v[54:55]
	v_fma_f64 v[58:59], -v[22:23], v[56:57], v[58:59]
	v_fmac_f64_e32 v[44:45], v[22:23], v[54:55]
	v_cvt_f64_f32_e32 v[22:23], v24
	v_cvt_f64_f32_e32 v[24:25], v25
	v_fmac_f64_e32 v[42:43], v[24:25], v[54:55]
	v_fmac_f64_e32 v[60:61], v[22:23], v[54:55]
	;; [unrolled: 1-line block ×3, first 2 shown]
	v_cvt_f64_f32_e32 v[22:23], v18
	v_cvt_f64_f32_e32 v[18:19], v19
	v_fmac_f64_e32 v[62:63], v[22:23], v[54:55]
	v_fma_f64 v[60:61], -v[24:25], v[56:57], v[60:61]
	v_fma_f64 v[24:25], -v[18:19], v[56:57], v[62:63]
	v_fmac_f64_e32 v[40:41], v[18:19], v[54:55]
	v_cvt_f64_f32_e32 v[18:19], v20
	v_cvt_f64_f32_e32 v[20:21], v21
	v_fmac_f64_e32 v[0:1], v[20:21], v[54:55]
	v_fmac_f64_e32 v[36:37], v[18:19], v[54:55]
	;; [unrolled: 1-line block ×3, first 2 shown]
	v_cvt_f64_f32_e32 v[18:19], v14
	v_fmac_f64_e32 v[44:45], v[66:67], v[56:57]
	v_cvt_f64_f32_e32 v[14:15], v15
	v_fmac_f64_e32 v[58:59], v[18:19], v[50:51]
	v_fmac_f64_e32 v[40:41], v[22:23], v[56:57]
	v_fma_f64 v[22:23], -v[20:21], v[56:57], v[36:37]
	v_fma_f64 v[36:37], -v[14:15], v[52:53], v[58:59]
	v_fmac_f64_e32 v[44:45], v[14:15], v[50:51]
	v_cvt_f64_f32_e32 v[14:15], v16
	v_cvt_f64_f32_e32 v[16:17], v17
	v_fmac_f64_e32 v[42:43], v[16:17], v[50:51]
	v_fmac_f64_e32 v[60:61], v[14:15], v[50:51]
	;; [unrolled: 1-line block ×3, first 2 shown]
	v_cvt_f64_f32_e32 v[14:15], v10
	v_cvt_f64_f32_e32 v[10:11], v11
	v_fmac_f64_e32 v[24:25], v[14:15], v[50:51]
	v_fma_f64 v[56:57], -v[10:11], v[52:53], v[24:25]
	v_fmac_f64_e32 v[40:41], v[10:11], v[50:51]
	v_cvt_f64_f32_e32 v[10:11], v12
	v_cvt_f64_f32_e32 v[12:13], v13
	v_fmac_f64_e32 v[22:23], v[10:11], v[50:51]
	v_fmac_f64_e32 v[0:1], v[12:13], v[50:51]
	;; [unrolled: 1-line block ×3, first 2 shown]
	v_fma_f64 v[54:55], -v[16:17], v[52:53], v[60:61]
	v_fmac_f64_e32 v[40:41], v[14:15], v[52:53]
	v_fma_f64 v[58:59], -v[12:13], v[52:53], v[22:23]
	v_fmac_f64_e32 v[0:1], v[10:11], v[52:53]
	global_load_dwordx4 v[10:13], v[48:49], off offset:2160
	global_load_dwordx4 v[14:17], v[48:49], off offset:2144
	;; [unrolled: 1-line block ×4, first 2 shown]
	s_waitcnt vmcnt(0)
	v_cvt_f64_f32_e32 v[50:51], v22
	v_cvt_f64_f32_e32 v[22:23], v23
	v_fmac_f64_e32 v[36:37], v[50:51], v[32:33]
	v_fma_f64 v[36:37], -v[22:23], v[34:35], v[36:37]
	v_fmac_f64_e32 v[44:45], v[22:23], v[32:33]
	v_cvt_f64_f32_e32 v[22:23], v24
	v_cvt_f64_f32_e32 v[24:25], v25
	v_fmac_f64_e32 v[42:43], v[24:25], v[32:33]
	v_fmac_f64_e32 v[54:55], v[22:23], v[32:33]
	;; [unrolled: 1-line block ×3, first 2 shown]
	v_cvt_f64_f32_e32 v[22:23], v18
	v_cvt_f64_f32_e32 v[18:19], v19
	v_fmac_f64_e32 v[56:57], v[22:23], v[32:33]
	v_fma_f64 v[52:53], -v[24:25], v[34:35], v[54:55]
	v_fma_f64 v[24:25], -v[18:19], v[34:35], v[56:57]
	v_fmac_f64_e32 v[40:41], v[18:19], v[32:33]
	v_cvt_f64_f32_e32 v[18:19], v20
	v_cvt_f64_f32_e32 v[20:21], v21
	v_fmac_f64_e32 v[0:1], v[20:21], v[32:33]
	v_fmac_f64_e32 v[58:59], v[18:19], v[32:33]
	v_fmac_f64_e32 v[0:1], v[18:19], v[34:35]
	v_cvt_f64_f32_e32 v[18:19], v14
	v_fmac_f64_e32 v[44:45], v[50:51], v[34:35]
	v_cvt_f64_f32_e32 v[14:15], v15
	v_fmac_f64_e32 v[36:37], v[18:19], v[26:27]
	v_fma_f64 v[50:51], -v[14:15], v[28:29], v[36:37]
	v_fmac_f64_e32 v[44:45], v[14:15], v[26:27]
	v_cvt_f64_f32_e32 v[14:15], v16
	v_cvt_f64_f32_e32 v[16:17], v17
	v_fmac_f64_e32 v[42:43], v[16:17], v[26:27]
	v_fmac_f64_e32 v[52:53], v[14:15], v[26:27]
	;; [unrolled: 1-line block ×3, first 2 shown]
	v_cvt_f64_f32_e32 v[14:15], v10
	v_fmac_f64_e32 v[40:41], v[22:23], v[34:35]
	v_cvt_f64_f32_e32 v[10:11], v11
	v_fmac_f64_e32 v[24:25], v[14:15], v[26:27]
	v_fma_f64 v[22:23], -v[20:21], v[34:35], v[58:59]
	v_fma_f64 v[34:35], -v[10:11], v[28:29], v[24:25]
	v_fmac_f64_e32 v[40:41], v[10:11], v[26:27]
	v_cvt_f64_f32_e32 v[10:11], v12
	v_cvt_f64_f32_e32 v[12:13], v13
	v_fmac_f64_e32 v[0:1], v[12:13], v[26:27]
	v_fmac_f64_e32 v[22:23], v[10:11], v[26:27]
	v_fmac_f64_e32 v[0:1], v[10:11], v[28:29]
	global_load_dword v10, v[30:31], off offset:96
	v_fmac_f64_e32 v[44:45], v[18:19], v[28:29]
	v_fma_f64 v[36:37], -v[16:17], v[28:29], v[52:53]
	v_fmac_f64_e32 v[40:41], v[14:15], v[28:29]
	v_fma_f64 v[32:33], -v[12:13], v[28:29], v[22:23]
	s_waitcnt vmcnt(0)
	v_subrev_u32_e32 v10, s12, v10
	v_lshlrev_b32_e32 v22, 2, v10
	global_load_dwordx4 v[10:13], v[48:49], off offset:3120
	global_load_dwordx4 v[14:17], v[48:49], off offset:3104
	global_load_dwordx4 v[18:21], v[48:49], off offset:3088
	global_load_dwordx4 v[28:31], v[48:49], off offset:3072
	v_ashrrev_i32_e32 v23, 31, v22
	v_lshl_add_u64 v[66:67], v[22:23], 4, s[4:5]
	s_waitcnt vmcnt(0)
	v_cvt_f64_f32_e32 v[60:61], v28
	v_cvt_f64_f32_e32 v[62:63], v29
	global_load_dwordx4 v[22:25], v[66:67], off offset:48
	global_load_dwordx4 v[26:29], v[66:67], off offset:32
	;; [unrolled: 1-line block ×3, first 2 shown]
	global_load_dwordx4 v[56:59], v[66:67], off
	s_waitcnt vmcnt(0)
	v_fmac_f64_e32 v[44:45], v[62:63], v[56:57]
	v_fmac_f64_e32 v[50:51], v[60:61], v[56:57]
	;; [unrolled: 1-line block ×3, first 2 shown]
	v_cvt_f64_f32_e32 v[60:61], v30
	v_cvt_f64_f32_e32 v[30:31], v31
	v_fmac_f64_e32 v[36:37], v[60:61], v[56:57]
	v_fma_f64 v[36:37], -v[30:31], v[58:59], v[36:37]
	v_fmac_f64_e32 v[42:43], v[30:31], v[56:57]
	v_cvt_f64_f32_e32 v[30:31], v18
	v_cvt_f64_f32_e32 v[18:19], v19
	v_fmac_f64_e32 v[34:35], v[30:31], v[56:57]
	v_fma_f64 v[34:35], -v[18:19], v[58:59], v[34:35]
	v_fmac_f64_e32 v[40:41], v[18:19], v[56:57]
	v_cvt_f64_f32_e32 v[18:19], v20
	v_cvt_f64_f32_e32 v[20:21], v21
	v_fmac_f64_e32 v[0:1], v[20:21], v[56:57]
	v_fma_f64 v[50:51], -v[62:63], v[58:59], v[50:51]
	v_fmac_f64_e32 v[32:33], v[18:19], v[56:57]
	v_fmac_f64_e32 v[0:1], v[18:19], v[58:59]
	v_cvt_f64_f32_e32 v[18:19], v14
	v_cvt_f64_f32_e32 v[14:15], v15
	v_fmac_f64_e32 v[50:51], v[18:19], v[52:53]
	v_fmac_f64_e32 v[42:43], v[60:61], v[58:59]
	v_fma_f64 v[50:51], -v[14:15], v[54:55], v[50:51]
	v_fmac_f64_e32 v[44:45], v[14:15], v[52:53]
	v_cvt_f64_f32_e32 v[14:15], v16
	v_cvt_f64_f32_e32 v[16:17], v17
	v_fmac_f64_e32 v[42:43], v[16:17], v[52:53]
	v_fmac_f64_e32 v[36:37], v[14:15], v[52:53]
	;; [unrolled: 1-line block ×3, first 2 shown]
	v_cvt_f64_f32_e32 v[14:15], v10
	v_fmac_f64_e32 v[40:41], v[30:31], v[58:59]
	v_cvt_f64_f32_e32 v[10:11], v11
	v_fmac_f64_e32 v[34:35], v[14:15], v[52:53]
	v_fma_f64 v[30:31], -v[20:21], v[58:59], v[32:33]
	v_fma_f64 v[34:35], -v[10:11], v[54:55], v[34:35]
	v_fmac_f64_e32 v[40:41], v[10:11], v[52:53]
	v_cvt_f64_f32_e32 v[10:11], v12
	v_cvt_f64_f32_e32 v[12:13], v13
	v_fmac_f64_e32 v[30:31], v[10:11], v[52:53]
	v_fmac_f64_e32 v[0:1], v[12:13], v[52:53]
	;; [unrolled: 1-line block ×3, first 2 shown]
	v_fma_f64 v[36:37], -v[16:17], v[54:55], v[36:37]
	v_fmac_f64_e32 v[40:41], v[14:15], v[54:55]
	v_fma_f64 v[56:57], -v[12:13], v[54:55], v[30:31]
	v_fmac_f64_e32 v[0:1], v[10:11], v[54:55]
	global_load_dwordx4 v[10:13], v[48:49], off offset:3184
	global_load_dwordx4 v[14:17], v[48:49], off offset:3168
	;; [unrolled: 1-line block ×4, first 2 shown]
	v_lshl_add_u64 v[48:49], v[48:49], 0, s[14:15]
	s_waitcnt vmcnt(0)
	v_cvt_f64_f32_e32 v[52:53], v30
	v_cvt_f64_f32_e32 v[30:31], v31
	v_fmac_f64_e32 v[50:51], v[52:53], v[26:27]
	v_fma_f64 v[50:51], -v[30:31], v[28:29], v[50:51]
	v_fmac_f64_e32 v[44:45], v[30:31], v[26:27]
	v_cvt_f64_f32_e32 v[30:31], v32
	v_cvt_f64_f32_e32 v[32:33], v33
	v_fmac_f64_e32 v[42:43], v[32:33], v[26:27]
	v_fmac_f64_e32 v[36:37], v[30:31], v[26:27]
	;; [unrolled: 1-line block ×3, first 2 shown]
	v_cvt_f64_f32_e32 v[30:31], v18
	v_cvt_f64_f32_e32 v[18:19], v19
	v_fmac_f64_e32 v[34:35], v[30:31], v[26:27]
	v_fma_f64 v[36:37], -v[32:33], v[28:29], v[36:37]
	v_fma_f64 v[32:33], -v[18:19], v[28:29], v[34:35]
	v_fmac_f64_e32 v[40:41], v[18:19], v[26:27]
	v_cvt_f64_f32_e32 v[18:19], v20
	v_cvt_f64_f32_e32 v[20:21], v21
	v_fmac_f64_e32 v[0:1], v[20:21], v[26:27]
	v_fmac_f64_e32 v[56:57], v[18:19], v[26:27]
	;; [unrolled: 1-line block ×3, first 2 shown]
	v_cvt_f64_f32_e32 v[18:19], v14
	v_fmac_f64_e32 v[44:45], v[52:53], v[28:29]
	v_cvt_f64_f32_e32 v[14:15], v15
	v_fmac_f64_e32 v[50:51], v[18:19], v[22:23]
	v_fma_f64 v[54:55], -v[14:15], v[24:25], v[50:51]
	v_fmac_f64_e32 v[44:45], v[14:15], v[22:23]
	v_cvt_f64_f32_e32 v[14:15], v16
	v_cvt_f64_f32_e32 v[16:17], v17
	v_fmac_f64_e32 v[42:43], v[16:17], v[22:23]
	v_fmac_f64_e32 v[36:37], v[14:15], v[22:23]
	;; [unrolled: 1-line block ×3, first 2 shown]
	v_cvt_f64_f32_e32 v[14:15], v10
	v_fmac_f64_e32 v[40:41], v[30:31], v[28:29]
	v_cvt_f64_f32_e32 v[10:11], v11
	v_fmac_f64_e32 v[32:33], v[14:15], v[22:23]
	v_fma_f64 v[30:31], -v[20:21], v[28:29], v[56:57]
	v_fma_f64 v[20:21], -v[10:11], v[24:25], v[32:33]
	v_fmac_f64_e32 v[40:41], v[10:11], v[22:23]
	v_cvt_f64_f32_e32 v[10:11], v12
	v_cvt_f64_f32_e32 v[12:13], v13
	v_fmac_f64_e32 v[30:31], v[10:11], v[22:23]
	v_fmac_f64_e32 v[0:1], v[12:13], v[22:23]
	;; [unrolled: 1-line block ×3, first 2 shown]
	v_fma_f64 v[56:57], -v[16:17], v[24:25], v[36:37]
	v_fmac_f64_e32 v[40:41], v[14:15], v[24:25]
	v_fma_f64 v[18:19], -v[12:13], v[24:25], v[30:31]
	v_fmac_f64_e32 v[0:1], v[10:11], v[24:25]
	s_andn2_b64 exec, exec, s[10:11]
	s_cbranch_execnz .LBB166_31
; %bb.32:
	s_or_b64 exec, exec, s[10:11]
.LBB166_33:
	s_or_b64 exec, exec, s[2:3]
.LBB166_34:
	s_or_b64 exec, exec, s[6:7]
.LBB166_35:
	v_mov_b32_dpp v32, v40 row_shr:1 row_mask:0xf bank_mask:0xf
	v_mov_b32_dpp v33, v41 row_shr:1 row_mask:0xf bank_mask:0xf
	;; [unrolled: 1-line block ×12, first 2 shown]
	v_add_f64 v[32:33], v[40:41], v[32:33]
	v_mov_b32_dpp v36, v18 row_shr:1 row_mask:0xf bank_mask:0xf
	v_mov_b32_dpp v37, v19 row_shr:1 row_mask:0xf bank_mask:0xf
	;; [unrolled: 1-line block ×4, first 2 shown]
	v_add_f64 v[10:11], v[54:55], v[10:11]
	v_add_f64 v[14:15], v[44:45], v[14:15]
	v_add_f64 v[22:23], v[56:57], v[22:23]
	v_add_f64 v[26:27], v[42:43], v[26:27]
	v_add_f64 v[20:21], v[20:21], v[30:31]
	v_add_f64 v[18:19], v[18:19], v[36:37]
	v_add_f64 v[0:1], v[0:1], v[40:41]
	v_mov_b32_dpp v12, v10 row_shr:2 row_mask:0xf bank_mask:0xf
	v_mov_b32_dpp v13, v11 row_shr:2 row_mask:0xf bank_mask:0xf
	;; [unrolled: 1-line block ×16, first 2 shown]
	v_add_f64 v[10:11], v[10:11], v[12:13]
	v_add_f64 v[14:15], v[14:15], v[16:17]
	;; [unrolled: 1-line block ×8, first 2 shown]
	v_mov_b32_dpp v12, v10 row_shr:4 row_mask:0xf bank_mask:0xe
	v_mov_b32_dpp v13, v11 row_shr:4 row_mask:0xf bank_mask:0xe
	v_mov_b32_dpp v16, v14 row_shr:4 row_mask:0xf bank_mask:0xe
	v_mov_b32_dpp v17, v15 row_shr:4 row_mask:0xf bank_mask:0xe
	v_mov_b32_dpp v24, v22 row_shr:4 row_mask:0xf bank_mask:0xe
	v_mov_b32_dpp v25, v23 row_shr:4 row_mask:0xf bank_mask:0xe
	v_mov_b32_dpp v28, v26 row_shr:4 row_mask:0xf bank_mask:0xe
	v_mov_b32_dpp v29, v27 row_shr:4 row_mask:0xf bank_mask:0xe
	v_mov_b32_dpp v30, v20 row_shr:4 row_mask:0xf bank_mask:0xe
	v_mov_b32_dpp v31, v21 row_shr:4 row_mask:0xf bank_mask:0xe
	v_mov_b32_dpp v34, v32 row_shr:4 row_mask:0xf bank_mask:0xe
	v_mov_b32_dpp v35, v33 row_shr:4 row_mask:0xf bank_mask:0xe
	v_mov_b32_dpp v36, v18 row_shr:4 row_mask:0xf bank_mask:0xe
	v_mov_b32_dpp v37, v19 row_shr:4 row_mask:0xf bank_mask:0xe
	v_mov_b32_dpp v40, v0 row_shr:4 row_mask:0xf bank_mask:0xe
	v_mov_b32_dpp v41, v1 row_shr:4 row_mask:0xf bank_mask:0xe
	v_cmp_eq_u32_e32 vcc, 7, v39
	s_and_b64 exec, exec, vcc
	s_cbranch_execz .LBB166_8
; %bb.36:
	s_load_dwordx2 s[2:3], s[0:1], 0x60
	v_add_f64 v[42:43], v[10:11], v[12:13]
	v_add_f64 v[10:11], v[14:15], v[16:17]
	v_add_f64 v[12:13], v[26:27], v[28:29]
	v_add_f64 v[16:17], v[32:33], v[34:35]
	v_add_f64 v[0:1], v[0:1], v[40:41]
	v_add_f64 v[44:45], v[22:23], v[24:25]
	v_add_f64 v[26:27], v[20:21], v[30:31]
	v_add_f64 v[28:29], v[18:19], v[36:37]
	v_cmp_eq_f64_e32 vcc, 0, v[2:3]
	v_cmp_eq_f64_e64 s[0:1], 0, v[4:5]
	v_mul_f64 v[22:23], v[10:11], -v[8:9]
	v_mul_f64 v[24:25], v[6:7], v[10:11]
	v_mul_f64 v[18:19], v[12:13], -v[8:9]
	v_mul_f64 v[20:21], v[6:7], v[12:13]
	;; [unrolled: 2-line block ×4, first 2 shown]
	s_and_b64 s[0:1], vcc, s[0:1]
	v_fmac_f64_e32 v[22:23], v[6:7], v[42:43]
	v_fmac_f64_e32 v[24:25], v[8:9], v[42:43]
	v_lshlrev_b32_e32 v0, 2, v38
	v_fmac_f64_e32 v[18:19], v[6:7], v[44:45]
	v_fmac_f64_e32 v[20:21], v[8:9], v[44:45]
	;; [unrolled: 1-line block ×6, first 2 shown]
	s_waitcnt lgkmcnt(0)
	s_and_saveexec_b64 s[4:5], s[0:1]
	s_xor_b64 s[0:1], exec, s[4:5]
	s_cbranch_execz .LBB166_38
; %bb.37:
	v_ashrrev_i32_e32 v1, 31, v0
	v_lshl_add_u64 v[0:1], v[0:1], 4, s[2:3]
	global_store_dwordx4 v[0:1], v[22:25], off
	global_store_dwordx4 v[0:1], v[18:21], off offset:16
	global_store_dwordx4 v[0:1], v[14:17], off offset:32
	;; [unrolled: 1-line block ×3, first 2 shown]
                                        ; implicit-def: $vgpr4_vgpr5
                                        ; implicit-def: $vgpr22_vgpr23
                                        ; implicit-def: $vgpr0
                                        ; implicit-def: $vgpr18_vgpr19
                                        ; implicit-def: $vgpr14_vgpr15
                                        ; implicit-def: $vgpr10_vgpr11
.LBB166_38:
	s_andn2_saveexec_b64 s[0:1], s[0:1]
	s_cbranch_execz .LBB166_8
; %bb.39:
	v_ashrrev_i32_e32 v1, 31, v0
	v_lshl_add_u64 v[0:1], v[0:1], 4, s[2:3]
	global_load_dwordx4 v[6:9], v[0:1], off
	global_load_dwordx4 v[26:29], v[0:1], off offset:16
	global_load_dwordx4 v[30:33], v[0:1], off offset:32
	;; [unrolled: 1-line block ×3, first 2 shown]
	s_waitcnt vmcnt(3)
	v_fmac_f64_e32 v[22:23], v[2:3], v[6:7]
	v_fmac_f64_e32 v[24:25], v[4:5], v[6:7]
	s_waitcnt vmcnt(2)
	v_fmac_f64_e32 v[18:19], v[2:3], v[26:27]
	v_fmac_f64_e32 v[20:21], v[4:5], v[26:27]
	;; [unrolled: 3-line block ×4, first 2 shown]
	v_fma_f64 v[22:23], -v[4:5], v[8:9], v[22:23]
	v_fmac_f64_e32 v[24:25], v[2:3], v[8:9]
	v_fma_f64 v[18:19], -v[4:5], v[28:29], v[18:19]
	v_fmac_f64_e32 v[20:21], v[2:3], v[28:29]
	;; [unrolled: 2-line block ×4, first 2 shown]
	global_store_dwordx4 v[0:1], v[22:25], off
	global_store_dwordx4 v[0:1], v[18:21], off offset:16
	global_store_dwordx4 v[0:1], v[14:17], off offset:32
	;; [unrolled: 1-line block ×3, first 2 shown]
	s_endpgm
	.section	.rodata,"a",@progbits
	.p2align	6, 0x0
	.amdhsa_kernel _ZN9rocsparseL18bsrxmvn_4x4_kernelILj128ELj8E21rocsparse_complex_numIdEiiS1_IfES2_S2_EEvT3_20rocsparse_direction_NS_24const_host_device_scalarIT1_EES4_PKS4_PKT2_SD_SA_PKT4_PKT5_S8_PT6_21rocsparse_index_base_b
		.amdhsa_group_segment_fixed_size 0
		.amdhsa_private_segment_fixed_size 0
		.amdhsa_kernarg_size 112
		.amdhsa_user_sgpr_count 2
		.amdhsa_user_sgpr_dispatch_ptr 0
		.amdhsa_user_sgpr_queue_ptr 0
		.amdhsa_user_sgpr_kernarg_segment_ptr 1
		.amdhsa_user_sgpr_dispatch_id 0
		.amdhsa_user_sgpr_kernarg_preload_length 0
		.amdhsa_user_sgpr_kernarg_preload_offset 0
		.amdhsa_user_sgpr_private_segment_size 0
		.amdhsa_uses_dynamic_stack 0
		.amdhsa_enable_private_segment 0
		.amdhsa_system_sgpr_workgroup_id_x 1
		.amdhsa_system_sgpr_workgroup_id_y 0
		.amdhsa_system_sgpr_workgroup_id_z 0
		.amdhsa_system_sgpr_workgroup_info 0
		.amdhsa_system_vgpr_workitem_id 0
		.amdhsa_next_free_vgpr 118
		.amdhsa_next_free_sgpr 18
		.amdhsa_accum_offset 120
		.amdhsa_reserve_vcc 1
		.amdhsa_float_round_mode_32 0
		.amdhsa_float_round_mode_16_64 0
		.amdhsa_float_denorm_mode_32 3
		.amdhsa_float_denorm_mode_16_64 3
		.amdhsa_dx10_clamp 1
		.amdhsa_ieee_mode 1
		.amdhsa_fp16_overflow 0
		.amdhsa_tg_split 0
		.amdhsa_exception_fp_ieee_invalid_op 0
		.amdhsa_exception_fp_denorm_src 0
		.amdhsa_exception_fp_ieee_div_zero 0
		.amdhsa_exception_fp_ieee_overflow 0
		.amdhsa_exception_fp_ieee_underflow 0
		.amdhsa_exception_fp_ieee_inexact 0
		.amdhsa_exception_int_div_zero 0
	.end_amdhsa_kernel
	.section	.text._ZN9rocsparseL18bsrxmvn_4x4_kernelILj128ELj8E21rocsparse_complex_numIdEiiS1_IfES2_S2_EEvT3_20rocsparse_direction_NS_24const_host_device_scalarIT1_EES4_PKS4_PKT2_SD_SA_PKT4_PKT5_S8_PT6_21rocsparse_index_base_b,"axG",@progbits,_ZN9rocsparseL18bsrxmvn_4x4_kernelILj128ELj8E21rocsparse_complex_numIdEiiS1_IfES2_S2_EEvT3_20rocsparse_direction_NS_24const_host_device_scalarIT1_EES4_PKS4_PKT2_SD_SA_PKT4_PKT5_S8_PT6_21rocsparse_index_base_b,comdat
.Lfunc_end166:
	.size	_ZN9rocsparseL18bsrxmvn_4x4_kernelILj128ELj8E21rocsparse_complex_numIdEiiS1_IfES2_S2_EEvT3_20rocsparse_direction_NS_24const_host_device_scalarIT1_EES4_PKS4_PKT2_SD_SA_PKT4_PKT5_S8_PT6_21rocsparse_index_base_b, .Lfunc_end166-_ZN9rocsparseL18bsrxmvn_4x4_kernelILj128ELj8E21rocsparse_complex_numIdEiiS1_IfES2_S2_EEvT3_20rocsparse_direction_NS_24const_host_device_scalarIT1_EES4_PKS4_PKT2_SD_SA_PKT4_PKT5_S8_PT6_21rocsparse_index_base_b
                                        ; -- End function
	.set _ZN9rocsparseL18bsrxmvn_4x4_kernelILj128ELj8E21rocsparse_complex_numIdEiiS1_IfES2_S2_EEvT3_20rocsparse_direction_NS_24const_host_device_scalarIT1_EES4_PKS4_PKT2_SD_SA_PKT4_PKT5_S8_PT6_21rocsparse_index_base_b.num_vgpr, 118
	.set _ZN9rocsparseL18bsrxmvn_4x4_kernelILj128ELj8E21rocsparse_complex_numIdEiiS1_IfES2_S2_EEvT3_20rocsparse_direction_NS_24const_host_device_scalarIT1_EES4_PKS4_PKT2_SD_SA_PKT4_PKT5_S8_PT6_21rocsparse_index_base_b.num_agpr, 0
	.set _ZN9rocsparseL18bsrxmvn_4x4_kernelILj128ELj8E21rocsparse_complex_numIdEiiS1_IfES2_S2_EEvT3_20rocsparse_direction_NS_24const_host_device_scalarIT1_EES4_PKS4_PKT2_SD_SA_PKT4_PKT5_S8_PT6_21rocsparse_index_base_b.numbered_sgpr, 18
	.set _ZN9rocsparseL18bsrxmvn_4x4_kernelILj128ELj8E21rocsparse_complex_numIdEiiS1_IfES2_S2_EEvT3_20rocsparse_direction_NS_24const_host_device_scalarIT1_EES4_PKS4_PKT2_SD_SA_PKT4_PKT5_S8_PT6_21rocsparse_index_base_b.num_named_barrier, 0
	.set _ZN9rocsparseL18bsrxmvn_4x4_kernelILj128ELj8E21rocsparse_complex_numIdEiiS1_IfES2_S2_EEvT3_20rocsparse_direction_NS_24const_host_device_scalarIT1_EES4_PKS4_PKT2_SD_SA_PKT4_PKT5_S8_PT6_21rocsparse_index_base_b.private_seg_size, 0
	.set _ZN9rocsparseL18bsrxmvn_4x4_kernelILj128ELj8E21rocsparse_complex_numIdEiiS1_IfES2_S2_EEvT3_20rocsparse_direction_NS_24const_host_device_scalarIT1_EES4_PKS4_PKT2_SD_SA_PKT4_PKT5_S8_PT6_21rocsparse_index_base_b.uses_vcc, 1
	.set _ZN9rocsparseL18bsrxmvn_4x4_kernelILj128ELj8E21rocsparse_complex_numIdEiiS1_IfES2_S2_EEvT3_20rocsparse_direction_NS_24const_host_device_scalarIT1_EES4_PKS4_PKT2_SD_SA_PKT4_PKT5_S8_PT6_21rocsparse_index_base_b.uses_flat_scratch, 0
	.set _ZN9rocsparseL18bsrxmvn_4x4_kernelILj128ELj8E21rocsparse_complex_numIdEiiS1_IfES2_S2_EEvT3_20rocsparse_direction_NS_24const_host_device_scalarIT1_EES4_PKS4_PKT2_SD_SA_PKT4_PKT5_S8_PT6_21rocsparse_index_base_b.has_dyn_sized_stack, 0
	.set _ZN9rocsparseL18bsrxmvn_4x4_kernelILj128ELj8E21rocsparse_complex_numIdEiiS1_IfES2_S2_EEvT3_20rocsparse_direction_NS_24const_host_device_scalarIT1_EES4_PKS4_PKT2_SD_SA_PKT4_PKT5_S8_PT6_21rocsparse_index_base_b.has_recursion, 0
	.set _ZN9rocsparseL18bsrxmvn_4x4_kernelILj128ELj8E21rocsparse_complex_numIdEiiS1_IfES2_S2_EEvT3_20rocsparse_direction_NS_24const_host_device_scalarIT1_EES4_PKS4_PKT2_SD_SA_PKT4_PKT5_S8_PT6_21rocsparse_index_base_b.has_indirect_call, 0
	.section	.AMDGPU.csdata,"",@progbits
; Kernel info:
; codeLenInByte = 7996
; TotalNumSgprs: 24
; NumVgprs: 118
; NumAgprs: 0
; TotalNumVgprs: 118
; ScratchSize: 0
; MemoryBound: 0
; FloatMode: 240
; IeeeMode: 1
; LDSByteSize: 0 bytes/workgroup (compile time only)
; SGPRBlocks: 2
; VGPRBlocks: 14
; NumSGPRsForWavesPerEU: 24
; NumVGPRsForWavesPerEU: 118
; AccumOffset: 120
; Occupancy: 4
; WaveLimiterHint : 1
; COMPUTE_PGM_RSRC2:SCRATCH_EN: 0
; COMPUTE_PGM_RSRC2:USER_SGPR: 2
; COMPUTE_PGM_RSRC2:TRAP_HANDLER: 0
; COMPUTE_PGM_RSRC2:TGID_X_EN: 1
; COMPUTE_PGM_RSRC2:TGID_Y_EN: 0
; COMPUTE_PGM_RSRC2:TGID_Z_EN: 0
; COMPUTE_PGM_RSRC2:TIDIG_COMP_CNT: 0
; COMPUTE_PGM_RSRC3_GFX90A:ACCUM_OFFSET: 29
; COMPUTE_PGM_RSRC3_GFX90A:TG_SPLIT: 0
	.section	.text._ZN9rocsparseL18bsrxmvn_4x4_kernelILj128ELj16E21rocsparse_complex_numIdEiiS1_IfES2_S2_EEvT3_20rocsparse_direction_NS_24const_host_device_scalarIT1_EES4_PKS4_PKT2_SD_SA_PKT4_PKT5_S8_PT6_21rocsparse_index_base_b,"axG",@progbits,_ZN9rocsparseL18bsrxmvn_4x4_kernelILj128ELj16E21rocsparse_complex_numIdEiiS1_IfES2_S2_EEvT3_20rocsparse_direction_NS_24const_host_device_scalarIT1_EES4_PKS4_PKT2_SD_SA_PKT4_PKT5_S8_PT6_21rocsparse_index_base_b,comdat
	.globl	_ZN9rocsparseL18bsrxmvn_4x4_kernelILj128ELj16E21rocsparse_complex_numIdEiiS1_IfES2_S2_EEvT3_20rocsparse_direction_NS_24const_host_device_scalarIT1_EES4_PKS4_PKT2_SD_SA_PKT4_PKT5_S8_PT6_21rocsparse_index_base_b ; -- Begin function _ZN9rocsparseL18bsrxmvn_4x4_kernelILj128ELj16E21rocsparse_complex_numIdEiiS1_IfES2_S2_EEvT3_20rocsparse_direction_NS_24const_host_device_scalarIT1_EES4_PKS4_PKT2_SD_SA_PKT4_PKT5_S8_PT6_21rocsparse_index_base_b
	.p2align	8
	.type	_ZN9rocsparseL18bsrxmvn_4x4_kernelILj128ELj16E21rocsparse_complex_numIdEiiS1_IfES2_S2_EEvT3_20rocsparse_direction_NS_24const_host_device_scalarIT1_EES4_PKS4_PKT2_SD_SA_PKT4_PKT5_S8_PT6_21rocsparse_index_base_b,@function
_ZN9rocsparseL18bsrxmvn_4x4_kernelILj128ELj16E21rocsparse_complex_numIdEiiS1_IfES2_S2_EEvT3_20rocsparse_direction_NS_24const_host_device_scalarIT1_EES4_PKS4_PKT2_SD_SA_PKT4_PKT5_S8_PT6_21rocsparse_index_base_b: ; @_ZN9rocsparseL18bsrxmvn_4x4_kernelILj128ELj16E21rocsparse_complex_numIdEiiS1_IfES2_S2_EEvT3_20rocsparse_direction_NS_24const_host_device_scalarIT1_EES4_PKS4_PKT2_SD_SA_PKT4_PKT5_S8_PT6_21rocsparse_index_base_b
; %bb.0:
	s_load_dwordx2 s[4:5], s[0:1], 0x8
	s_load_dwordx2 s[12:13], s[0:1], 0x68
	s_add_u32 s3, s0, 8
	s_addc_u32 s8, s1, 0
	s_add_u32 s9, s0, 0x50
	s_load_dwordx2 s[6:7], s[0:1], 0x50
	s_addc_u32 s10, s1, 0
	s_waitcnt lgkmcnt(0)
	s_bitcmp1_b32 s13, 0
	s_cselect_b32 s5, s8, s5
	s_cselect_b32 s3, s3, s4
	v_mov_b32_e32 v2, s3
	v_mov_b32_e32 v3, s5
	flat_load_dwordx4 v[6:9], v[2:3]
	s_cselect_b32 s3, s10, s7
	s_cselect_b32 s4, s9, s6
	v_mov_b32_e32 v2, s4
	v_mov_b32_e32 v3, s3
	flat_load_dwordx4 v[2:5], v[2:3]
	s_waitcnt vmcnt(0) lgkmcnt(0)
	v_cmp_eq_f64_e32 vcc, 0, v[6:7]
	v_cmp_eq_f64_e64 s[4:5], 0, v[8:9]
	s_and_b64 s[8:9], vcc, s[4:5]
	s_mov_b64 s[4:5], -1
	s_and_saveexec_b64 s[6:7], s[8:9]
; %bb.1:
	v_cmp_neq_f64_e32 vcc, 1.0, v[2:3]
	v_cmp_neq_f64_e64 s[4:5], 0, v[4:5]
	s_or_b64 s[4:5], vcc, s[4:5]
	s_orn2_b64 s[4:5], s[4:5], exec
; %bb.2:
	s_or_b64 exec, exec, s[6:7]
	s_and_saveexec_b64 s[6:7], s[4:5]
	s_cbranch_execz .LBB167_8
; %bb.3:
	s_load_dwordx2 s[4:5], s[0:1], 0x20
	s_load_dwordx2 s[14:15], s[0:1], 0x0
	v_lshrrev_b32_e32 v1, 4, v0
	v_lshl_or_b32 v38, s2, 3, v1
	s_mov_b64 s[2:3], 0
	s_waitcnt lgkmcnt(0)
	s_cmp_lg_u64 s[4:5], 0
	s_cbranch_scc0 .LBB167_9
; %bb.4:
	s_load_dword s6, s[0:1], 0x18
                                        ; implicit-def: $vgpr1
	s_waitcnt lgkmcnt(0)
	v_cmp_gt_i32_e32 vcc, s6, v38
	s_and_saveexec_b64 s[6:7], vcc
	s_xor_b64 s[6:7], exec, s[6:7]
	s_cbranch_execz .LBB167_6
; %bb.5:
	v_ashrrev_i32_e32 v39, 31, v38
	v_lshl_add_u64 v[10:11], v[38:39], 2, s[4:5]
	global_load_dword v1, v[10:11], off
	s_mov_b64 s[2:3], exec
	s_waitcnt vmcnt(0)
	v_subrev_u32_e32 v1, s12, v1
.LBB167_6:
	s_or_b64 exec, exec, s[6:7]
	s_branch .LBB167_10
.LBB167_7:
	v_cmp_gt_i32_e32 vcc, s14, v38
	s_andn2_b64 s[2:3], s[2:3], exec
	s_and_b64 s[4:5], vcc, exec
	s_or_b64 s[2:3], s[2:3], s[4:5]
	s_and_b64 exec, exec, s[2:3]
	s_cbranch_execnz .LBB167_11
.LBB167_8:
	s_endpgm
.LBB167_9:
                                        ; implicit-def: $vgpr1
	s_cbranch_execnz .LBB167_7
.LBB167_10:
	v_mov_b32_e32 v38, v1
	s_and_b64 exec, exec, s[2:3]
	s_cbranch_execz .LBB167_8
.LBB167_11:
	s_load_dwordx8 s[4:11], s[0:1], 0x28
	v_ashrrev_i32_e32 v39, 31, v38
	v_lshlrev_b64 v[10:11], 2, v[38:39]
	v_and_b32_e32 v39, 15, v0
	s_waitcnt lgkmcnt(0)
	v_lshl_add_u64 v[12:13], s[4:5], 0, v[10:11]
	s_cmp_eq_u64 s[6:7], 0
	global_load_dword v67, v[12:13], off
	v_lshl_add_u64 v[12:13], v[12:13], 0, 4
	v_lshl_add_u64 v[10:11], s[6:7], 0, v[10:11]
	s_cselect_b64 vcc, -1, 0
	v_cndmask_b32_e32 v11, v11, v13, vcc
	v_cndmask_b32_e32 v10, v10, v12, vcc
	global_load_dword v1, v[10:11], off
	s_load_dwordx2 s[4:5], s[0:1], 0x48
	s_cmp_eq_u32 s15, 1
	s_waitcnt vmcnt(1)
	v_subrev_u32_e32 v0, s12, v67
	v_add_u32_e32 v46, v0, v39
	v_ashrrev_i32_e32 v47, 31, v46
	s_waitcnt vmcnt(0)
	v_subrev_u32_e32 v66, s12, v1
	v_lshlrev_b64 v[0:1], 7, v[46:47]
	v_lshl_add_u64 v[48:49], s[10:11], 0, v[0:1]
	v_cmp_lt_i32_e64 s[2:3], v46, v66
	s_cbranch_scc1 .LBB167_23
; %bb.12:
	v_mov_b64_e32 v[44:45], 0
	v_mov_b64_e32 v[56:57], 0
	;; [unrolled: 1-line block ×8, first 2 shown]
	s_and_saveexec_b64 s[6:7], s[2:3]
	s_cbranch_execz .LBB167_22
; %bb.13:
	v_add_u32_e32 v0, v67, v39
	v_subrev_u32_e32 v0, s12, v0
	v_add_u32_e32 v0, 16, v0
	v_max_i32_e32 v0, v0, v66
	v_not_b32_e32 v1, v67
	v_add3_u32 v0, s12, v0, v1
	v_sub_u32_e32 v14, v0, v39
	v_and_b32_e32 v0, 48, v14
	v_cmp_ne_u32_e32 vcc, 48, v0
	v_mov_b64_e32 v[18:19], 0
	v_mov_b64_e32 v[0:1], 0
	;; [unrolled: 1-line block ×9, first 2 shown]
	v_mov_b32_e32 v50, v46
	s_and_saveexec_b64 s[10:11], vcc
	s_cbranch_execz .LBB167_17
; %bb.14:
	v_lshrrev_b32_e32 v0, 4, v14
	v_add_u32_e32 v0, 1, v0
	v_and_b32_e32 v0, 3, v0
	v_sub_u32_e32 v15, 0, v0
	v_mov_b64_e32 v[44:45], 0
	s_mov_b64 s[14:15], 0
	s_mov_b64 s[16:17], 0x800
	v_mov_b32_e32 v50, v46
	v_mov_b64_e32 v[52:53], v[48:49]
	v_mov_b64_e32 v[56:57], 0
	;; [unrolled: 1-line block ×8, first 2 shown]
.LBB167_15:                             ; =>This Inner Loop Header: Depth=1
	global_load_dwordx4 v[20:23], v[52:53], off
	global_load_dwordx4 v[24:27], v[52:53], off offset:16
	global_load_dwordx4 v[10:13], v[52:53], off offset:32
	v_ashrrev_i32_e32 v51, 31, v50
	v_lshl_add_u64 v[16:17], v[50:51], 2, s[8:9]
	global_load_dwordx4 v[28:31], v[52:53], off offset:64
	global_load_dwordx4 v[58:61], v[52:53], off offset:96
	global_load_dword v47, v[16:17], off
	global_load_dwordx4 v[62:65], v[52:53], off offset:48
	global_load_dwordx4 v[68:71], v[52:53], off offset:80
	;; [unrolled: 1-line block ×3, first 2 shown]
	v_add_co_u32_e32 v15, vcc, 1, v15
	v_lshl_add_u64 v[52:53], v[52:53], 0, s[16:17]
	v_add_u32_e32 v50, 16, v50
	s_or_b64 s[14:15], vcc, s[14:15]
	s_waitcnt vmcnt(8)
	v_cvt_f64_f32_e32 v[16:17], v20
	v_cvt_f64_f32_e32 v[32:33], v21
	s_waitcnt vmcnt(6)
	v_cvt_f64_f32_e32 v[90:91], v10
	s_waitcnt vmcnt(3)
	v_subrev_u32_e32 v10, s12, v47
	v_lshlrev_b32_e32 v10, 2, v10
	v_cvt_f64_f32_e32 v[92:93], v11
	v_ashrrev_i32_e32 v11, 31, v10
	s_waitcnt lgkmcnt(0)
	v_lshl_add_u64 v[102:103], v[10:11], 4, s[4:5]
	v_cvt_f64_f32_e32 v[36:37], v22
	v_cvt_f64_f32_e32 v[80:81], v23
	;; [unrolled: 1-line block ×8, first 2 shown]
	global_load_dwordx4 v[10:13], v[102:103], off
	global_load_dwordx4 v[20:23], v[102:103], off offset:16
	global_load_dwordx4 v[24:27], v[102:103], off offset:32
	;; [unrolled: 1-line block ×3, first 2 shown]
	v_cvt_f64_f32_e32 v[98:99], v28
	v_cvt_f64_f32_e32 v[28:29], v29
	;; [unrolled: 1-line block ×8, first 2 shown]
	s_waitcnt vmcnt(6)
	v_cvt_f64_f32_e32 v[102:103], v62
	v_cvt_f64_f32_e32 v[62:63], v63
	s_waitcnt vmcnt(5)
	v_cvt_f64_f32_e32 v[108:109], v68
	v_cvt_f64_f32_e32 v[68:69], v69
	;; [unrolled: 3-line block ×3, first 2 shown]
	v_cvt_f64_f32_e32 v[104:105], v64
	v_cvt_f64_f32_e32 v[64:65], v65
	;; [unrolled: 1-line block ×6, first 2 shown]
	s_waitcnt vmcnt(3)
	v_fmac_f64_e32 v[56:57], v[16:17], v[10:11]
	v_fmac_f64_e32 v[44:45], v[32:33], v[10:11]
	v_fmac_f64_e32 v[54:55], v[90:91], v[10:11]
	v_fmac_f64_e32 v[42:43], v[92:93], v[10:11]
	v_fmac_f64_e32 v[34:35], v[98:99], v[10:11]
	v_fmac_f64_e32 v[40:41], v[28:29], v[10:11]
	v_fmac_f64_e32 v[18:19], v[100:101], v[10:11]
	v_fmac_f64_e32 v[0:1], v[58:59], v[10:11]
	v_fma_f64 v[10:11], -v[32:33], v[12:13], v[56:57]
	v_fmac_f64_e32 v[44:45], v[16:17], v[12:13]
	v_fma_f64 v[16:17], -v[92:93], v[12:13], v[54:55]
	v_fmac_f64_e32 v[42:43], v[90:91], v[12:13]
	v_fma_f64 v[28:29], -v[28:29], v[12:13], v[34:35]
	v_fmac_f64_e32 v[40:41], v[98:99], v[12:13]
	v_fma_f64 v[18:19], -v[58:59], v[12:13], v[18:19]
	v_fmac_f64_e32 v[0:1], v[100:101], v[12:13]
	s_waitcnt vmcnt(2)
	v_fmac_f64_e32 v[10:11], v[36:37], v[20:21]
	v_fmac_f64_e32 v[44:45], v[80:81], v[20:21]
	v_fmac_f64_e32 v[16:17], v[94:95], v[20:21]
	v_fmac_f64_e32 v[42:43], v[96:97], v[20:21]
	v_fmac_f64_e32 v[28:29], v[106:107], v[20:21]
	v_fmac_f64_e32 v[40:41], v[30:31], v[20:21]
	v_fmac_f64_e32 v[18:19], v[112:113], v[20:21]
	v_fmac_f64_e32 v[0:1], v[60:61], v[20:21]
	v_fma_f64 v[10:11], -v[80:81], v[22:23], v[10:11]
	v_fmac_f64_e32 v[44:45], v[36:37], v[22:23]
	v_fma_f64 v[12:13], -v[96:97], v[22:23], v[16:17]
	v_fmac_f64_e32 v[42:43], v[94:95], v[22:23]
	v_fma_f64 v[16:17], -v[30:31], v[22:23], v[28:29]
	v_fmac_f64_e32 v[40:41], v[106:107], v[22:23]
	v_fma_f64 v[18:19], -v[60:61], v[22:23], v[18:19]
	v_fmac_f64_e32 v[0:1], v[112:113], v[22:23]
	;; [unrolled: 17-line block ×4, first 2 shown]
	s_andn2_b64 exec, exec, s[14:15]
	s_cbranch_execnz .LBB167_15
; %bb.16:
	s_or_b64 exec, exec, s[14:15]
.LBB167_17:
	s_or_b64 exec, exec, s[10:11]
	v_cmp_lt_u32_e32 vcc, 47, v14
	s_and_saveexec_b64 s[10:11], vcc
	s_cbranch_execz .LBB167_21
; %bb.18:
	s_mov_b64 s[14:15], 0
	s_mov_b64 s[16:17], 0x1000
	s_movk_i32 s13, 0x1000
	s_mov_b64 s[18:19], 0x2000
.LBB167_19:                             ; =>This Inner Loop Header: Depth=1
	v_ashrrev_i32_e32 v51, 31, v50
	v_lshl_add_u64 v[58:59], v[50:51], 2, s[8:9]
	global_load_dword v10, v[58:59], off
	global_load_dwordx4 v[20:23], v[52:53], off offset:48
	global_load_dwordx4 v[28:31], v[52:53], off offset:32
	;; [unrolled: 1-line block ×3, first 2 shown]
	global_load_dwordx4 v[60:63], v[52:53], off
	v_add_u32_e32 v50, 64, v50
	s_waitcnt vmcnt(4)
	v_subrev_u32_e32 v10, s12, v10
	v_lshlrev_b32_e32 v10, 2, v10
	v_ashrrev_i32_e32 v11, 31, v10
	s_waitcnt vmcnt(0)
	v_cvt_f64_f32_e32 v[32:33], v60
	v_cvt_f64_f32_e32 v[36:37], v61
	s_waitcnt lgkmcnt(0)
	v_lshl_add_u64 v[60:61], v[10:11], 4, s[4:5]
	global_load_dwordx4 v[10:13], v[60:61], off offset:48
	global_load_dwordx4 v[14:17], v[60:61], off offset:32
	;; [unrolled: 1-line block ×3, first 2 shown]
	global_load_dwordx4 v[72:75], v[60:61], off
	s_waitcnt vmcnt(0)
	v_fmac_f64_e32 v[56:57], v[32:33], v[72:73]
	v_fmac_f64_e32 v[44:45], v[36:37], v[72:73]
	v_fma_f64 v[56:57], -v[36:37], v[74:75], v[56:57]
	v_fmac_f64_e32 v[44:45], v[32:33], v[74:75]
	v_cvt_f64_f32_e32 v[36:37], v63
	v_cvt_f64_f32_e32 v[32:33], v62
	v_fmac_f64_e32 v[44:45], v[36:37], v[68:69]
	v_fmac_f64_e32 v[56:57], v[32:33], v[68:69]
	;; [unrolled: 1-line block ×3, first 2 shown]
	v_cvt_f64_f32_e32 v[32:33], v24
	v_cvt_f64_f32_e32 v[24:25], v25
	v_fma_f64 v[56:57], -v[36:37], v[70:71], v[56:57]
	v_fmac_f64_e32 v[44:45], v[24:25], v[14:15]
	v_fmac_f64_e32 v[56:57], v[32:33], v[14:15]
	;; [unrolled: 1-line block ×3, first 2 shown]
	v_cvt_f64_f32_e32 v[32:33], v27
	v_fma_f64 v[36:37], -v[24:25], v[16:17], v[56:57]
	v_cvt_f64_f32_e32 v[24:25], v26
	v_fmac_f64_e32 v[44:45], v[32:33], v[10:11]
	v_fmac_f64_e32 v[36:37], v[24:25], v[10:11]
	;; [unrolled: 1-line block ×3, first 2 shown]
	v_cvt_f64_f32_e32 v[24:25], v28
	v_cvt_f64_f32_e32 v[28:29], v29
	v_fmac_f64_e32 v[54:55], v[24:25], v[72:73]
	v_fmac_f64_e32 v[42:43], v[28:29], v[72:73]
	v_fma_f64 v[26:27], -v[32:33], v[12:13], v[36:37]
	v_fma_f64 v[32:33], -v[28:29], v[74:75], v[54:55]
	v_fmac_f64_e32 v[42:43], v[24:25], v[74:75]
	v_cvt_f64_f32_e32 v[24:25], v30
	v_cvt_f64_f32_e32 v[28:29], v31
	v_fmac_f64_e32 v[32:33], v[24:25], v[68:69]
	v_fmac_f64_e32 v[42:43], v[28:29], v[68:69]
	v_fma_f64 v[30:31], -v[28:29], v[70:71], v[32:33]
	v_fmac_f64_e32 v[42:43], v[24:25], v[70:71]
	v_cvt_f64_f32_e32 v[24:25], v20
	v_cvt_f64_f32_e32 v[20:21], v21
	v_fmac_f64_e32 v[30:31], v[24:25], v[14:15]
	v_fmac_f64_e32 v[42:43], v[20:21], v[14:15]
	;; [unrolled: 6-line block ×3, first 2 shown]
	v_fma_f64 v[28:29], -v[22:23], v[12:13], v[28:29]
	v_fmac_f64_e32 v[42:43], v[20:21], v[12:13]
	global_load_dwordx4 v[20:23], v[52:53], off offset:112
	global_load_dwordx4 v[30:33], v[52:53], off offset:96
	;; [unrolled: 1-line block ×4, first 2 shown]
	s_waitcnt vmcnt(0)
	v_cvt_f64_f32_e32 v[24:25], v60
	v_cvt_f64_f32_e32 v[36:37], v61
	v_fmac_f64_e32 v[34:35], v[24:25], v[72:73]
	v_fmac_f64_e32 v[40:41], v[36:37], v[72:73]
	v_fma_f64 v[34:35], -v[36:37], v[74:75], v[34:35]
	v_fmac_f64_e32 v[40:41], v[24:25], v[74:75]
	v_cvt_f64_f32_e32 v[24:25], v62
	v_cvt_f64_f32_e32 v[36:37], v63
	v_fmac_f64_e32 v[34:35], v[24:25], v[68:69]
	v_fmac_f64_e32 v[40:41], v[36:37], v[68:69]
	v_fma_f64 v[34:35], -v[36:37], v[70:71], v[34:35]
	v_fmac_f64_e32 v[40:41], v[24:25], v[70:71]
	;; [unrolled: 6-line block ×3, first 2 shown]
	v_cvt_f64_f32_e32 v[36:37], v57
	v_cvt_f64_f32_e32 v[24:25], v56
	v_fmac_f64_e32 v[40:41], v[36:37], v[10:11]
	v_fmac_f64_e32 v[34:35], v[24:25], v[10:11]
	;; [unrolled: 1-line block ×3, first 2 shown]
	v_cvt_f64_f32_e32 v[24:25], v30
	v_cvt_f64_f32_e32 v[30:31], v31
	v_fmac_f64_e32 v[18:19], v[24:25], v[72:73]
	v_fmac_f64_e32 v[0:1], v[30:31], v[72:73]
	v_fma_f64 v[18:19], -v[30:31], v[74:75], v[18:19]
	v_fmac_f64_e32 v[0:1], v[24:25], v[74:75]
	v_cvt_f64_f32_e32 v[24:25], v32
	v_cvt_f64_f32_e32 v[30:31], v33
	v_fmac_f64_e32 v[18:19], v[24:25], v[68:69]
	v_fmac_f64_e32 v[0:1], v[30:31], v[68:69]
	v_fma_f64 v[18:19], -v[30:31], v[70:71], v[18:19]
	v_fmac_f64_e32 v[0:1], v[24:25], v[70:71]
	v_cvt_f64_f32_e32 v[24:25], v20
	v_cvt_f64_f32_e32 v[20:21], v21
	v_fmac_f64_e32 v[18:19], v[24:25], v[14:15]
	v_fmac_f64_e32 v[0:1], v[20:21], v[14:15]
	v_fma_f64 v[18:19], -v[20:21], v[16:17], v[18:19]
	v_fmac_f64_e32 v[0:1], v[24:25], v[16:17]
	v_cvt_f64_f32_e32 v[14:15], v22
	v_cvt_f64_f32_e32 v[16:17], v23
	v_fmac_f64_e32 v[18:19], v[14:15], v[10:11]
	v_fmac_f64_e32 v[0:1], v[16:17], v[10:11]
	global_load_dword v10, v[58:59], off offset:64
	v_fma_f64 v[56:57], -v[36:37], v[12:13], v[34:35]
	global_load_dwordx4 v[30:33], v[52:53], off offset:2096
	global_load_dwordx4 v[34:37], v[52:53], off offset:2080
	;; [unrolled: 1-line block ×4, first 2 shown]
	v_fma_f64 v[54:55], -v[16:17], v[12:13], v[18:19]
	v_fmac_f64_e32 v[0:1], v[14:15], v[12:13]
	s_waitcnt vmcnt(4)
	v_subrev_u32_e32 v10, s12, v10
	v_lshlrev_b32_e32 v10, 2, v10
	v_ashrrev_i32_e32 v11, 31, v10
	v_lshl_add_u64 v[72:73], v[10:11], 4, s[4:5]
	global_load_dwordx4 v[10:13], v[72:73], off offset:48
	global_load_dwordx4 v[14:17], v[72:73], off offset:32
	;; [unrolled: 1-line block ×3, first 2 shown]
	global_load_dwordx4 v[22:25], v[72:73], off
	s_waitcnt vmcnt(4)
	v_cvt_f64_f32_e32 v[64:65], v68
	v_cvt_f64_f32_e32 v[68:69], v69
	s_waitcnt vmcnt(0)
	v_fmac_f64_e32 v[26:27], v[64:65], v[22:23]
	v_fmac_f64_e32 v[44:45], v[68:69], v[22:23]
	v_fma_f64 v[26:27], -v[68:69], v[24:25], v[26:27]
	v_fmac_f64_e32 v[44:45], v[64:65], v[24:25]
	v_cvt_f64_f32_e32 v[64:65], v70
	v_cvt_f64_f32_e32 v[68:69], v71
	v_fmac_f64_e32 v[26:27], v[64:65], v[18:19]
	v_fmac_f64_e32 v[44:45], v[68:69], v[18:19]
	v_fma_f64 v[26:27], -v[68:69], v[20:21], v[26:27]
	v_fmac_f64_e32 v[44:45], v[64:65], v[20:21]
	v_cvt_f64_f32_e32 v[64:65], v60
	v_cvt_f64_f32_e32 v[60:61], v61
	v_fmac_f64_e32 v[26:27], v[64:65], v[14:15]
	v_fma_f64 v[26:27], -v[60:61], v[16:17], v[26:27]
	v_fmac_f64_e32 v[44:45], v[60:61], v[14:15]
	v_cvt_f64_f32_e32 v[60:61], v62
	v_fmac_f64_e32 v[44:45], v[64:65], v[16:17]
	v_cvt_f64_f32_e32 v[64:65], v63
	v_fmac_f64_e32 v[26:27], v[60:61], v[10:11]
	v_fma_f64 v[62:63], -v[64:65], v[12:13], v[26:27]
	v_cvt_f64_f32_e32 v[26:27], v34
	v_cvt_f64_f32_e32 v[34:35], v35
	v_fmac_f64_e32 v[28:29], v[26:27], v[22:23]
	v_fmac_f64_e32 v[42:43], v[34:35], v[22:23]
	v_fma_f64 v[28:29], -v[34:35], v[24:25], v[28:29]
	v_fmac_f64_e32 v[42:43], v[26:27], v[24:25]
	v_cvt_f64_f32_e32 v[26:27], v36
	v_cvt_f64_f32_e32 v[34:35], v37
	v_fmac_f64_e32 v[28:29], v[26:27], v[18:19]
	v_fmac_f64_e32 v[42:43], v[34:35], v[18:19]
	v_fma_f64 v[28:29], -v[34:35], v[20:21], v[28:29]
	v_fmac_f64_e32 v[42:43], v[26:27], v[20:21]
	;; [unrolled: 6-line block ×3, first 2 shown]
	v_cvt_f64_f32_e32 v[26:27], v32
	v_cvt_f64_f32_e32 v[30:31], v33
	v_fmac_f64_e32 v[28:29], v[26:27], v[10:11]
	v_fmac_f64_e32 v[42:43], v[30:31], v[10:11]
	;; [unrolled: 1-line block ×3, first 2 shown]
	v_fma_f64 v[64:65], -v[30:31], v[12:13], v[28:29]
	v_fmac_f64_e32 v[42:43], v[26:27], v[12:13]
	global_load_dwordx4 v[26:29], v[52:53], off offset:2160
	global_load_dwordx4 v[30:33], v[52:53], off offset:2144
	;; [unrolled: 1-line block ×4, first 2 shown]
	v_fmac_f64_e32 v[44:45], v[60:61], v[12:13]
	s_waitcnt vmcnt(0)
	v_cvt_f64_f32_e32 v[60:61], v68
	v_cvt_f64_f32_e32 v[68:69], v69
	v_fmac_f64_e32 v[56:57], v[60:61], v[22:23]
	v_fmac_f64_e32 v[40:41], v[68:69], v[22:23]
	v_fma_f64 v[56:57], -v[68:69], v[24:25], v[56:57]
	v_fmac_f64_e32 v[40:41], v[60:61], v[24:25]
	v_cvt_f64_f32_e32 v[60:61], v70
	v_cvt_f64_f32_e32 v[68:69], v71
	v_fmac_f64_e32 v[56:57], v[60:61], v[18:19]
	v_fmac_f64_e32 v[40:41], v[68:69], v[18:19]
	v_fma_f64 v[56:57], -v[68:69], v[20:21], v[56:57]
	v_fmac_f64_e32 v[40:41], v[60:61], v[20:21]
	;; [unrolled: 6-line block ×3, first 2 shown]
	v_cvt_f64_f32_e32 v[34:35], v36
	v_cvt_f64_f32_e32 v[36:37], v37
	v_fmac_f64_e32 v[40:41], v[36:37], v[10:11]
	v_fmac_f64_e32 v[56:57], v[34:35], v[10:11]
	;; [unrolled: 1-line block ×3, first 2 shown]
	v_cvt_f64_f32_e32 v[34:35], v30
	v_cvt_f64_f32_e32 v[30:31], v31
	v_fmac_f64_e32 v[54:55], v[34:35], v[22:23]
	v_fmac_f64_e32 v[0:1], v[30:31], v[22:23]
	v_fma_f64 v[72:73], -v[36:37], v[12:13], v[56:57]
	v_fma_f64 v[36:37], -v[30:31], v[24:25], v[54:55]
	v_fmac_f64_e32 v[0:1], v[34:35], v[24:25]
	v_cvt_f64_f32_e32 v[22:23], v32
	v_cvt_f64_f32_e32 v[24:25], v33
	v_fmac_f64_e32 v[36:37], v[22:23], v[18:19]
	v_fmac_f64_e32 v[0:1], v[24:25], v[18:19]
	v_fma_f64 v[30:31], -v[24:25], v[20:21], v[36:37]
	v_fmac_f64_e32 v[0:1], v[22:23], v[20:21]
	v_cvt_f64_f32_e32 v[18:19], v26
	v_cvt_f64_f32_e32 v[20:21], v27
	v_fmac_f64_e32 v[30:31], v[18:19], v[14:15]
	v_fmac_f64_e32 v[0:1], v[20:21], v[14:15]
	;; [unrolled: 6-line block ×3, first 2 shown]
	global_load_dword v10, v[58:59], off offset:128
	v_add_co_u32_e32 v28, vcc, s13, v52
	v_fma_f64 v[74:75], -v[16:17], v[12:13], v[22:23]
	s_nop 0
	v_addc_co_u32_e32 v29, vcc, 0, v53, vcc
	v_fmac_f64_e32 v[0:1], v[14:15], v[12:13]
	v_lshl_add_u64 v[60:61], v[52:53], 0, s[16:17]
	v_cmp_ge_i32_e32 vcc, v50, v66
	v_lshl_add_u64 v[52:53], v[52:53], 0, s[18:19]
	s_or_b64 s[14:15], vcc, s[14:15]
	s_waitcnt vmcnt(0)
	v_subrev_u32_e32 v10, s12, v10
	v_lshlrev_b32_e32 v26, 2, v10
	v_ashrrev_i32_e32 v27, 31, v26
	v_lshl_add_u64 v[26:27], v[26:27], 4, s[4:5]
	global_load_dwordx4 v[10:13], v[28:29], off
	global_load_dwordx4 v[14:17], v[60:61], off offset:48
	global_load_dwordx4 v[18:21], v[60:61], off offset:32
	;; [unrolled: 1-line block ×6, first 2 shown]
	global_load_dwordx4 v[68:71], v[26:27], off
	s_waitcnt vmcnt(7)
	v_cvt_f64_f32_e32 v[28:29], v10
	v_cvt_f64_f32_e32 v[10:11], v11
	s_waitcnt vmcnt(0)
	v_fmac_f64_e32 v[62:63], v[28:29], v[68:69]
	v_fmac_f64_e32 v[44:45], v[10:11], v[68:69]
	v_fma_f64 v[26:27], -v[10:11], v[70:71], v[62:63]
	v_fmac_f64_e32 v[44:45], v[28:29], v[70:71]
	v_cvt_f64_f32_e32 v[10:11], v12
	v_cvt_f64_f32_e32 v[12:13], v13
	v_fmac_f64_e32 v[26:27], v[10:11], v[54:55]
	v_fmac_f64_e32 v[44:45], v[12:13], v[54:55]
	v_fma_f64 v[26:27], -v[12:13], v[56:57], v[26:27]
	v_fmac_f64_e32 v[44:45], v[10:11], v[56:57]
	v_cvt_f64_f32_e32 v[10:11], v22
	v_cvt_f64_f32_e32 v[12:13], v23
	;; [unrolled: 6-line block ×7, first 2 shown]
	v_fmac_f64_e32 v[14:15], v[10:11], v[30:31]
	v_fmac_f64_e32 v[42:43], v[12:13], v[30:31]
	v_fma_f64 v[28:29], -v[12:13], v[32:33], v[14:15]
	v_fmac_f64_e32 v[42:43], v[10:11], v[32:33]
	global_load_dwordx4 v[10:13], v[60:61], off offset:112
	global_load_dwordx4 v[14:17], v[60:61], off offset:96
	;; [unrolled: 1-line block ×4, first 2 shown]
	s_waitcnt vmcnt(0)
	v_cvt_f64_f32_e32 v[62:63], v22
	v_cvt_f64_f32_e32 v[22:23], v23
	v_fmac_f64_e32 v[72:73], v[62:63], v[68:69]
	v_fmac_f64_e32 v[40:41], v[22:23], v[68:69]
	v_fma_f64 v[64:65], -v[22:23], v[70:71], v[72:73]
	v_fmac_f64_e32 v[40:41], v[62:63], v[70:71]
	v_cvt_f64_f32_e32 v[22:23], v24
	v_cvt_f64_f32_e32 v[24:25], v25
	v_fmac_f64_e32 v[64:65], v[22:23], v[54:55]
	v_fmac_f64_e32 v[40:41], v[24:25], v[54:55]
	v_fma_f64 v[62:63], -v[24:25], v[56:57], v[64:65]
	v_fmac_f64_e32 v[40:41], v[22:23], v[56:57]
	;; [unrolled: 6-line block ×3, first 2 shown]
	v_cvt_f64_f32_e32 v[18:19], v20
	v_cvt_f64_f32_e32 v[20:21], v21
	v_fmac_f64_e32 v[40:41], v[20:21], v[30:31]
	v_fmac_f64_e32 v[24:25], v[18:19], v[30:31]
	;; [unrolled: 1-line block ×3, first 2 shown]
	v_cvt_f64_f32_e32 v[18:19], v14
	v_cvt_f64_f32_e32 v[14:15], v15
	v_fmac_f64_e32 v[74:75], v[18:19], v[68:69]
	v_fmac_f64_e32 v[0:1], v[14:15], v[68:69]
	v_fma_f64 v[64:65], -v[20:21], v[32:33], v[24:25]
	v_fma_f64 v[20:21], -v[14:15], v[70:71], v[74:75]
	v_fmac_f64_e32 v[0:1], v[18:19], v[70:71]
	v_cvt_f64_f32_e32 v[14:15], v16
	v_cvt_f64_f32_e32 v[16:17], v17
	v_fmac_f64_e32 v[20:21], v[14:15], v[54:55]
	v_fmac_f64_e32 v[0:1], v[16:17], v[54:55]
	v_fma_f64 v[18:19], -v[16:17], v[56:57], v[20:21]
	v_fmac_f64_e32 v[0:1], v[14:15], v[56:57]
	v_cvt_f64_f32_e32 v[14:15], v10
	v_cvt_f64_f32_e32 v[10:11], v11
	v_fmac_f64_e32 v[18:19], v[14:15], v[34:35]
	v_fmac_f64_e32 v[0:1], v[10:11], v[34:35]
	v_fma_f64 v[16:17], -v[10:11], v[36:37], v[18:19]
	v_fmac_f64_e32 v[0:1], v[14:15], v[36:37]
	v_cvt_f64_f32_e32 v[10:11], v12
	v_cvt_f64_f32_e32 v[12:13], v13
	v_fmac_f64_e32 v[0:1], v[12:13], v[30:31]
	v_fmac_f64_e32 v[16:17], v[10:11], v[30:31]
	v_fmac_f64_e32 v[0:1], v[10:11], v[32:33]
	global_load_dword v10, v[58:59], off offset:192
	v_fma_f64 v[62:63], -v[12:13], v[32:33], v[16:17]
	global_load_dwordx4 v[30:33], v[60:61], off offset:2096
	global_load_dwordx4 v[34:37], v[60:61], off offset:2080
	global_load_dwordx4 v[54:57], v[60:61], off offset:2064
	global_load_dwordx4 v[68:71], v[60:61], off offset:2048
	s_waitcnt vmcnt(4)
	v_subrev_u32_e32 v10, s12, v10
	v_lshlrev_b32_e32 v10, 2, v10
	v_ashrrev_i32_e32 v11, 31, v10
	v_lshl_add_u64 v[72:73], v[10:11], 4, s[4:5]
	global_load_dwordx4 v[10:13], v[72:73], off offset:48
	global_load_dwordx4 v[14:17], v[72:73], off offset:32
	;; [unrolled: 1-line block ×3, first 2 shown]
	global_load_dwordx4 v[22:25], v[72:73], off
	s_waitcnt vmcnt(4)
	v_cvt_f64_f32_e32 v[58:59], v68
	v_cvt_f64_f32_e32 v[68:69], v69
	s_waitcnt vmcnt(0)
	v_fmac_f64_e32 v[26:27], v[58:59], v[22:23]
	v_fmac_f64_e32 v[44:45], v[68:69], v[22:23]
	v_fma_f64 v[26:27], -v[68:69], v[24:25], v[26:27]
	v_fmac_f64_e32 v[44:45], v[58:59], v[24:25]
	v_cvt_f64_f32_e32 v[58:59], v70
	v_cvt_f64_f32_e32 v[68:69], v71
	v_fmac_f64_e32 v[26:27], v[58:59], v[18:19]
	v_fmac_f64_e32 v[44:45], v[68:69], v[18:19]
	v_fma_f64 v[26:27], -v[68:69], v[20:21], v[26:27]
	v_fmac_f64_e32 v[44:45], v[58:59], v[20:21]
	v_cvt_f64_f32_e32 v[58:59], v54
	v_cvt_f64_f32_e32 v[54:55], v55
	v_fmac_f64_e32 v[26:27], v[58:59], v[14:15]
	v_fma_f64 v[26:27], -v[54:55], v[16:17], v[26:27]
	v_fmac_f64_e32 v[44:45], v[54:55], v[14:15]
	v_cvt_f64_f32_e32 v[54:55], v56
	v_fmac_f64_e32 v[44:45], v[58:59], v[16:17]
	v_cvt_f64_f32_e32 v[58:59], v57
	v_fmac_f64_e32 v[26:27], v[54:55], v[10:11]
	v_fma_f64 v[56:57], -v[58:59], v[12:13], v[26:27]
	v_cvt_f64_f32_e32 v[26:27], v34
	v_cvt_f64_f32_e32 v[34:35], v35
	v_fmac_f64_e32 v[28:29], v[26:27], v[22:23]
	v_fmac_f64_e32 v[42:43], v[34:35], v[22:23]
	v_fma_f64 v[28:29], -v[34:35], v[24:25], v[28:29]
	v_fmac_f64_e32 v[42:43], v[26:27], v[24:25]
	v_cvt_f64_f32_e32 v[26:27], v36
	v_cvt_f64_f32_e32 v[34:35], v37
	v_fmac_f64_e32 v[28:29], v[26:27], v[18:19]
	v_fmac_f64_e32 v[42:43], v[34:35], v[18:19]
	v_fma_f64 v[28:29], -v[34:35], v[20:21], v[28:29]
	v_fmac_f64_e32 v[42:43], v[26:27], v[20:21]
	;; [unrolled: 6-line block ×3, first 2 shown]
	v_cvt_f64_f32_e32 v[26:27], v32
	v_cvt_f64_f32_e32 v[30:31], v33
	v_fmac_f64_e32 v[44:45], v[58:59], v[10:11]
	v_fmac_f64_e32 v[28:29], v[26:27], v[10:11]
	;; [unrolled: 1-line block ×4, first 2 shown]
	v_fma_f64 v[54:55], -v[30:31], v[12:13], v[28:29]
	v_fmac_f64_e32 v[42:43], v[26:27], v[12:13]
	global_load_dwordx4 v[26:29], v[60:61], off offset:2160
	global_load_dwordx4 v[30:33], v[60:61], off offset:2144
	;; [unrolled: 1-line block ×4, first 2 shown]
	s_waitcnt vmcnt(0)
	v_cvt_f64_f32_e32 v[58:59], v68
	v_cvt_f64_f32_e32 v[60:61], v69
	v_fmac_f64_e32 v[64:65], v[58:59], v[22:23]
	v_fmac_f64_e32 v[40:41], v[60:61], v[22:23]
	v_fma_f64 v[64:65], -v[60:61], v[24:25], v[64:65]
	v_fmac_f64_e32 v[40:41], v[58:59], v[24:25]
	v_cvt_f64_f32_e32 v[58:59], v70
	v_cvt_f64_f32_e32 v[60:61], v71
	v_fmac_f64_e32 v[64:65], v[58:59], v[18:19]
	v_fmac_f64_e32 v[40:41], v[60:61], v[18:19]
	v_fma_f64 v[64:65], -v[60:61], v[20:21], v[64:65]
	v_fmac_f64_e32 v[40:41], v[58:59], v[20:21]
	;; [unrolled: 6-line block ×3, first 2 shown]
	v_cvt_f64_f32_e32 v[58:59], v36
	v_cvt_f64_f32_e32 v[36:37], v37
	v_fmac_f64_e32 v[60:61], v[58:59], v[10:11]
	v_fma_f64 v[34:35], -v[36:37], v[12:13], v[60:61]
	v_fmac_f64_e32 v[40:41], v[36:37], v[10:11]
	v_cvt_f64_f32_e32 v[36:37], v30
	v_cvt_f64_f32_e32 v[30:31], v31
	v_fmac_f64_e32 v[62:63], v[36:37], v[22:23]
	v_fmac_f64_e32 v[0:1], v[30:31], v[22:23]
	v_fmac_f64_e32 v[40:41], v[58:59], v[12:13]
	v_fma_f64 v[58:59], -v[30:31], v[24:25], v[62:63]
	v_fmac_f64_e32 v[0:1], v[36:37], v[24:25]
	v_cvt_f64_f32_e32 v[22:23], v32
	v_cvt_f64_f32_e32 v[24:25], v33
	v_fmac_f64_e32 v[58:59], v[22:23], v[18:19]
	v_fmac_f64_e32 v[0:1], v[24:25], v[18:19]
	v_fma_f64 v[30:31], -v[24:25], v[20:21], v[58:59]
	v_fmac_f64_e32 v[0:1], v[22:23], v[20:21]
	v_cvt_f64_f32_e32 v[18:19], v26
	v_cvt_f64_f32_e32 v[20:21], v27
	v_fmac_f64_e32 v[30:31], v[18:19], v[14:15]
	v_fmac_f64_e32 v[0:1], v[20:21], v[14:15]
	;; [unrolled: 6-line block ×3, first 2 shown]
	v_fma_f64 v[18:19], -v[16:17], v[12:13], v[22:23]
	v_fmac_f64_e32 v[0:1], v[14:15], v[12:13]
	s_andn2_b64 exec, exec, s[14:15]
	s_cbranch_execnz .LBB167_19
; %bb.20:
	s_or_b64 exec, exec, s[14:15]
.LBB167_21:
	s_or_b64 exec, exec, s[10:11]
.LBB167_22:
	s_or_b64 exec, exec, s[6:7]
	s_cbranch_execz .LBB167_24
	s_branch .LBB167_35
.LBB167_23:
                                        ; implicit-def: $vgpr44_vgpr45
                                        ; implicit-def: $vgpr56_vgpr57
                                        ; implicit-def: $vgpr42_vgpr43
                                        ; implicit-def: $vgpr54_vgpr55
                                        ; implicit-def: $vgpr40_vgpr41
                                        ; implicit-def: $vgpr34_vgpr35
                                        ; implicit-def: $vgpr0_vgpr1
                                        ; implicit-def: $vgpr18_vgpr19
.LBB167_24:
	v_mov_b64_e32 v[44:45], 0
	v_mov_b64_e32 v[56:57], 0
	;; [unrolled: 1-line block ×8, first 2 shown]
	s_and_saveexec_b64 s[6:7], s[2:3]
	s_cbranch_execz .LBB167_34
; %bb.25:
	v_add_u32_e32 v0, v67, v39
	v_subrev_u32_e32 v0, s12, v0
	v_add_u32_e32 v0, 16, v0
	v_max_i32_e32 v0, v0, v66
	v_not_b32_e32 v1, v67
	v_add3_u32 v0, s12, v0, v1
	v_sub_u32_e32 v14, v0, v39
	v_and_b32_e32 v0, 48, v14
	v_cmp_ne_u32_e32 vcc, 48, v0
	v_mov_b64_e32 v[18:19], 0
	v_mov_b64_e32 v[0:1], 0
	;; [unrolled: 1-line block ×8, first 2 shown]
	s_and_saveexec_b64 s[2:3], vcc
	s_cbranch_execz .LBB167_29
; %bb.26:
	v_lshrrev_b32_e32 v0, 4, v14
	v_add_u32_e32 v0, 1, v0
	v_and_b32_e32 v0, 3, v0
	v_sub_u32_e32 v15, 0, v0
	v_mov_b64_e32 v[44:45], 0
	s_mov_b64 s[10:11], 0
	s_mov_b64 s[14:15], 0x800
	v_mov_b64_e32 v[56:57], 0
	v_mov_b64_e32 v[42:43], 0
	;; [unrolled: 1-line block ×7, first 2 shown]
.LBB167_27:                             ; =>This Inner Loop Header: Depth=1
	global_load_dwordx4 v[20:23], v[48:49], off
	global_load_dwordx4 v[24:27], v[48:49], off offset:16
	global_load_dwordx4 v[28:31], v[48:49], off offset:32
	global_load_dwordx4 v[10:13], v[48:49], off offset:48
	global_load_dwordx4 v[50:53], v[48:49], off offset:64
	v_ashrrev_i32_e32 v47, 31, v46
	v_lshl_add_u64 v[16:17], v[46:47], 2, s[8:9]
	global_load_dword v47, v[16:17], off
	global_load_dwordx4 v[58:61], v[48:49], off offset:80
	global_load_dwordx4 v[62:65], v[48:49], off offset:96
	;; [unrolled: 1-line block ×3, first 2 shown]
	v_add_co_u32_e32 v15, vcc, 1, v15
	v_lshl_add_u64 v[48:49], v[48:49], 0, s[14:15]
	v_add_u32_e32 v46, 16, v46
	s_or_b64 s[10:11], vcc, s[10:11]
	s_waitcnt vmcnt(8)
	v_cvt_f64_f32_e32 v[16:17], v20
	v_cvt_f64_f32_e32 v[32:33], v21
	;; [unrolled: 1-line block ×3, first 2 shown]
	s_waitcnt vmcnt(5)
	v_cvt_f64_f32_e32 v[96:97], v12
	s_waitcnt vmcnt(3)
	v_subrev_u32_e32 v12, s12, v47
	v_lshlrev_b32_e32 v20, 2, v12
	v_ashrrev_i32_e32 v21, 31, v20
	s_waitcnt lgkmcnt(0)
	v_lshl_add_u64 v[98:99], v[20:21], 4, s[4:5]
	v_cvt_f64_f32_e32 v[76:77], v23
	v_cvt_f64_f32_e32 v[78:79], v24
	;; [unrolled: 1-line block ×9, first 2 shown]
	global_load_dwordx4 v[20:23], v[98:99], off
	global_load_dwordx4 v[24:27], v[98:99], off offset:16
	global_load_dwordx4 v[28:31], v[98:99], off offset:32
	global_load_dwordx4 v[72:75], v[98:99], off offset:48
	v_cvt_f64_f32_e32 v[94:95], v10
	v_cvt_f64_f32_e32 v[10:11], v11
	;; [unrolled: 1-line block ×7, first 2 shown]
	s_waitcnt vmcnt(6)
	v_cvt_f64_f32_e32 v[102:103], v58
	v_cvt_f64_f32_e32 v[58:59], v59
	v_cvt_f64_f32_e32 v[104:105], v60
	v_cvt_f64_f32_e32 v[60:61], v61
	s_waitcnt vmcnt(5)
	v_cvt_f64_f32_e32 v[106:107], v62
	v_cvt_f64_f32_e32 v[62:63], v63
	v_cvt_f64_f32_e32 v[108:109], v64
	v_cvt_f64_f32_e32 v[64:65], v65
	;; [unrolled: 5-line block ×3, first 2 shown]
	s_waitcnt vmcnt(3)
	v_fmac_f64_e32 v[56:57], v[16:17], v[20:21]
	v_fmac_f64_e32 v[44:45], v[32:33], v[20:21]
	v_fmac_f64_e32 v[54:55], v[36:37], v[20:21]
	v_fmac_f64_e32 v[42:43], v[76:77], v[20:21]
	v_fmac_f64_e32 v[34:35], v[78:79], v[20:21]
	v_fmac_f64_e32 v[40:41], v[80:81], v[20:21]
	v_fmac_f64_e32 v[18:19], v[82:83], v[20:21]
	v_fmac_f64_e32 v[0:1], v[84:85], v[20:21]
	v_fma_f64 v[20:21], -v[32:33], v[22:23], v[56:57]
	v_fmac_f64_e32 v[44:45], v[16:17], v[22:23]
	v_fma_f64 v[16:17], -v[76:77], v[22:23], v[54:55]
	v_fmac_f64_e32 v[42:43], v[36:37], v[22:23]
	v_fma_f64 v[32:33], -v[80:81], v[22:23], v[34:35]
	v_fmac_f64_e32 v[40:41], v[78:79], v[22:23]
	v_fma_f64 v[18:19], -v[84:85], v[22:23], v[18:19]
	v_fmac_f64_e32 v[0:1], v[82:83], v[22:23]
	s_waitcnt vmcnt(2)
	v_fmac_f64_e32 v[20:21], v[86:87], v[24:25]
	v_fmac_f64_e32 v[44:45], v[88:89], v[24:25]
	v_fmac_f64_e32 v[16:17], v[90:91], v[24:25]
	v_fmac_f64_e32 v[42:43], v[92:93], v[24:25]
	v_fmac_f64_e32 v[32:33], v[94:95], v[24:25]
	v_fmac_f64_e32 v[40:41], v[10:11], v[24:25]
	v_fmac_f64_e32 v[18:19], v[96:97], v[24:25]
	v_fmac_f64_e32 v[0:1], v[12:13], v[24:25]
	v_fma_f64 v[20:21], -v[88:89], v[26:27], v[20:21]
	v_fmac_f64_e32 v[44:45], v[86:87], v[26:27]
	v_fma_f64 v[16:17], -v[92:93], v[26:27], v[16:17]
	v_fmac_f64_e32 v[42:43], v[90:91], v[26:27]
	v_fma_f64 v[10:11], -v[10:11], v[26:27], v[32:33]
	v_fmac_f64_e32 v[40:41], v[94:95], v[26:27]
	v_fma_f64 v[12:13], -v[12:13], v[26:27], v[18:19]
	v_fmac_f64_e32 v[0:1], v[96:97], v[26:27]
	;; [unrolled: 17-line block ×4, first 2 shown]
	s_andn2_b64 exec, exec, s[10:11]
	s_cbranch_execnz .LBB167_27
; %bb.28:
	s_or_b64 exec, exec, s[10:11]
.LBB167_29:
	s_or_b64 exec, exec, s[2:3]
	v_cmp_lt_u32_e32 vcc, 47, v14
	s_and_saveexec_b64 s[2:3], vcc
	s_cbranch_execz .LBB167_33
; %bb.30:
	s_mov_b64 s[10:11], 0
	s_mov_b64 s[14:15], 0x1000
	s_movk_i32 s13, 0x1000
	s_mov_b64 s[16:17], 0x2000
.LBB167_31:                             ; =>This Inner Loop Header: Depth=1
	v_ashrrev_i32_e32 v47, 31, v46
	v_lshl_add_u64 v[30:31], v[46:47], 2, s[8:9]
	global_load_dword v10, v[30:31], off
	global_load_dwordx4 v[14:17], v[48:49], off offset:48
	global_load_dwordx4 v[20:23], v[48:49], off offset:32
	;; [unrolled: 1-line block ×3, first 2 shown]
	global_load_dwordx4 v[50:53], v[48:49], off
	v_add_u32_e32 v46, 64, v46
	s_waitcnt vmcnt(4)
	v_subrev_u32_e32 v10, s12, v10
	v_lshlrev_b32_e32 v10, 2, v10
	v_ashrrev_i32_e32 v11, 31, v10
	s_waitcnt lgkmcnt(0)
	v_lshl_add_u64 v[36:37], v[10:11], 4, s[4:5]
	global_load_dwordx4 v[10:13], v[36:37], off offset:48
	global_load_dwordx4 v[58:61], v[36:37], off offset:32
	;; [unrolled: 1-line block ×3, first 2 shown]
	global_load_dwordx4 v[68:71], v[36:37], off
	s_waitcnt vmcnt(4)
	v_cvt_f64_f32_e32 v[28:29], v50
	v_cvt_f64_f32_e32 v[32:33], v51
	s_waitcnt vmcnt(0)
	v_fmac_f64_e32 v[56:57], v[28:29], v[68:69]
	v_fma_f64 v[36:37], -v[32:33], v[70:71], v[56:57]
	v_fmac_f64_e32 v[44:45], v[32:33], v[68:69]
	v_cvt_f64_f32_e32 v[32:33], v53
	v_fmac_f64_e32 v[44:45], v[28:29], v[70:71]
	v_cvt_f64_f32_e32 v[28:29], v52
	v_fmac_f64_e32 v[42:43], v[32:33], v[68:69]
	v_fmac_f64_e32 v[54:55], v[28:29], v[68:69]
	;; [unrolled: 1-line block ×3, first 2 shown]
	v_cvt_f64_f32_e32 v[28:29], v24
	v_cvt_f64_f32_e32 v[24:25], v25
	v_fmac_f64_e32 v[34:35], v[28:29], v[68:69]
	v_fma_f64 v[50:51], -v[32:33], v[70:71], v[54:55]
	v_fma_f64 v[32:33], -v[24:25], v[70:71], v[34:35]
	v_fmac_f64_e32 v[40:41], v[24:25], v[68:69]
	v_cvt_f64_f32_e32 v[24:25], v26
	v_cvt_f64_f32_e32 v[26:27], v27
	v_fmac_f64_e32 v[0:1], v[26:27], v[68:69]
	v_fmac_f64_e32 v[18:19], v[24:25], v[68:69]
	;; [unrolled: 1-line block ×3, first 2 shown]
	v_cvt_f64_f32_e32 v[24:25], v20
	v_cvt_f64_f32_e32 v[20:21], v21
	v_fmac_f64_e32 v[36:37], v[24:25], v[62:63]
	v_fma_f64 v[34:35], -v[20:21], v[64:65], v[36:37]
	v_fmac_f64_e32 v[44:45], v[20:21], v[62:63]
	v_cvt_f64_f32_e32 v[20:21], v22
	v_cvt_f64_f32_e32 v[22:23], v23
	v_fmac_f64_e32 v[42:43], v[22:23], v[62:63]
	v_fmac_f64_e32 v[50:51], v[20:21], v[62:63]
	;; [unrolled: 1-line block ×3, first 2 shown]
	v_cvt_f64_f32_e32 v[20:21], v14
	v_fmac_f64_e32 v[40:41], v[28:29], v[70:71]
	v_cvt_f64_f32_e32 v[14:15], v15
	v_fmac_f64_e32 v[32:33], v[20:21], v[62:63]
	v_fma_f64 v[18:19], -v[26:27], v[70:71], v[18:19]
	v_fma_f64 v[32:33], -v[14:15], v[64:65], v[32:33]
	v_fmac_f64_e32 v[40:41], v[14:15], v[62:63]
	v_cvt_f64_f32_e32 v[14:15], v16
	v_cvt_f64_f32_e32 v[16:17], v17
	v_fmac_f64_e32 v[18:19], v[14:15], v[62:63]
	v_fmac_f64_e32 v[0:1], v[16:17], v[62:63]
	;; [unrolled: 1-line block ×3, first 2 shown]
	v_fma_f64 v[36:37], -v[22:23], v[64:65], v[50:51]
	v_fmac_f64_e32 v[40:41], v[20:21], v[64:65]
	v_fma_f64 v[50:51], -v[16:17], v[64:65], v[18:19]
	v_fmac_f64_e32 v[0:1], v[14:15], v[64:65]
	global_load_dwordx4 v[14:17], v[48:49], off offset:112
	global_load_dwordx4 v[18:21], v[48:49], off offset:96
	;; [unrolled: 1-line block ×4, first 2 shown]
	s_waitcnt vmcnt(0)
	v_cvt_f64_f32_e32 v[52:53], v26
	v_cvt_f64_f32_e32 v[26:27], v27
	v_fmac_f64_e32 v[34:35], v[52:53], v[58:59]
	v_fma_f64 v[34:35], -v[26:27], v[60:61], v[34:35]
	v_fmac_f64_e32 v[44:45], v[26:27], v[58:59]
	v_cvt_f64_f32_e32 v[26:27], v28
	v_cvt_f64_f32_e32 v[28:29], v29
	v_fmac_f64_e32 v[42:43], v[28:29], v[58:59]
	v_fmac_f64_e32 v[36:37], v[26:27], v[58:59]
	;; [unrolled: 1-line block ×3, first 2 shown]
	v_cvt_f64_f32_e32 v[26:27], v22
	v_cvt_f64_f32_e32 v[22:23], v23
	v_fmac_f64_e32 v[32:33], v[26:27], v[58:59]
	v_fma_f64 v[36:37], -v[28:29], v[60:61], v[36:37]
	v_fma_f64 v[28:29], -v[22:23], v[60:61], v[32:33]
	v_fmac_f64_e32 v[40:41], v[22:23], v[58:59]
	v_cvt_f64_f32_e32 v[22:23], v24
	v_cvt_f64_f32_e32 v[24:25], v25
	v_fmac_f64_e32 v[0:1], v[24:25], v[58:59]
	v_fmac_f64_e32 v[50:51], v[22:23], v[58:59]
	;; [unrolled: 1-line block ×3, first 2 shown]
	v_cvt_f64_f32_e32 v[22:23], v18
	v_fmac_f64_e32 v[44:45], v[52:53], v[60:61]
	v_cvt_f64_f32_e32 v[18:19], v19
	v_fmac_f64_e32 v[34:35], v[22:23], v[10:11]
	v_fmac_f64_e32 v[40:41], v[26:27], v[60:61]
	v_fma_f64 v[26:27], -v[24:25], v[60:61], v[50:51]
	v_fma_f64 v[50:51], -v[18:19], v[12:13], v[34:35]
	v_fmac_f64_e32 v[44:45], v[18:19], v[10:11]
	v_cvt_f64_f32_e32 v[18:19], v20
	v_cvt_f64_f32_e32 v[20:21], v21
	v_fmac_f64_e32 v[42:43], v[20:21], v[10:11]
	v_fmac_f64_e32 v[36:37], v[18:19], v[10:11]
	;; [unrolled: 1-line block ×3, first 2 shown]
	v_cvt_f64_f32_e32 v[18:19], v14
	v_cvt_f64_f32_e32 v[14:15], v15
	v_fmac_f64_e32 v[28:29], v[18:19], v[10:11]
	v_fma_f64 v[60:61], -v[14:15], v[12:13], v[28:29]
	v_fmac_f64_e32 v[40:41], v[14:15], v[10:11]
	v_cvt_f64_f32_e32 v[14:15], v16
	v_cvt_f64_f32_e32 v[16:17], v17
	v_fmac_f64_e32 v[26:27], v[14:15], v[10:11]
	v_fmac_f64_e32 v[0:1], v[16:17], v[10:11]
	global_load_dword v10, v[30:31], off offset:64
	v_fmac_f64_e32 v[44:45], v[22:23], v[12:13]
	v_fma_f64 v[36:37], -v[20:21], v[12:13], v[36:37]
	v_fmac_f64_e32 v[40:41], v[18:19], v[12:13]
	v_fma_f64 v[62:63], -v[16:17], v[12:13], v[26:27]
	global_load_dwordx4 v[18:21], v[48:49], off offset:2096
	global_load_dwordx4 v[22:25], v[48:49], off offset:2080
	;; [unrolled: 1-line block ×4, first 2 shown]
	v_fmac_f64_e32 v[0:1], v[14:15], v[12:13]
	s_waitcnt vmcnt(4)
	v_subrev_u32_e32 v10, s12, v10
	v_lshlrev_b32_e32 v10, 2, v10
	v_ashrrev_i32_e32 v11, 31, v10
	v_lshl_add_u64 v[68:69], v[10:11], 4, s[4:5]
	global_load_dwordx4 v[10:13], v[68:69], off offset:48
	global_load_dwordx4 v[14:17], v[68:69], off offset:32
	;; [unrolled: 1-line block ×3, first 2 shown]
	global_load_dwordx4 v[56:59], v[68:69], off
	s_waitcnt vmcnt(4)
	v_cvt_f64_f32_e32 v[64:65], v32
	v_cvt_f64_f32_e32 v[32:33], v33
	s_waitcnt vmcnt(0)
	v_fmac_f64_e32 v[50:51], v[64:65], v[56:57]
	v_fma_f64 v[50:51], -v[32:33], v[58:59], v[50:51]
	v_fmac_f64_e32 v[44:45], v[32:33], v[56:57]
	v_cvt_f64_f32_e32 v[32:33], v34
	v_cvt_f64_f32_e32 v[34:35], v35
	v_fmac_f64_e32 v[42:43], v[34:35], v[56:57]
	v_fmac_f64_e32 v[36:37], v[32:33], v[56:57]
	v_fmac_f64_e32 v[42:43], v[32:33], v[58:59]
	v_cvt_f64_f32_e32 v[32:33], v26
	v_cvt_f64_f32_e32 v[26:27], v27
	v_fmac_f64_e32 v[60:61], v[32:33], v[56:57]
	v_fma_f64 v[36:37], -v[34:35], v[58:59], v[36:37]
	v_fma_f64 v[34:35], -v[26:27], v[58:59], v[60:61]
	v_fmac_f64_e32 v[40:41], v[26:27], v[56:57]
	v_cvt_f64_f32_e32 v[26:27], v28
	v_cvt_f64_f32_e32 v[28:29], v29
	v_fmac_f64_e32 v[0:1], v[28:29], v[56:57]
	v_fmac_f64_e32 v[62:63], v[26:27], v[56:57]
	;; [unrolled: 1-line block ×3, first 2 shown]
	v_cvt_f64_f32_e32 v[26:27], v22
	v_fmac_f64_e32 v[44:45], v[64:65], v[58:59]
	v_cvt_f64_f32_e32 v[22:23], v23
	v_fmac_f64_e32 v[50:51], v[26:27], v[52:53]
	v_fma_f64 v[50:51], -v[22:23], v[54:55], v[50:51]
	v_fmac_f64_e32 v[44:45], v[22:23], v[52:53]
	v_cvt_f64_f32_e32 v[22:23], v24
	v_cvt_f64_f32_e32 v[24:25], v25
	v_fmac_f64_e32 v[42:43], v[24:25], v[52:53]
	v_fmac_f64_e32 v[36:37], v[22:23], v[52:53]
	;; [unrolled: 1-line block ×3, first 2 shown]
	v_cvt_f64_f32_e32 v[22:23], v18
	v_fmac_f64_e32 v[40:41], v[32:33], v[58:59]
	v_cvt_f64_f32_e32 v[18:19], v19
	v_fmac_f64_e32 v[34:35], v[22:23], v[52:53]
	v_fma_f64 v[60:61], -v[28:29], v[58:59], v[62:63]
	v_fma_f64 v[34:35], -v[18:19], v[54:55], v[34:35]
	v_fmac_f64_e32 v[40:41], v[18:19], v[52:53]
	v_cvt_f64_f32_e32 v[18:19], v20
	v_cvt_f64_f32_e32 v[20:21], v21
	v_fmac_f64_e32 v[60:61], v[18:19], v[52:53]
	v_fmac_f64_e32 v[0:1], v[20:21], v[52:53]
	;; [unrolled: 1-line block ×3, first 2 shown]
	v_fma_f64 v[32:33], -v[24:25], v[54:55], v[36:37]
	v_fmac_f64_e32 v[40:41], v[22:23], v[54:55]
	v_fma_f64 v[36:37], -v[20:21], v[54:55], v[60:61]
	v_fmac_f64_e32 v[0:1], v[18:19], v[54:55]
	global_load_dwordx4 v[18:21], v[48:49], off offset:2160
	global_load_dwordx4 v[22:25], v[48:49], off offset:2144
	global_load_dwordx4 v[26:29], v[48:49], off offset:2128
	global_load_dwordx4 v[52:55], v[48:49], off offset:2112
	s_waitcnt vmcnt(0)
	v_cvt_f64_f32_e32 v[56:57], v52
	v_cvt_f64_f32_e32 v[52:53], v53
	v_fmac_f64_e32 v[50:51], v[56:57], v[14:15]
	v_fma_f64 v[50:51], -v[52:53], v[16:17], v[50:51]
	v_fmac_f64_e32 v[44:45], v[52:53], v[14:15]
	v_cvt_f64_f32_e32 v[52:53], v54
	v_cvt_f64_f32_e32 v[54:55], v55
	v_fmac_f64_e32 v[42:43], v[54:55], v[14:15]
	v_fmac_f64_e32 v[32:33], v[52:53], v[14:15]
	;; [unrolled: 1-line block ×3, first 2 shown]
	v_cvt_f64_f32_e32 v[52:53], v26
	v_cvt_f64_f32_e32 v[26:27], v27
	v_fmac_f64_e32 v[34:35], v[52:53], v[14:15]
	v_fma_f64 v[34:35], -v[26:27], v[16:17], v[34:35]
	v_fmac_f64_e32 v[40:41], v[26:27], v[14:15]
	v_cvt_f64_f32_e32 v[26:27], v28
	v_cvt_f64_f32_e32 v[28:29], v29
	v_fmac_f64_e32 v[36:37], v[26:27], v[14:15]
	v_fmac_f64_e32 v[0:1], v[28:29], v[14:15]
	;; [unrolled: 1-line block ×3, first 2 shown]
	v_fma_f64 v[32:33], -v[54:55], v[16:17], v[32:33]
	v_fmac_f64_e32 v[40:41], v[52:53], v[16:17]
	v_fma_f64 v[36:37], -v[28:29], v[16:17], v[36:37]
	v_fmac_f64_e32 v[0:1], v[26:27], v[16:17]
	v_cvt_f64_f32_e32 v[14:15], v22
	v_cvt_f64_f32_e32 v[16:17], v23
	v_fmac_f64_e32 v[50:51], v[14:15], v[10:11]
	v_fmac_f64_e32 v[44:45], v[16:17], v[10:11]
	v_fma_f64 v[58:59], -v[16:17], v[12:13], v[50:51]
	v_fmac_f64_e32 v[44:45], v[14:15], v[12:13]
	v_cvt_f64_f32_e32 v[14:15], v24
	v_cvt_f64_f32_e32 v[16:17], v25
	v_fmac_f64_e32 v[32:33], v[14:15], v[10:11]
	;; [unrolled: 6-line block ×4, first 2 shown]
	v_fmac_f64_e32 v[0:1], v[16:17], v[10:11]
	global_load_dword v10, v[30:31], off offset:128
	v_add_co_u32_e32 v28, vcc, s13, v48
	v_fma_f64 v[64:65], -v[16:17], v[12:13], v[36:37]
	s_nop 0
	v_addc_co_u32_e32 v29, vcc, 0, v49, vcc
	v_fmac_f64_e32 v[0:1], v[14:15], v[12:13]
	v_lshl_add_u64 v[32:33], v[48:49], 0, s[14:15]
	v_cmp_ge_i32_e32 vcc, v46, v66
	v_lshl_add_u64 v[48:49], v[48:49], 0, s[16:17]
	s_or_b64 s[10:11], vcc, s[10:11]
	s_waitcnt vmcnt(0)
	v_subrev_u32_e32 v10, s12, v10
	v_lshlrev_b32_e32 v26, 2, v10
	v_ashrrev_i32_e32 v27, 31, v26
	v_lshl_add_u64 v[70:71], v[26:27], 4, s[4:5]
	global_load_dwordx4 v[10:13], v[28:29], off
	global_load_dwordx4 v[14:17], v[32:33], off offset:48
	global_load_dwordx4 v[18:21], v[32:33], off offset:32
	global_load_dwordx4 v[22:25], v[32:33], off offset:16
	s_nop 0
	global_load_dwordx4 v[26:29], v[70:71], off offset:48
	global_load_dwordx4 v[34:37], v[70:71], off offset:32
	;; [unrolled: 1-line block ×3, first 2 shown]
	global_load_dwordx4 v[54:57], v[70:71], off
	s_waitcnt vmcnt(7)
	v_cvt_f64_f32_e32 v[68:69], v10
	v_cvt_f64_f32_e32 v[10:11], v11
	s_waitcnt vmcnt(0)
	v_fmac_f64_e32 v[58:59], v[68:69], v[54:55]
	v_fma_f64 v[58:59], -v[10:11], v[56:57], v[58:59]
	v_fmac_f64_e32 v[44:45], v[10:11], v[54:55]
	v_cvt_f64_f32_e32 v[10:11], v12
	v_cvt_f64_f32_e32 v[12:13], v13
	v_fmac_f64_e32 v[60:61], v[10:11], v[54:55]
	v_fmac_f64_e32 v[42:43], v[12:13], v[54:55]
	v_fma_f64 v[60:61], -v[12:13], v[56:57], v[60:61]
	v_fmac_f64_e32 v[42:43], v[10:11], v[56:57]
	v_cvt_f64_f32_e32 v[10:11], v22
	v_cvt_f64_f32_e32 v[12:13], v23
	v_fmac_f64_e32 v[62:63], v[10:11], v[54:55]
	;; [unrolled: 6-line block ×3, first 2 shown]
	v_fmac_f64_e32 v[0:1], v[12:13], v[54:55]
	v_fmac_f64_e32 v[44:45], v[68:69], v[56:57]
	v_fma_f64 v[24:25], -v[12:13], v[56:57], v[64:65]
	v_fmac_f64_e32 v[0:1], v[10:11], v[56:57]
	v_cvt_f64_f32_e32 v[10:11], v18
	v_cvt_f64_f32_e32 v[12:13], v19
	v_fmac_f64_e32 v[58:59], v[10:11], v[50:51]
	v_fmac_f64_e32 v[44:45], v[12:13], v[50:51]
	v_fma_f64 v[54:55], -v[12:13], v[52:53], v[58:59]
	v_fmac_f64_e32 v[44:45], v[10:11], v[52:53]
	v_cvt_f64_f32_e32 v[10:11], v20
	v_cvt_f64_f32_e32 v[12:13], v21
	;; [unrolled: 6-line block ×4, first 2 shown]
	v_fmac_f64_e32 v[24:25], v[10:11], v[50:51]
	v_fmac_f64_e32 v[0:1], v[12:13], v[50:51]
	v_fma_f64 v[60:61], -v[12:13], v[52:53], v[24:25]
	v_fmac_f64_e32 v[0:1], v[10:11], v[52:53]
	global_load_dwordx4 v[10:13], v[32:33], off offset:112
	global_load_dwordx4 v[14:17], v[32:33], off offset:96
	;; [unrolled: 1-line block ×4, first 2 shown]
	s_waitcnt vmcnt(0)
	v_cvt_f64_f32_e32 v[50:51], v22
	v_cvt_f64_f32_e32 v[22:23], v23
	v_fmac_f64_e32 v[54:55], v[50:51], v[34:35]
	v_fma_f64 v[52:53], -v[22:23], v[36:37], v[54:55]
	v_fmac_f64_e32 v[44:45], v[22:23], v[34:35]
	v_cvt_f64_f32_e32 v[22:23], v24
	v_cvt_f64_f32_e32 v[24:25], v25
	v_fmac_f64_e32 v[42:43], v[24:25], v[34:35]
	v_fmac_f64_e32 v[56:57], v[22:23], v[34:35]
	;; [unrolled: 1-line block ×3, first 2 shown]
	v_cvt_f64_f32_e32 v[22:23], v18
	v_cvt_f64_f32_e32 v[18:19], v19
	v_fmac_f64_e32 v[58:59], v[22:23], v[34:35]
	v_fmac_f64_e32 v[44:45], v[50:51], v[36:37]
	v_fma_f64 v[50:51], -v[24:25], v[36:37], v[56:57]
	v_fma_f64 v[24:25], -v[18:19], v[36:37], v[58:59]
	v_fmac_f64_e32 v[40:41], v[18:19], v[34:35]
	v_cvt_f64_f32_e32 v[18:19], v20
	v_cvt_f64_f32_e32 v[20:21], v21
	v_fmac_f64_e32 v[60:61], v[18:19], v[34:35]
	v_fma_f64 v[54:55], -v[20:21], v[36:37], v[60:61]
	v_fmac_f64_e32 v[0:1], v[20:21], v[34:35]
	v_cvt_f64_f32_e32 v[20:21], v14
	v_cvt_f64_f32_e32 v[14:15], v15
	v_fmac_f64_e32 v[52:53], v[20:21], v[26:27]
	v_fmac_f64_e32 v[0:1], v[18:19], v[36:37]
	v_fma_f64 v[18:19], -v[14:15], v[28:29], v[52:53]
	v_fmac_f64_e32 v[44:45], v[14:15], v[26:27]
	v_cvt_f64_f32_e32 v[14:15], v16
	v_cvt_f64_f32_e32 v[16:17], v17
	v_fmac_f64_e32 v[42:43], v[16:17], v[26:27]
	v_fmac_f64_e32 v[50:51], v[14:15], v[26:27]
	;; [unrolled: 1-line block ×3, first 2 shown]
	v_cvt_f64_f32_e32 v[14:15], v10
	v_fmac_f64_e32 v[40:41], v[22:23], v[36:37]
	v_cvt_f64_f32_e32 v[10:11], v11
	v_fmac_f64_e32 v[24:25], v[14:15], v[26:27]
	v_fma_f64 v[22:23], -v[10:11], v[28:29], v[24:25]
	v_fmac_f64_e32 v[40:41], v[10:11], v[26:27]
	v_cvt_f64_f32_e32 v[10:11], v12
	v_cvt_f64_f32_e32 v[12:13], v13
	v_fmac_f64_e32 v[0:1], v[12:13], v[26:27]
	v_fmac_f64_e32 v[54:55], v[10:11], v[26:27]
	;; [unrolled: 1-line block ×3, first 2 shown]
	global_load_dword v10, v[30:31], off offset:192
	v_fmac_f64_e32 v[44:45], v[20:21], v[28:29]
	v_fma_f64 v[20:21], -v[16:17], v[28:29], v[50:51]
	v_fmac_f64_e32 v[40:41], v[14:15], v[28:29]
	v_fma_f64 v[24:25], -v[12:13], v[28:29], v[54:55]
	global_load_dwordx4 v[26:29], v[32:33], off offset:2096
	global_load_dwordx4 v[34:37], v[32:33], off offset:2080
	;; [unrolled: 1-line block ×4, first 2 shown]
	s_waitcnt vmcnt(4)
	v_subrev_u32_e32 v10, s12, v10
	v_lshlrev_b32_e32 v10, 2, v10
	v_ashrrev_i32_e32 v11, 31, v10
	v_lshl_add_u64 v[68:69], v[10:11], 4, s[4:5]
	global_load_dwordx4 v[10:13], v[68:69], off offset:48
	global_load_dwordx4 v[14:17], v[68:69], off offset:32
	;; [unrolled: 1-line block ×3, first 2 shown]
	global_load_dwordx4 v[62:65], v[68:69], off
	s_waitcnt vmcnt(4)
	v_cvt_f64_f32_e32 v[30:31], v54
	v_cvt_f64_f32_e32 v[54:55], v55
	s_waitcnt vmcnt(0)
	v_fmac_f64_e32 v[18:19], v[30:31], v[62:63]
	v_fma_f64 v[18:19], -v[54:55], v[64:65], v[18:19]
	v_fmac_f64_e32 v[44:45], v[54:55], v[62:63]
	v_cvt_f64_f32_e32 v[54:55], v57
	v_fmac_f64_e32 v[44:45], v[30:31], v[64:65]
	v_cvt_f64_f32_e32 v[30:31], v56
	v_fmac_f64_e32 v[42:43], v[54:55], v[62:63]
	v_fmac_f64_e32 v[20:21], v[30:31], v[62:63]
	;; [unrolled: 1-line block ×3, first 2 shown]
	v_cvt_f64_f32_e32 v[30:31], v50
	v_cvt_f64_f32_e32 v[50:51], v51
	v_fmac_f64_e32 v[22:23], v[30:31], v[62:63]
	v_fma_f64 v[22:23], -v[50:51], v[64:65], v[22:23]
	v_fmac_f64_e32 v[40:41], v[50:51], v[62:63]
	v_cvt_f64_f32_e32 v[50:51], v53
	v_fmac_f64_e32 v[40:41], v[30:31], v[64:65]
	v_cvt_f64_f32_e32 v[30:31], v52
	v_fmac_f64_e32 v[0:1], v[50:51], v[62:63]
	v_fmac_f64_e32 v[24:25], v[30:31], v[62:63]
	;; [unrolled: 1-line block ×3, first 2 shown]
	v_cvt_f64_f32_e32 v[30:31], v34
	v_cvt_f64_f32_e32 v[34:35], v35
	v_fmac_f64_e32 v[18:19], v[30:31], v[58:59]
	v_fmac_f64_e32 v[44:45], v[34:35], v[58:59]
	v_fma_f64 v[20:21], -v[54:55], v[64:65], v[20:21]
	v_fma_f64 v[24:25], -v[50:51], v[64:65], v[24:25]
	;; [unrolled: 1-line block ×3, first 2 shown]
	v_fmac_f64_e32 v[44:45], v[30:31], v[60:61]
	v_cvt_f64_f32_e32 v[18:19], v36
	v_cvt_f64_f32_e32 v[30:31], v37
	v_fmac_f64_e32 v[20:21], v[18:19], v[58:59]
	v_fmac_f64_e32 v[42:43], v[30:31], v[58:59]
	v_fma_f64 v[36:37], -v[30:31], v[60:61], v[20:21]
	v_fmac_f64_e32 v[42:43], v[18:19], v[60:61]
	v_cvt_f64_f32_e32 v[18:19], v26
	v_cvt_f64_f32_e32 v[20:21], v27
	v_fmac_f64_e32 v[22:23], v[18:19], v[58:59]
	v_fmac_f64_e32 v[40:41], v[20:21], v[58:59]
	v_fma_f64 v[34:35], -v[20:21], v[60:61], v[22:23]
	;; [unrolled: 6-line block ×3, first 2 shown]
	v_fmac_f64_e32 v[0:1], v[18:19], v[60:61]
	global_load_dwordx4 v[18:21], v[32:33], off offset:2160
	global_load_dwordx4 v[22:25], v[32:33], off offset:2144
	;; [unrolled: 1-line block ×4, first 2 shown]
	s_waitcnt vmcnt(0)
	v_cvt_f64_f32_e32 v[32:33], v52
	v_cvt_f64_f32_e32 v[52:53], v53
	v_fmac_f64_e32 v[50:51], v[32:33], v[14:15]
	v_fma_f64 v[50:51], -v[52:53], v[16:17], v[50:51]
	v_fmac_f64_e32 v[44:45], v[52:53], v[14:15]
	v_cvt_f64_f32_e32 v[52:53], v55
	v_fmac_f64_e32 v[44:45], v[32:33], v[16:17]
	v_cvt_f64_f32_e32 v[32:33], v54
	v_fmac_f64_e32 v[42:43], v[52:53], v[14:15]
	v_fmac_f64_e32 v[36:37], v[32:33], v[14:15]
	;; [unrolled: 1-line block ×3, first 2 shown]
	v_cvt_f64_f32_e32 v[32:33], v26
	v_cvt_f64_f32_e32 v[26:27], v27
	v_fmac_f64_e32 v[34:35], v[32:33], v[14:15]
	v_fma_f64 v[34:35], -v[26:27], v[16:17], v[34:35]
	v_fmac_f64_e32 v[40:41], v[26:27], v[14:15]
	v_cvt_f64_f32_e32 v[26:27], v28
	v_cvt_f64_f32_e32 v[28:29], v29
	v_fmac_f64_e32 v[30:31], v[26:27], v[14:15]
	v_fmac_f64_e32 v[0:1], v[28:29], v[14:15]
	v_fma_f64 v[36:37], -v[52:53], v[16:17], v[36:37]
	v_fmac_f64_e32 v[40:41], v[32:33], v[16:17]
	v_fma_f64 v[30:31], -v[28:29], v[16:17], v[30:31]
	v_fmac_f64_e32 v[0:1], v[26:27], v[16:17]
	v_cvt_f64_f32_e32 v[14:15], v22
	v_cvt_f64_f32_e32 v[16:17], v23
	v_fmac_f64_e32 v[50:51], v[14:15], v[10:11]
	v_fmac_f64_e32 v[44:45], v[16:17], v[10:11]
	v_fma_f64 v[56:57], -v[16:17], v[12:13], v[50:51]
	v_fmac_f64_e32 v[44:45], v[14:15], v[12:13]
	v_cvt_f64_f32_e32 v[14:15], v24
	v_cvt_f64_f32_e32 v[16:17], v25
	v_fmac_f64_e32 v[36:37], v[14:15], v[10:11]
	;; [unrolled: 6-line block ×4, first 2 shown]
	v_fmac_f64_e32 v[0:1], v[16:17], v[10:11]
	v_fma_f64 v[18:19], -v[16:17], v[12:13], v[30:31]
	v_fmac_f64_e32 v[0:1], v[14:15], v[12:13]
	s_andn2_b64 exec, exec, s[10:11]
	s_cbranch_execnz .LBB167_31
; %bb.32:
	s_or_b64 exec, exec, s[10:11]
.LBB167_33:
	s_or_b64 exec, exec, s[2:3]
.LBB167_34:
	s_or_b64 exec, exec, s[6:7]
.LBB167_35:
	v_mov_b32_dpp v32, v40 row_shr:1 row_mask:0xf bank_mask:0xf
	v_mov_b32_dpp v33, v41 row_shr:1 row_mask:0xf bank_mask:0xf
	;; [unrolled: 1-line block ×12, first 2 shown]
	v_add_f64 v[32:33], v[40:41], v[32:33]
	v_mov_b32_dpp v36, v18 row_shr:1 row_mask:0xf bank_mask:0xf
	v_mov_b32_dpp v37, v19 row_shr:1 row_mask:0xf bank_mask:0xf
	;; [unrolled: 1-line block ×4, first 2 shown]
	v_add_f64 v[10:11], v[56:57], v[10:11]
	v_add_f64 v[14:15], v[44:45], v[14:15]
	;; [unrolled: 1-line block ×7, first 2 shown]
	v_mov_b32_dpp v12, v10 row_shr:2 row_mask:0xf bank_mask:0xf
	v_mov_b32_dpp v13, v11 row_shr:2 row_mask:0xf bank_mask:0xf
	;; [unrolled: 1-line block ×16, first 2 shown]
	v_add_f64 v[10:11], v[10:11], v[12:13]
	v_add_f64 v[14:15], v[14:15], v[16:17]
	;; [unrolled: 1-line block ×8, first 2 shown]
	v_mov_b32_dpp v12, v10 row_shr:4 row_mask:0xf bank_mask:0xe
	v_mov_b32_dpp v13, v11 row_shr:4 row_mask:0xf bank_mask:0xe
	;; [unrolled: 1-line block ×16, first 2 shown]
	v_add_f64 v[10:11], v[10:11], v[12:13]
	v_add_f64 v[14:15], v[14:15], v[16:17]
	;; [unrolled: 1-line block ×8, first 2 shown]
	v_mov_b32_dpp v12, v10 row_shr:8 row_mask:0xf bank_mask:0xc
	v_mov_b32_dpp v13, v11 row_shr:8 row_mask:0xf bank_mask:0xc
	;; [unrolled: 1-line block ×16, first 2 shown]
	v_cmp_eq_u32_e32 vcc, 15, v39
	s_and_b64 exec, exec, vcc
	s_cbranch_execz .LBB167_8
; %bb.36:
	s_load_dwordx2 s[2:3], s[0:1], 0x60
	v_add_f64 v[42:43], v[10:11], v[12:13]
	v_add_f64 v[10:11], v[14:15], v[16:17]
	;; [unrolled: 1-line block ×8, first 2 shown]
	v_cmp_eq_f64_e32 vcc, 0, v[2:3]
	v_cmp_eq_f64_e64 s[0:1], 0, v[4:5]
	v_mul_f64 v[22:23], v[10:11], -v[8:9]
	v_mul_f64 v[24:25], v[6:7], v[10:11]
	v_mul_f64 v[18:19], v[12:13], -v[8:9]
	v_mul_f64 v[20:21], v[6:7], v[12:13]
	;; [unrolled: 2-line block ×4, first 2 shown]
	s_and_b64 s[0:1], vcc, s[0:1]
	v_fmac_f64_e32 v[22:23], v[6:7], v[42:43]
	v_fmac_f64_e32 v[24:25], v[8:9], v[42:43]
	v_lshlrev_b32_e32 v0, 2, v38
	v_fmac_f64_e32 v[18:19], v[6:7], v[44:45]
	v_fmac_f64_e32 v[20:21], v[8:9], v[44:45]
	v_fmac_f64_e32 v[14:15], v[6:7], v[26:27]
	v_fmac_f64_e32 v[16:17], v[8:9], v[26:27]
	v_fmac_f64_e32 v[10:11], v[6:7], v[28:29]
	v_fmac_f64_e32 v[12:13], v[8:9], v[28:29]
	s_waitcnt lgkmcnt(0)
	s_and_saveexec_b64 s[4:5], s[0:1]
	s_xor_b64 s[0:1], exec, s[4:5]
	s_cbranch_execz .LBB167_38
; %bb.37:
	v_ashrrev_i32_e32 v1, 31, v0
	v_lshl_add_u64 v[0:1], v[0:1], 4, s[2:3]
	global_store_dwordx4 v[0:1], v[22:25], off
	global_store_dwordx4 v[0:1], v[18:21], off offset:16
	global_store_dwordx4 v[0:1], v[14:17], off offset:32
	;; [unrolled: 1-line block ×3, first 2 shown]
                                        ; implicit-def: $vgpr4_vgpr5
                                        ; implicit-def: $vgpr22_vgpr23
                                        ; implicit-def: $vgpr0
                                        ; implicit-def: $vgpr18_vgpr19
                                        ; implicit-def: $vgpr14_vgpr15
                                        ; implicit-def: $vgpr10_vgpr11
.LBB167_38:
	s_andn2_saveexec_b64 s[0:1], s[0:1]
	s_cbranch_execz .LBB167_8
; %bb.39:
	v_ashrrev_i32_e32 v1, 31, v0
	v_lshl_add_u64 v[0:1], v[0:1], 4, s[2:3]
	global_load_dwordx4 v[6:9], v[0:1], off
	global_load_dwordx4 v[26:29], v[0:1], off offset:16
	global_load_dwordx4 v[30:33], v[0:1], off offset:32
	global_load_dwordx4 v[34:37], v[0:1], off offset:48
	s_waitcnt vmcnt(3)
	v_fmac_f64_e32 v[22:23], v[2:3], v[6:7]
	v_fmac_f64_e32 v[24:25], v[4:5], v[6:7]
	s_waitcnt vmcnt(2)
	v_fmac_f64_e32 v[18:19], v[2:3], v[26:27]
	v_fmac_f64_e32 v[20:21], v[4:5], v[26:27]
	;; [unrolled: 3-line block ×4, first 2 shown]
	v_fma_f64 v[22:23], -v[4:5], v[8:9], v[22:23]
	v_fmac_f64_e32 v[24:25], v[2:3], v[8:9]
	v_fma_f64 v[18:19], -v[4:5], v[28:29], v[18:19]
	v_fmac_f64_e32 v[20:21], v[2:3], v[28:29]
	;; [unrolled: 2-line block ×4, first 2 shown]
	global_store_dwordx4 v[0:1], v[22:25], off
	global_store_dwordx4 v[0:1], v[18:21], off offset:16
	global_store_dwordx4 v[0:1], v[14:17], off offset:32
	;; [unrolled: 1-line block ×3, first 2 shown]
	s_endpgm
	.section	.rodata,"a",@progbits
	.p2align	6, 0x0
	.amdhsa_kernel _ZN9rocsparseL18bsrxmvn_4x4_kernelILj128ELj16E21rocsparse_complex_numIdEiiS1_IfES2_S2_EEvT3_20rocsparse_direction_NS_24const_host_device_scalarIT1_EES4_PKS4_PKT2_SD_SA_PKT4_PKT5_S8_PT6_21rocsparse_index_base_b
		.amdhsa_group_segment_fixed_size 0
		.amdhsa_private_segment_fixed_size 0
		.amdhsa_kernarg_size 112
		.amdhsa_user_sgpr_count 2
		.amdhsa_user_sgpr_dispatch_ptr 0
		.amdhsa_user_sgpr_queue_ptr 0
		.amdhsa_user_sgpr_kernarg_segment_ptr 1
		.amdhsa_user_sgpr_dispatch_id 0
		.amdhsa_user_sgpr_kernarg_preload_length 0
		.amdhsa_user_sgpr_kernarg_preload_offset 0
		.amdhsa_user_sgpr_private_segment_size 0
		.amdhsa_uses_dynamic_stack 0
		.amdhsa_enable_private_segment 0
		.amdhsa_system_sgpr_workgroup_id_x 1
		.amdhsa_system_sgpr_workgroup_id_y 0
		.amdhsa_system_sgpr_workgroup_id_z 0
		.amdhsa_system_sgpr_workgroup_info 0
		.amdhsa_system_vgpr_workitem_id 0
		.amdhsa_next_free_vgpr 118
		.amdhsa_next_free_sgpr 20
		.amdhsa_accum_offset 120
		.amdhsa_reserve_vcc 1
		.amdhsa_float_round_mode_32 0
		.amdhsa_float_round_mode_16_64 0
		.amdhsa_float_denorm_mode_32 3
		.amdhsa_float_denorm_mode_16_64 3
		.amdhsa_dx10_clamp 1
		.amdhsa_ieee_mode 1
		.amdhsa_fp16_overflow 0
		.amdhsa_tg_split 0
		.amdhsa_exception_fp_ieee_invalid_op 0
		.amdhsa_exception_fp_denorm_src 0
		.amdhsa_exception_fp_ieee_div_zero 0
		.amdhsa_exception_fp_ieee_overflow 0
		.amdhsa_exception_fp_ieee_underflow 0
		.amdhsa_exception_fp_ieee_inexact 0
		.amdhsa_exception_int_div_zero 0
	.end_amdhsa_kernel
	.section	.text._ZN9rocsparseL18bsrxmvn_4x4_kernelILj128ELj16E21rocsparse_complex_numIdEiiS1_IfES2_S2_EEvT3_20rocsparse_direction_NS_24const_host_device_scalarIT1_EES4_PKS4_PKT2_SD_SA_PKT4_PKT5_S8_PT6_21rocsparse_index_base_b,"axG",@progbits,_ZN9rocsparseL18bsrxmvn_4x4_kernelILj128ELj16E21rocsparse_complex_numIdEiiS1_IfES2_S2_EEvT3_20rocsparse_direction_NS_24const_host_device_scalarIT1_EES4_PKS4_PKT2_SD_SA_PKT4_PKT5_S8_PT6_21rocsparse_index_base_b,comdat
.Lfunc_end167:
	.size	_ZN9rocsparseL18bsrxmvn_4x4_kernelILj128ELj16E21rocsparse_complex_numIdEiiS1_IfES2_S2_EEvT3_20rocsparse_direction_NS_24const_host_device_scalarIT1_EES4_PKS4_PKT2_SD_SA_PKT4_PKT5_S8_PT6_21rocsparse_index_base_b, .Lfunc_end167-_ZN9rocsparseL18bsrxmvn_4x4_kernelILj128ELj16E21rocsparse_complex_numIdEiiS1_IfES2_S2_EEvT3_20rocsparse_direction_NS_24const_host_device_scalarIT1_EES4_PKS4_PKT2_SD_SA_PKT4_PKT5_S8_PT6_21rocsparse_index_base_b
                                        ; -- End function
	.set _ZN9rocsparseL18bsrxmvn_4x4_kernelILj128ELj16E21rocsparse_complex_numIdEiiS1_IfES2_S2_EEvT3_20rocsparse_direction_NS_24const_host_device_scalarIT1_EES4_PKS4_PKT2_SD_SA_PKT4_PKT5_S8_PT6_21rocsparse_index_base_b.num_vgpr, 118
	.set _ZN9rocsparseL18bsrxmvn_4x4_kernelILj128ELj16E21rocsparse_complex_numIdEiiS1_IfES2_S2_EEvT3_20rocsparse_direction_NS_24const_host_device_scalarIT1_EES4_PKS4_PKT2_SD_SA_PKT4_PKT5_S8_PT6_21rocsparse_index_base_b.num_agpr, 0
	.set _ZN9rocsparseL18bsrxmvn_4x4_kernelILj128ELj16E21rocsparse_complex_numIdEiiS1_IfES2_S2_EEvT3_20rocsparse_direction_NS_24const_host_device_scalarIT1_EES4_PKS4_PKT2_SD_SA_PKT4_PKT5_S8_PT6_21rocsparse_index_base_b.numbered_sgpr, 20
	.set _ZN9rocsparseL18bsrxmvn_4x4_kernelILj128ELj16E21rocsparse_complex_numIdEiiS1_IfES2_S2_EEvT3_20rocsparse_direction_NS_24const_host_device_scalarIT1_EES4_PKS4_PKT2_SD_SA_PKT4_PKT5_S8_PT6_21rocsparse_index_base_b.num_named_barrier, 0
	.set _ZN9rocsparseL18bsrxmvn_4x4_kernelILj128ELj16E21rocsparse_complex_numIdEiiS1_IfES2_S2_EEvT3_20rocsparse_direction_NS_24const_host_device_scalarIT1_EES4_PKS4_PKT2_SD_SA_PKT4_PKT5_S8_PT6_21rocsparse_index_base_b.private_seg_size, 0
	.set _ZN9rocsparseL18bsrxmvn_4x4_kernelILj128ELj16E21rocsparse_complex_numIdEiiS1_IfES2_S2_EEvT3_20rocsparse_direction_NS_24const_host_device_scalarIT1_EES4_PKS4_PKT2_SD_SA_PKT4_PKT5_S8_PT6_21rocsparse_index_base_b.uses_vcc, 1
	.set _ZN9rocsparseL18bsrxmvn_4x4_kernelILj128ELj16E21rocsparse_complex_numIdEiiS1_IfES2_S2_EEvT3_20rocsparse_direction_NS_24const_host_device_scalarIT1_EES4_PKS4_PKT2_SD_SA_PKT4_PKT5_S8_PT6_21rocsparse_index_base_b.uses_flat_scratch, 0
	.set _ZN9rocsparseL18bsrxmvn_4x4_kernelILj128ELj16E21rocsparse_complex_numIdEiiS1_IfES2_S2_EEvT3_20rocsparse_direction_NS_24const_host_device_scalarIT1_EES4_PKS4_PKT2_SD_SA_PKT4_PKT5_S8_PT6_21rocsparse_index_base_b.has_dyn_sized_stack, 0
	.set _ZN9rocsparseL18bsrxmvn_4x4_kernelILj128ELj16E21rocsparse_complex_numIdEiiS1_IfES2_S2_EEvT3_20rocsparse_direction_NS_24const_host_device_scalarIT1_EES4_PKS4_PKT2_SD_SA_PKT4_PKT5_S8_PT6_21rocsparse_index_base_b.has_recursion, 0
	.set _ZN9rocsparseL18bsrxmvn_4x4_kernelILj128ELj16E21rocsparse_complex_numIdEiiS1_IfES2_S2_EEvT3_20rocsparse_direction_NS_24const_host_device_scalarIT1_EES4_PKS4_PKT2_SD_SA_PKT4_PKT5_S8_PT6_21rocsparse_index_base_b.has_indirect_call, 0
	.section	.AMDGPU.csdata,"",@progbits
; Kernel info:
; codeLenInByte = 8256
; TotalNumSgprs: 26
; NumVgprs: 118
; NumAgprs: 0
; TotalNumVgprs: 118
; ScratchSize: 0
; MemoryBound: 0
; FloatMode: 240
; IeeeMode: 1
; LDSByteSize: 0 bytes/workgroup (compile time only)
; SGPRBlocks: 3
; VGPRBlocks: 14
; NumSGPRsForWavesPerEU: 26
; NumVGPRsForWavesPerEU: 118
; AccumOffset: 120
; Occupancy: 4
; WaveLimiterHint : 1
; COMPUTE_PGM_RSRC2:SCRATCH_EN: 0
; COMPUTE_PGM_RSRC2:USER_SGPR: 2
; COMPUTE_PGM_RSRC2:TRAP_HANDLER: 0
; COMPUTE_PGM_RSRC2:TGID_X_EN: 1
; COMPUTE_PGM_RSRC2:TGID_Y_EN: 0
; COMPUTE_PGM_RSRC2:TGID_Z_EN: 0
; COMPUTE_PGM_RSRC2:TIDIG_COMP_CNT: 0
; COMPUTE_PGM_RSRC3_GFX90A:ACCUM_OFFSET: 29
; COMPUTE_PGM_RSRC3_GFX90A:TG_SPLIT: 0
	.section	.text._ZN9rocsparseL18bsrxmvn_4x4_kernelILj128ELj32E21rocsparse_complex_numIdEiiS1_IfES2_S2_EEvT3_20rocsparse_direction_NS_24const_host_device_scalarIT1_EES4_PKS4_PKT2_SD_SA_PKT4_PKT5_S8_PT6_21rocsparse_index_base_b,"axG",@progbits,_ZN9rocsparseL18bsrxmvn_4x4_kernelILj128ELj32E21rocsparse_complex_numIdEiiS1_IfES2_S2_EEvT3_20rocsparse_direction_NS_24const_host_device_scalarIT1_EES4_PKS4_PKT2_SD_SA_PKT4_PKT5_S8_PT6_21rocsparse_index_base_b,comdat
	.globl	_ZN9rocsparseL18bsrxmvn_4x4_kernelILj128ELj32E21rocsparse_complex_numIdEiiS1_IfES2_S2_EEvT3_20rocsparse_direction_NS_24const_host_device_scalarIT1_EES4_PKS4_PKT2_SD_SA_PKT4_PKT5_S8_PT6_21rocsparse_index_base_b ; -- Begin function _ZN9rocsparseL18bsrxmvn_4x4_kernelILj128ELj32E21rocsparse_complex_numIdEiiS1_IfES2_S2_EEvT3_20rocsparse_direction_NS_24const_host_device_scalarIT1_EES4_PKS4_PKT2_SD_SA_PKT4_PKT5_S8_PT6_21rocsparse_index_base_b
	.p2align	8
	.type	_ZN9rocsparseL18bsrxmvn_4x4_kernelILj128ELj32E21rocsparse_complex_numIdEiiS1_IfES2_S2_EEvT3_20rocsparse_direction_NS_24const_host_device_scalarIT1_EES4_PKS4_PKT2_SD_SA_PKT4_PKT5_S8_PT6_21rocsparse_index_base_b,@function
_ZN9rocsparseL18bsrxmvn_4x4_kernelILj128ELj32E21rocsparse_complex_numIdEiiS1_IfES2_S2_EEvT3_20rocsparse_direction_NS_24const_host_device_scalarIT1_EES4_PKS4_PKT2_SD_SA_PKT4_PKT5_S8_PT6_21rocsparse_index_base_b: ; @_ZN9rocsparseL18bsrxmvn_4x4_kernelILj128ELj32E21rocsparse_complex_numIdEiiS1_IfES2_S2_EEvT3_20rocsparse_direction_NS_24const_host_device_scalarIT1_EES4_PKS4_PKT2_SD_SA_PKT4_PKT5_S8_PT6_21rocsparse_index_base_b
; %bb.0:
	s_load_dwordx2 s[4:5], s[0:1], 0x8
	s_load_dwordx2 s[12:13], s[0:1], 0x68
	s_add_u32 s3, s0, 8
	s_addc_u32 s8, s1, 0
	s_add_u32 s9, s0, 0x50
	s_load_dwordx2 s[6:7], s[0:1], 0x50
	s_addc_u32 s10, s1, 0
	s_waitcnt lgkmcnt(0)
	s_bitcmp1_b32 s13, 0
	s_cselect_b32 s5, s8, s5
	s_cselect_b32 s3, s3, s4
	v_mov_b32_e32 v2, s3
	v_mov_b32_e32 v3, s5
	flat_load_dwordx4 v[6:9], v[2:3]
	s_cselect_b32 s3, s10, s7
	s_cselect_b32 s4, s9, s6
	v_mov_b32_e32 v2, s4
	v_mov_b32_e32 v3, s3
	flat_load_dwordx4 v[2:5], v[2:3]
	s_waitcnt vmcnt(0) lgkmcnt(0)
	v_cmp_eq_f64_e32 vcc, 0, v[6:7]
	v_cmp_eq_f64_e64 s[4:5], 0, v[8:9]
	s_and_b64 s[8:9], vcc, s[4:5]
	s_mov_b64 s[4:5], -1
	s_and_saveexec_b64 s[6:7], s[8:9]
; %bb.1:
	v_cmp_neq_f64_e32 vcc, 1.0, v[2:3]
	v_cmp_neq_f64_e64 s[4:5], 0, v[4:5]
	s_or_b64 s[4:5], vcc, s[4:5]
	s_orn2_b64 s[4:5], s[4:5], exec
; %bb.2:
	s_or_b64 exec, exec, s[6:7]
	s_and_saveexec_b64 s[6:7], s[4:5]
	s_cbranch_execz .LBB168_8
; %bb.3:
	s_load_dwordx2 s[4:5], s[0:1], 0x20
	s_load_dwordx2 s[14:15], s[0:1], 0x0
	v_lshrrev_b32_e32 v1, 5, v0
	v_lshl_or_b32 v26, s2, 2, v1
	s_mov_b64 s[2:3], 0
	s_waitcnt lgkmcnt(0)
	s_cmp_lg_u64 s[4:5], 0
	s_cbranch_scc0 .LBB168_9
; %bb.4:
	s_load_dword s6, s[0:1], 0x18
                                        ; implicit-def: $vgpr1
	s_waitcnt lgkmcnt(0)
	v_cmp_gt_i32_e32 vcc, s6, v26
	s_and_saveexec_b64 s[6:7], vcc
	s_xor_b64 s[6:7], exec, s[6:7]
	s_cbranch_execz .LBB168_6
; %bb.5:
	v_ashrrev_i32_e32 v27, 31, v26
	v_lshl_add_u64 v[10:11], v[26:27], 2, s[4:5]
	global_load_dword v1, v[10:11], off
	s_mov_b64 s[2:3], exec
	s_waitcnt vmcnt(0)
	v_subrev_u32_e32 v1, s12, v1
.LBB168_6:
	s_or_b64 exec, exec, s[6:7]
	s_branch .LBB168_10
.LBB168_7:
	v_cmp_gt_i32_e32 vcc, s14, v26
	s_andn2_b64 s[2:3], s[2:3], exec
	s_and_b64 s[4:5], vcc, exec
	s_or_b64 s[2:3], s[2:3], s[4:5]
	s_and_b64 exec, exec, s[2:3]
	s_cbranch_execnz .LBB168_11
.LBB168_8:
	s_endpgm
.LBB168_9:
                                        ; implicit-def: $vgpr1
	s_cbranch_execnz .LBB168_7
.LBB168_10:
	v_mov_b32_e32 v26, v1
	s_and_b64 exec, exec, s[2:3]
	s_cbranch_execz .LBB168_8
.LBB168_11:
	s_load_dwordx8 s[4:11], s[0:1], 0x28
	v_ashrrev_i32_e32 v27, 31, v26
	v_lshlrev_b64 v[10:11], 2, v[26:27]
	v_and_b32_e32 v27, 31, v0
	s_waitcnt lgkmcnt(0)
	v_lshl_add_u64 v[12:13], s[4:5], 0, v[10:11]
	s_cmp_eq_u64 s[6:7], 0
	global_load_dword v55, v[12:13], off
	v_lshl_add_u64 v[12:13], v[12:13], 0, 4
	v_lshl_add_u64 v[10:11], s[6:7], 0, v[10:11]
	s_cselect_b64 vcc, -1, 0
	v_cndmask_b32_e32 v11, v11, v13, vcc
	v_cndmask_b32_e32 v10, v10, v12, vcc
	global_load_dword v1, v[10:11], off
	s_load_dwordx2 s[4:5], s[0:1], 0x48
	s_cmp_eq_u32 s15, 1
	s_waitcnt vmcnt(1)
	v_subrev_u32_e32 v0, s12, v55
	v_add_u32_e32 v34, v0, v27
	v_ashrrev_i32_e32 v35, 31, v34
	s_waitcnt vmcnt(0)
	v_subrev_u32_e32 v54, s12, v1
	v_lshlrev_b64 v[0:1], 7, v[34:35]
	v_lshl_add_u64 v[36:37], s[10:11], 0, v[0:1]
	v_cmp_lt_i32_e64 s[2:3], v34, v54
	s_cbranch_scc1 .LBB168_23
; %bb.12:
	v_mov_b64_e32 v[32:33], 0
	v_mov_b64_e32 v[44:45], 0
	;; [unrolled: 1-line block ×8, first 2 shown]
	s_and_saveexec_b64 s[6:7], s[2:3]
	s_cbranch_execz .LBB168_22
; %bb.13:
	v_add_u32_e32 v0, v55, v27
	v_subrev_u32_e32 v0, s12, v0
	v_add_u32_e32 v0, 32, v0
	v_max_i32_e32 v0, v0, v54
	v_not_b32_e32 v1, v55
	v_add3_u32 v0, s12, v0, v1
	v_sub_u32_e32 v14, v0, v27
	s_movk_i32 s10, 0x60
	v_and_b32_e32 v0, 0x60, v14
	v_cmp_ne_u32_e32 vcc, s10, v0
	v_mov_b64_e32 v[18:19], 0
	v_mov_b64_e32 v[0:1], 0
	;; [unrolled: 1-line block ×9, first 2 shown]
	v_mov_b32_e32 v38, v34
	s_and_saveexec_b64 s[10:11], vcc
	s_cbranch_execz .LBB168_17
; %bb.14:
	v_lshrrev_b32_e32 v0, 5, v14
	v_add_u32_e32 v0, 1, v0
	v_and_b32_e32 v0, 3, v0
	v_sub_u32_e32 v15, 0, v0
	v_mov_b64_e32 v[32:33], 0
	s_mov_b64 s[14:15], 0
	s_mov_b64 s[16:17], 0x1000
	v_mov_b32_e32 v38, v34
	v_mov_b64_e32 v[40:41], v[36:37]
	v_mov_b64_e32 v[44:45], 0
	v_mov_b64_e32 v[30:31], 0
	v_mov_b64_e32 v[42:43], 0
	v_mov_b64_e32 v[28:29], 0
	v_mov_b64_e32 v[46:47], 0
	v_mov_b64_e32 v[0:1], 0
	v_mov_b64_e32 v[18:19], 0
.LBB168_15:                             ; =>This Inner Loop Header: Depth=1
	global_load_dwordx4 v[20:23], v[40:41], off
	global_load_dwordx4 v[48:51], v[40:41], off offset:16
	global_load_dwordx4 v[10:13], v[40:41], off offset:32
	v_ashrrev_i32_e32 v39, 31, v38
	v_lshl_add_u64 v[16:17], v[38:39], 2, s[8:9]
	global_load_dwordx4 v[56:59], v[40:41], off offset:64
	global_load_dwordx4 v[60:63], v[40:41], off offset:96
	global_load_dword v35, v[16:17], off
	global_load_dwordx4 v[64:67], v[40:41], off offset:48
	global_load_dwordx4 v[68:71], v[40:41], off offset:80
	;; [unrolled: 1-line block ×3, first 2 shown]
	v_add_co_u32_e32 v15, vcc, 1, v15
	v_lshl_add_u64 v[40:41], v[40:41], 0, s[16:17]
	v_add_u32_e32 v38, 32, v38
	s_or_b64 s[14:15], vcc, s[14:15]
	s_waitcnt vmcnt(8)
	v_cvt_f64_f32_e32 v[16:17], v20
	v_cvt_f64_f32_e32 v[24:25], v21
	s_waitcnt vmcnt(6)
	v_cvt_f64_f32_e32 v[90:91], v10
	s_waitcnt vmcnt(3)
	v_subrev_u32_e32 v10, s12, v35
	v_lshlrev_b32_e32 v10, 2, v10
	v_cvt_f64_f32_e32 v[92:93], v11
	v_ashrrev_i32_e32 v11, 31, v10
	s_waitcnt lgkmcnt(0)
	v_lshl_add_u64 v[102:103], v[10:11], 4, s[4:5]
	v_cvt_f64_f32_e32 v[52:53], v22
	v_cvt_f64_f32_e32 v[80:81], v23
	;; [unrolled: 1-line block ×8, first 2 shown]
	global_load_dwordx4 v[10:13], v[102:103], off
	global_load_dwordx4 v[20:23], v[102:103], off offset:16
	global_load_dwordx4 v[48:51], v[102:103], off offset:32
	;; [unrolled: 1-line block ×3, first 2 shown]
	v_cvt_f64_f32_e32 v[98:99], v56
	v_cvt_f64_f32_e32 v[56:57], v57
	;; [unrolled: 1-line block ×8, first 2 shown]
	s_waitcnt vmcnt(6)
	v_cvt_f64_f32_e32 v[102:103], v64
	v_cvt_f64_f32_e32 v[64:65], v65
	s_waitcnt vmcnt(5)
	v_cvt_f64_f32_e32 v[108:109], v68
	v_cvt_f64_f32_e32 v[68:69], v69
	;; [unrolled: 3-line block ×3, first 2 shown]
	v_cvt_f64_f32_e32 v[104:105], v66
	v_cvt_f64_f32_e32 v[66:67], v67
	v_cvt_f64_f32_e32 v[110:111], v70
	v_cvt_f64_f32_e32 v[70:71], v71
	v_cvt_f64_f32_e32 v[116:117], v74
	v_cvt_f64_f32_e32 v[74:75], v75
	s_waitcnt vmcnt(3)
	v_fmac_f64_e32 v[44:45], v[16:17], v[10:11]
	v_fmac_f64_e32 v[32:33], v[24:25], v[10:11]
	v_fmac_f64_e32 v[42:43], v[90:91], v[10:11]
	v_fmac_f64_e32 v[30:31], v[92:93], v[10:11]
	v_fmac_f64_e32 v[46:47], v[98:99], v[10:11]
	v_fmac_f64_e32 v[28:29], v[56:57], v[10:11]
	v_fmac_f64_e32 v[18:19], v[100:101], v[10:11]
	v_fmac_f64_e32 v[0:1], v[60:61], v[10:11]
	v_fma_f64 v[10:11], -v[24:25], v[12:13], v[44:45]
	v_fmac_f64_e32 v[32:33], v[16:17], v[12:13]
	v_fma_f64 v[16:17], -v[92:93], v[12:13], v[42:43]
	v_fmac_f64_e32 v[30:31], v[90:91], v[12:13]
	v_fma_f64 v[24:25], -v[56:57], v[12:13], v[46:47]
	v_fmac_f64_e32 v[28:29], v[98:99], v[12:13]
	v_fma_f64 v[18:19], -v[60:61], v[12:13], v[18:19]
	v_fmac_f64_e32 v[0:1], v[100:101], v[12:13]
	s_waitcnt vmcnt(2)
	v_fmac_f64_e32 v[10:11], v[52:53], v[20:21]
	v_fmac_f64_e32 v[32:33], v[80:81], v[20:21]
	v_fmac_f64_e32 v[16:17], v[94:95], v[20:21]
	v_fmac_f64_e32 v[30:31], v[96:97], v[20:21]
	v_fmac_f64_e32 v[24:25], v[106:107], v[20:21]
	v_fmac_f64_e32 v[28:29], v[58:59], v[20:21]
	v_fmac_f64_e32 v[18:19], v[112:113], v[20:21]
	v_fmac_f64_e32 v[0:1], v[62:63], v[20:21]
	v_fma_f64 v[10:11], -v[80:81], v[22:23], v[10:11]
	v_fmac_f64_e32 v[32:33], v[52:53], v[22:23]
	v_fma_f64 v[12:13], -v[96:97], v[22:23], v[16:17]
	v_fmac_f64_e32 v[30:31], v[94:95], v[22:23]
	v_fma_f64 v[16:17], -v[58:59], v[22:23], v[24:25]
	v_fmac_f64_e32 v[28:29], v[106:107], v[22:23]
	v_fma_f64 v[18:19], -v[62:63], v[22:23], v[18:19]
	v_fmac_f64_e32 v[0:1], v[112:113], v[22:23]
	;; [unrolled: 17-line block ×4, first 2 shown]
	s_andn2_b64 exec, exec, s[14:15]
	s_cbranch_execnz .LBB168_15
; %bb.16:
	s_or_b64 exec, exec, s[14:15]
.LBB168_17:
	s_or_b64 exec, exec, s[10:11]
	s_movk_i32 s10, 0x5f
	v_cmp_lt_u32_e32 vcc, s10, v14
	s_and_saveexec_b64 s[10:11], vcc
	s_cbranch_execz .LBB168_21
; %bb.18:
	s_mov_b64 s[14:15], 0
	s_mov_b64 s[16:17], 0x1000
	;; [unrolled: 1-line block ×3, first 2 shown]
	s_movk_i32 s13, 0x2000
	s_mov_b64 s[20:21], 0x3000
	s_movk_i32 s24, 0x3000
	s_mov_b64 s[22:23], 0x4000
.LBB168_19:                             ; =>This Inner Loop Header: Depth=1
	v_ashrrev_i32_e32 v39, 31, v38
	v_lshl_add_u64 v[20:21], v[38:39], 2, s[8:9]
	global_load_dword v10, v[20:21], off
	global_load_dwordx4 v[48:51], v[40:41], off offset:48
	global_load_dwordx4 v[56:59], v[40:41], off offset:32
	;; [unrolled: 1-line block ×3, first 2 shown]
	global_load_dwordx4 v[60:63], v[40:41], off
	v_add_u32_e32 v38, 0x80, v38
	s_waitcnt vmcnt(4)
	v_subrev_u32_e32 v10, s12, v10
	v_lshlrev_b32_e32 v10, 2, v10
	v_ashrrev_i32_e32 v11, 31, v10
	s_waitcnt lgkmcnt(0)
	v_lshl_add_u64 v[72:73], v[10:11], 4, s[4:5]
	global_load_dwordx4 v[10:13], v[72:73], off offset:48
	global_load_dwordx4 v[14:17], v[72:73], off offset:32
	;; [unrolled: 1-line block ×3, first 2 shown]
	global_load_dwordx4 v[68:71], v[72:73], off
	s_waitcnt vmcnt(4)
	v_cvt_f64_f32_e32 v[52:53], v60
	v_cvt_f64_f32_e32 v[60:61], v61
	s_waitcnt vmcnt(0)
	v_fmac_f64_e32 v[44:45], v[52:53], v[68:69]
	v_fmac_f64_e32 v[32:33], v[60:61], v[68:69]
	v_fma_f64 v[44:45], -v[60:61], v[70:71], v[44:45]
	v_fmac_f64_e32 v[32:33], v[52:53], v[70:71]
	v_cvt_f64_f32_e32 v[52:53], v62
	v_cvt_f64_f32_e32 v[60:61], v63
	v_fmac_f64_e32 v[44:45], v[52:53], v[64:65]
	v_fmac_f64_e32 v[32:33], v[60:61], v[64:65]
	v_fma_f64 v[44:45], -v[60:61], v[66:67], v[44:45]
	v_fmac_f64_e32 v[32:33], v[52:53], v[66:67]
	v_cvt_f64_f32_e32 v[52:53], v22
	v_cvt_f64_f32_e32 v[22:23], v23
	;; [unrolled: 6-line block ×3, first 2 shown]
	v_fmac_f64_e32 v[44:45], v[52:53], v[10:11]
	v_fma_f64 v[22:23], -v[24:25], v[12:13], v[44:45]
	v_fmac_f64_e32 v[32:33], v[24:25], v[10:11]
	v_cvt_f64_f32_e32 v[24:25], v56
	v_cvt_f64_f32_e32 v[44:45], v57
	v_fmac_f64_e32 v[42:43], v[24:25], v[68:69]
	v_fmac_f64_e32 v[30:31], v[44:45], v[68:69]
	v_fma_f64 v[42:43], -v[44:45], v[70:71], v[42:43]
	v_fmac_f64_e32 v[30:31], v[24:25], v[70:71]
	v_cvt_f64_f32_e32 v[24:25], v58
	v_cvt_f64_f32_e32 v[44:45], v59
	v_fmac_f64_e32 v[42:43], v[24:25], v[64:65]
	;; [unrolled: 6-line block ×4, first 2 shown]
	v_fmac_f64_e32 v[30:31], v[48:49], v[10:11]
	v_fma_f64 v[24:25], -v[48:49], v[12:13], v[42:43]
	v_fmac_f64_e32 v[30:31], v[44:45], v[12:13]
	global_load_dwordx4 v[42:45], v[40:41], off offset:112
	global_load_dwordx4 v[48:51], v[40:41], off offset:96
	;; [unrolled: 1-line block ×4, first 2 shown]
	v_fmac_f64_e32 v[32:33], v[52:53], v[12:13]
	s_waitcnt vmcnt(0)
	v_cvt_f64_f32_e32 v[52:53], v60
	v_cvt_f64_f32_e32 v[60:61], v61
	v_fmac_f64_e32 v[46:47], v[52:53], v[68:69]
	v_fmac_f64_e32 v[28:29], v[60:61], v[68:69]
	v_fma_f64 v[46:47], -v[60:61], v[70:71], v[46:47]
	v_fmac_f64_e32 v[28:29], v[52:53], v[70:71]
	v_cvt_f64_f32_e32 v[52:53], v62
	v_cvt_f64_f32_e32 v[60:61], v63
	v_fmac_f64_e32 v[46:47], v[52:53], v[64:65]
	v_fmac_f64_e32 v[28:29], v[60:61], v[64:65]
	v_fma_f64 v[46:47], -v[60:61], v[66:67], v[46:47]
	v_fmac_f64_e32 v[28:29], v[52:53], v[66:67]
	;; [unrolled: 6-line block ×3, first 2 shown]
	v_cvt_f64_f32_e32 v[52:53], v58
	v_cvt_f64_f32_e32 v[56:57], v59
	v_fmac_f64_e32 v[46:47], v[52:53], v[10:11]
	v_fma_f64 v[72:73], -v[56:57], v[12:13], v[46:47]
	v_cvt_f64_f32_e32 v[46:47], v48
	v_cvt_f64_f32_e32 v[48:49], v49
	v_fmac_f64_e32 v[18:19], v[46:47], v[68:69]
	v_fmac_f64_e32 v[0:1], v[48:49], v[68:69]
	v_fma_f64 v[18:19], -v[48:49], v[70:71], v[18:19]
	v_fmac_f64_e32 v[0:1], v[46:47], v[70:71]
	v_cvt_f64_f32_e32 v[46:47], v50
	v_cvt_f64_f32_e32 v[48:49], v51
	v_fmac_f64_e32 v[18:19], v[46:47], v[64:65]
	v_fmac_f64_e32 v[0:1], v[48:49], v[64:65]
	v_fma_f64 v[18:19], -v[48:49], v[66:67], v[18:19]
	v_fmac_f64_e32 v[0:1], v[46:47], v[66:67]
	;; [unrolled: 6-line block ×3, first 2 shown]
	v_cvt_f64_f32_e32 v[14:15], v44
	v_cvt_f64_f32_e32 v[16:17], v45
	v_fmac_f64_e32 v[28:29], v[56:57], v[10:11]
	v_fmac_f64_e32 v[18:19], v[14:15], v[10:11]
	;; [unrolled: 1-line block ×3, first 2 shown]
	global_load_dword v10, v[20:21], off offset:128
	v_fmac_f64_e32 v[28:29], v[52:53], v[12:13]
	v_fma_f64 v[68:69], -v[16:17], v[12:13], v[18:19]
	v_fmac_f64_e32 v[0:1], v[14:15], v[12:13]
	v_lshl_add_u64 v[70:71], v[40:41], 0, s[16:17]
	s_waitcnt vmcnt(0)
	v_subrev_u32_e32 v10, s12, v10
	v_lshlrev_b32_e32 v50, 2, v10
	v_add_co_u32_e32 v10, vcc, s13, v40
	v_ashrrev_i32_e32 v51, 31, v50
	s_nop 0
	v_addc_co_u32_e32 v11, vcc, 0, v41, vcc
	v_lshl_add_u64 v[76:77], v[50:51], 4, s[4:5]
	global_load_dwordx4 v[12:15], v[10:11], off offset:-4096
	global_load_dwordx4 v[16:19], v[70:71], off offset:48
	global_load_dwordx4 v[42:45], v[70:71], off offset:32
	;; [unrolled: 1-line block ×6, first 2 shown]
	global_load_dwordx4 v[64:67], v[76:77], off
	s_waitcnt vmcnt(7)
	v_cvt_f64_f32_e32 v[74:75], v12
	v_cvt_f64_f32_e32 v[12:13], v13
	s_waitcnt vmcnt(0)
	v_fmac_f64_e32 v[22:23], v[74:75], v[64:65]
	v_fmac_f64_e32 v[32:33], v[12:13], v[64:65]
	v_fma_f64 v[22:23], -v[12:13], v[66:67], v[22:23]
	v_fmac_f64_e32 v[32:33], v[74:75], v[66:67]
	v_cvt_f64_f32_e32 v[12:13], v14
	v_cvt_f64_f32_e32 v[14:15], v15
	v_fmac_f64_e32 v[22:23], v[12:13], v[60:61]
	v_fmac_f64_e32 v[32:33], v[14:15], v[60:61]
	v_fma_f64 v[22:23], -v[14:15], v[62:63], v[22:23]
	v_fmac_f64_e32 v[32:33], v[12:13], v[62:63]
	v_cvt_f64_f32_e32 v[12:13], v46
	v_cvt_f64_f32_e32 v[14:15], v47
	;; [unrolled: 6-line block ×7, first 2 shown]
	v_fmac_f64_e32 v[22:23], v[16:17], v[50:51]
	v_fmac_f64_e32 v[30:31], v[18:19], v[50:51]
	v_fma_f64 v[14:15], -v[18:19], v[52:53], v[22:23]
	v_fmac_f64_e32 v[30:31], v[16:17], v[52:53]
	global_load_dwordx4 v[22:25], v[70:71], off offset:112
	global_load_dwordx4 v[42:45], v[70:71], off offset:96
	;; [unrolled: 1-line block ×4, first 2 shown]
	s_waitcnt vmcnt(0)
	v_cvt_f64_f32_e32 v[70:71], v46
	v_cvt_f64_f32_e32 v[46:47], v47
	v_fmac_f64_e32 v[72:73], v[70:71], v[64:65]
	v_fmac_f64_e32 v[28:29], v[46:47], v[64:65]
	v_fma_f64 v[72:73], -v[46:47], v[66:67], v[72:73]
	v_fmac_f64_e32 v[28:29], v[70:71], v[66:67]
	v_cvt_f64_f32_e32 v[46:47], v48
	v_cvt_f64_f32_e32 v[48:49], v49
	v_fmac_f64_e32 v[72:73], v[46:47], v[60:61]
	v_fmac_f64_e32 v[28:29], v[48:49], v[60:61]
	v_fma_f64 v[70:71], -v[48:49], v[62:63], v[72:73]
	v_fmac_f64_e32 v[28:29], v[46:47], v[62:63]
	;; [unrolled: 6-line block ×3, first 2 shown]
	v_cvt_f64_f32_e32 v[46:47], v18
	v_cvt_f64_f32_e32 v[18:19], v19
	v_fmac_f64_e32 v[48:49], v[46:47], v[50:51]
	v_fma_f64 v[16:17], -v[18:19], v[52:53], v[48:49]
	v_fmac_f64_e32 v[28:29], v[18:19], v[50:51]
	v_cvt_f64_f32_e32 v[18:19], v42
	v_cvt_f64_f32_e32 v[42:43], v43
	v_fmac_f64_e32 v[68:69], v[18:19], v[64:65]
	v_fmac_f64_e32 v[0:1], v[42:43], v[64:65]
	v_fmac_f64_e32 v[28:29], v[46:47], v[52:53]
	v_fma_f64 v[46:47], -v[42:43], v[66:67], v[68:69]
	v_fmac_f64_e32 v[0:1], v[18:19], v[66:67]
	v_cvt_f64_f32_e32 v[18:19], v44
	v_cvt_f64_f32_e32 v[42:43], v45
	v_fmac_f64_e32 v[46:47], v[18:19], v[60:61]
	v_fmac_f64_e32 v[0:1], v[42:43], v[60:61]
	v_fma_f64 v[44:45], -v[42:43], v[62:63], v[46:47]
	v_fmac_f64_e32 v[0:1], v[18:19], v[62:63]
	v_cvt_f64_f32_e32 v[18:19], v22
	v_cvt_f64_f32_e32 v[22:23], v23
	v_fmac_f64_e32 v[44:45], v[18:19], v[56:57]
	v_fmac_f64_e32 v[0:1], v[22:23], v[56:57]
	;; [unrolled: 6-line block ×3, first 2 shown]
	v_fmac_f64_e32 v[0:1], v[22:23], v[52:53]
	global_load_dword v22, v[20:21], off offset:256
	v_fma_f64 v[18:19], -v[24:25], v[52:53], v[42:43]
	s_waitcnt vmcnt(0)
	v_subrev_u32_e32 v22, s12, v22
	v_lshlrev_b32_e32 v24, 2, v22
	v_ashrrev_i32_e32 v25, 31, v24
	v_lshl_add_u64 v[24:25], v[24:25], 4, s[4:5]
	v_lshl_add_u64 v[22:23], v[40:41], 0, s[18:19]
	global_load_dwordx4 v[42:45], v[10:11], off
	global_load_dwordx4 v[46:49], v[22:23], off offset:48
	global_load_dwordx4 v[50:53], v[22:23], off offset:32
	global_load_dwordx4 v[56:59], v[22:23], off offset:16
	global_load_dwordx4 v[60:63], v[24:25], off offset:48
	global_load_dwordx4 v[64:67], v[24:25], off offset:32
	global_load_dwordx4 v[68:71], v[24:25], off offset:16
	global_load_dwordx4 v[72:75], v[24:25], off
	s_waitcnt vmcnt(7)
	v_cvt_f64_f32_e32 v[10:11], v42
	v_cvt_f64_f32_e32 v[42:43], v43
	;; [unrolled: 1-line block ×3, first 2 shown]
	s_waitcnt vmcnt(0)
	v_fmac_f64_e32 v[12:13], v[10:11], v[72:73]
	v_fmac_f64_e32 v[32:33], v[42:43], v[72:73]
	v_fma_f64 v[12:13], -v[42:43], v[74:75], v[12:13]
	v_fmac_f64_e32 v[32:33], v[10:11], v[74:75]
	v_cvt_f64_f32_e32 v[10:11], v44
	v_fmac_f64_e32 v[12:13], v[10:11], v[68:69]
	v_fmac_f64_e32 v[32:33], v[24:25], v[68:69]
	v_fma_f64 v[12:13], -v[24:25], v[70:71], v[12:13]
	v_fmac_f64_e32 v[32:33], v[10:11], v[70:71]
	v_cvt_f64_f32_e32 v[10:11], v56
	v_cvt_f64_f32_e32 v[24:25], v57
	v_fmac_f64_e32 v[12:13], v[10:11], v[64:65]
	v_fmac_f64_e32 v[32:33], v[24:25], v[64:65]
	v_fma_f64 v[12:13], -v[24:25], v[66:67], v[12:13]
	v_fmac_f64_e32 v[32:33], v[10:11], v[66:67]
	v_cvt_f64_f32_e32 v[10:11], v58
	;; [unrolled: 6-line block ×6, first 2 shown]
	v_cvt_f64_f32_e32 v[12:13], v49
	v_fmac_f64_e32 v[14:15], v[10:11], v[60:61]
	v_fmac_f64_e32 v[30:31], v[12:13], v[60:61]
	v_fma_f64 v[50:51], -v[12:13], v[62:63], v[14:15]
	v_fmac_f64_e32 v[30:31], v[10:11], v[62:63]
	global_load_dwordx4 v[10:13], v[22:23], off offset:112
	global_load_dwordx4 v[56:59], v[22:23], off offset:96
	;; [unrolled: 1-line block ×4, first 2 shown]
	v_lshl_add_u64 v[52:53], v[40:41], 0, s[20:21]
	s_waitcnt vmcnt(0)
	v_cvt_f64_f32_e32 v[14:15], v76
	v_cvt_f64_f32_e32 v[22:23], v77
	v_fmac_f64_e32 v[16:17], v[14:15], v[72:73]
	v_fmac_f64_e32 v[28:29], v[22:23], v[72:73]
	v_fma_f64 v[16:17], -v[22:23], v[74:75], v[16:17]
	v_fmac_f64_e32 v[28:29], v[14:15], v[74:75]
	v_cvt_f64_f32_e32 v[14:15], v78
	v_cvt_f64_f32_e32 v[22:23], v79
	v_fmac_f64_e32 v[16:17], v[14:15], v[68:69]
	v_fmac_f64_e32 v[28:29], v[22:23], v[68:69]
	v_fma_f64 v[16:17], -v[22:23], v[70:71], v[16:17]
	v_fmac_f64_e32 v[28:29], v[14:15], v[70:71]
	;; [unrolled: 6-line block ×7, first 2 shown]
	v_cvt_f64_f32_e32 v[10:11], v12
	v_cvt_f64_f32_e32 v[12:13], v13
	v_fmac_f64_e32 v[0:1], v[12:13], v[60:61]
	v_fmac_f64_e32 v[16:17], v[10:11], v[60:61]
	;; [unrolled: 1-line block ×3, first 2 shown]
	global_load_dword v10, v[20:21], off offset:384
	v_fma_f64 v[48:49], -v[12:13], v[62:63], v[16:17]
	v_add_co_u32_e32 v12, vcc, s24, v40
	s_waitcnt vmcnt(0)
	v_subrev_u32_e32 v10, s12, v10
	v_lshlrev_b32_e32 v10, 2, v10
	v_ashrrev_i32_e32 v11, 31, v10
	v_addc_co_u32_e32 v13, vcc, 0, v41, vcc
	v_lshl_add_u64 v[72:73], v[10:11], 4, s[4:5]
	global_load_dwordx4 v[56:59], v[12:13], off
	global_load_dwordx4 v[60:63], v[52:53], off offset:48
	global_load_dwordx4 v[64:67], v[52:53], off offset:32
	global_load_dwordx4 v[68:71], v[52:53], off offset:16
	s_nop 0
	global_load_dwordx4 v[10:13], v[72:73], off offset:48
	global_load_dwordx4 v[14:17], v[72:73], off offset:32
	;; [unrolled: 1-line block ×3, first 2 shown]
	global_load_dwordx4 v[22:25], v[72:73], off
	v_cmp_ge_i32_e32 vcc, v38, v54
	v_lshl_add_u64 v[40:41], v[40:41], 0, s[22:23]
	s_or_b64 s[14:15], vcc, s[14:15]
	s_waitcnt vmcnt(7)
	v_cvt_f64_f32_e32 v[44:45], v56
	v_cvt_f64_f32_e32 v[56:57], v57
	s_waitcnt vmcnt(0)
	v_fmac_f64_e32 v[42:43], v[44:45], v[22:23]
	v_fmac_f64_e32 v[32:33], v[56:57], v[22:23]
	v_fma_f64 v[42:43], -v[56:57], v[24:25], v[42:43]
	v_fmac_f64_e32 v[32:33], v[44:45], v[24:25]
	v_cvt_f64_f32_e32 v[44:45], v58
	v_cvt_f64_f32_e32 v[56:57], v59
	v_fmac_f64_e32 v[42:43], v[44:45], v[18:19]
	v_fmac_f64_e32 v[32:33], v[56:57], v[18:19]
	v_fma_f64 v[42:43], -v[56:57], v[20:21], v[42:43]
	v_fmac_f64_e32 v[32:33], v[44:45], v[20:21]
	v_cvt_f64_f32_e32 v[44:45], v68
	v_cvt_f64_f32_e32 v[56:57], v69
	;; [unrolled: 6-line block ×7, first 2 shown]
	v_fmac_f64_e32 v[50:51], v[56:57], v[10:11]
	v_fmac_f64_e32 v[30:31], v[58:59], v[10:11]
	v_fma_f64 v[42:43], -v[58:59], v[12:13], v[50:51]
	v_fmac_f64_e32 v[30:31], v[56:57], v[12:13]
	global_load_dwordx4 v[56:59], v[52:53], off offset:112
	global_load_dwordx4 v[60:63], v[52:53], off offset:96
	;; [unrolled: 1-line block ×4, first 2 shown]
	s_waitcnt vmcnt(0)
	v_cvt_f64_f32_e32 v[50:51], v68
	v_cvt_f64_f32_e32 v[52:53], v69
	v_fmac_f64_e32 v[46:47], v[50:51], v[22:23]
	v_fmac_f64_e32 v[28:29], v[52:53], v[22:23]
	v_fma_f64 v[46:47], -v[52:53], v[24:25], v[46:47]
	v_fmac_f64_e32 v[28:29], v[50:51], v[24:25]
	v_cvt_f64_f32_e32 v[50:51], v70
	v_cvt_f64_f32_e32 v[52:53], v71
	v_fmac_f64_e32 v[46:47], v[50:51], v[18:19]
	v_fmac_f64_e32 v[28:29], v[52:53], v[18:19]
	v_fma_f64 v[46:47], -v[52:53], v[20:21], v[46:47]
	v_fmac_f64_e32 v[28:29], v[50:51], v[20:21]
	;; [unrolled: 6-line block ×8, first 2 shown]
	s_andn2_b64 exec, exec, s[14:15]
	s_cbranch_execnz .LBB168_19
; %bb.20:
	s_or_b64 exec, exec, s[14:15]
.LBB168_21:
	s_or_b64 exec, exec, s[10:11]
.LBB168_22:
	s_or_b64 exec, exec, s[6:7]
	s_cbranch_execz .LBB168_24
	s_branch .LBB168_35
.LBB168_23:
                                        ; implicit-def: $vgpr32_vgpr33
                                        ; implicit-def: $vgpr44_vgpr45
                                        ; implicit-def: $vgpr30_vgpr31
                                        ; implicit-def: $vgpr42_vgpr43
                                        ; implicit-def: $vgpr28_vgpr29
                                        ; implicit-def: $vgpr46_vgpr47
                                        ; implicit-def: $vgpr0_vgpr1
                                        ; implicit-def: $vgpr18_vgpr19
.LBB168_24:
	v_mov_b64_e32 v[32:33], 0
	v_mov_b64_e32 v[44:45], 0
	;; [unrolled: 1-line block ×8, first 2 shown]
	s_and_saveexec_b64 s[6:7], s[2:3]
	s_cbranch_execz .LBB168_34
; %bb.25:
	v_add_u32_e32 v0, v55, v27
	v_subrev_u32_e32 v0, s12, v0
	v_add_u32_e32 v0, 32, v0
	v_max_i32_e32 v0, v0, v54
	v_not_b32_e32 v1, v55
	v_add3_u32 v0, s12, v0, v1
	v_sub_u32_e32 v14, v0, v27
	s_movk_i32 s2, 0x60
	v_and_b32_e32 v0, 0x60, v14
	v_cmp_ne_u32_e32 vcc, s2, v0
	v_mov_b64_e32 v[18:19], 0
	v_mov_b64_e32 v[0:1], 0
	;; [unrolled: 1-line block ×8, first 2 shown]
	s_and_saveexec_b64 s[2:3], vcc
	s_cbranch_execz .LBB168_29
; %bb.26:
	v_lshrrev_b32_e32 v0, 5, v14
	v_add_u32_e32 v0, 1, v0
	v_and_b32_e32 v0, 3, v0
	v_sub_u32_e32 v15, 0, v0
	v_mov_b64_e32 v[32:33], 0
	s_mov_b64 s[10:11], 0
	s_mov_b64 s[14:15], 0x1000
	v_mov_b64_e32 v[44:45], 0
	v_mov_b64_e32 v[30:31], 0
	;; [unrolled: 1-line block ×7, first 2 shown]
.LBB168_27:                             ; =>This Inner Loop Header: Depth=1
	global_load_dwordx4 v[20:23], v[36:37], off
	global_load_dwordx4 v[38:41], v[36:37], off offset:16
	global_load_dwordx4 v[48:51], v[36:37], off offset:32
	;; [unrolled: 1-line block ×4, first 2 shown]
	v_ashrrev_i32_e32 v35, 31, v34
	v_lshl_add_u64 v[16:17], v[34:35], 2, s[8:9]
	global_load_dword v35, v[16:17], off
	global_load_dwordx4 v[60:63], v[36:37], off offset:80
	global_load_dwordx4 v[64:67], v[36:37], off offset:96
	;; [unrolled: 1-line block ×3, first 2 shown]
	v_add_co_u32_e32 v15, vcc, 1, v15
	v_lshl_add_u64 v[36:37], v[36:37], 0, s[14:15]
	v_add_u32_e32 v34, 32, v34
	s_or_b64 s[10:11], vcc, s[10:11]
	s_waitcnt vmcnt(8)
	v_cvt_f64_f32_e32 v[16:17], v20
	v_cvt_f64_f32_e32 v[24:25], v21
	;; [unrolled: 1-line block ×3, first 2 shown]
	s_waitcnt vmcnt(5)
	v_cvt_f64_f32_e32 v[96:97], v12
	s_waitcnt vmcnt(3)
	v_subrev_u32_e32 v12, s12, v35
	v_lshlrev_b32_e32 v20, 2, v12
	v_ashrrev_i32_e32 v21, 31, v20
	s_waitcnt lgkmcnt(0)
	v_lshl_add_u64 v[98:99], v[20:21], 4, s[4:5]
	v_cvt_f64_f32_e32 v[76:77], v23
	v_cvt_f64_f32_e32 v[78:79], v38
	;; [unrolled: 1-line block ×9, first 2 shown]
	global_load_dwordx4 v[20:23], v[98:99], off
	global_load_dwordx4 v[38:41], v[98:99], off offset:16
	global_load_dwordx4 v[48:51], v[98:99], off offset:32
	;; [unrolled: 1-line block ×3, first 2 shown]
	v_cvt_f64_f32_e32 v[94:95], v10
	v_cvt_f64_f32_e32 v[10:11], v11
	;; [unrolled: 1-line block ×7, first 2 shown]
	s_waitcnt vmcnt(6)
	v_cvt_f64_f32_e32 v[102:103], v60
	v_cvt_f64_f32_e32 v[60:61], v61
	v_cvt_f64_f32_e32 v[104:105], v62
	v_cvt_f64_f32_e32 v[62:63], v63
	s_waitcnt vmcnt(5)
	v_cvt_f64_f32_e32 v[106:107], v64
	v_cvt_f64_f32_e32 v[64:65], v65
	v_cvt_f64_f32_e32 v[108:109], v66
	v_cvt_f64_f32_e32 v[66:67], v67
	;; [unrolled: 5-line block ×3, first 2 shown]
	s_waitcnt vmcnt(3)
	v_fmac_f64_e32 v[44:45], v[16:17], v[20:21]
	v_fmac_f64_e32 v[32:33], v[24:25], v[20:21]
	v_fmac_f64_e32 v[42:43], v[52:53], v[20:21]
	v_fmac_f64_e32 v[30:31], v[76:77], v[20:21]
	v_fmac_f64_e32 v[46:47], v[78:79], v[20:21]
	v_fmac_f64_e32 v[28:29], v[80:81], v[20:21]
	v_fmac_f64_e32 v[18:19], v[82:83], v[20:21]
	v_fmac_f64_e32 v[0:1], v[84:85], v[20:21]
	v_fma_f64 v[20:21], -v[24:25], v[22:23], v[44:45]
	v_fmac_f64_e32 v[32:33], v[16:17], v[22:23]
	v_fma_f64 v[16:17], -v[76:77], v[22:23], v[42:43]
	v_fmac_f64_e32 v[30:31], v[52:53], v[22:23]
	v_fma_f64 v[24:25], -v[80:81], v[22:23], v[46:47]
	v_fmac_f64_e32 v[28:29], v[78:79], v[22:23]
	v_fma_f64 v[18:19], -v[84:85], v[22:23], v[18:19]
	v_fmac_f64_e32 v[0:1], v[82:83], v[22:23]
	s_waitcnt vmcnt(2)
	v_fmac_f64_e32 v[20:21], v[86:87], v[38:39]
	v_fmac_f64_e32 v[32:33], v[88:89], v[38:39]
	v_fmac_f64_e32 v[16:17], v[90:91], v[38:39]
	v_fmac_f64_e32 v[30:31], v[92:93], v[38:39]
	v_fmac_f64_e32 v[24:25], v[94:95], v[38:39]
	v_fmac_f64_e32 v[28:29], v[10:11], v[38:39]
	v_fmac_f64_e32 v[18:19], v[96:97], v[38:39]
	v_fmac_f64_e32 v[0:1], v[12:13], v[38:39]
	v_fma_f64 v[20:21], -v[88:89], v[40:41], v[20:21]
	v_fmac_f64_e32 v[32:33], v[86:87], v[40:41]
	v_fma_f64 v[16:17], -v[92:93], v[40:41], v[16:17]
	v_fmac_f64_e32 v[30:31], v[90:91], v[40:41]
	v_fma_f64 v[10:11], -v[10:11], v[40:41], v[24:25]
	v_fmac_f64_e32 v[28:29], v[94:95], v[40:41]
	v_fma_f64 v[12:13], -v[12:13], v[40:41], v[18:19]
	v_fmac_f64_e32 v[0:1], v[96:97], v[40:41]
	;; [unrolled: 17-line block ×4, first 2 shown]
	s_andn2_b64 exec, exec, s[10:11]
	s_cbranch_execnz .LBB168_27
; %bb.28:
	s_or_b64 exec, exec, s[10:11]
.LBB168_29:
	s_or_b64 exec, exec, s[2:3]
	s_movk_i32 s2, 0x5f
	v_cmp_lt_u32_e32 vcc, s2, v14
	s_and_saveexec_b64 s[2:3], vcc
	s_cbranch_execz .LBB168_33
; %bb.30:
	s_mov_b64 s[10:11], 0
	s_mov_b64 s[14:15], 0x1000
	;; [unrolled: 1-line block ×3, first 2 shown]
	s_movk_i32 s13, 0x2000
	s_mov_b64 s[18:19], 0x3000
	s_movk_i32 s22, 0x3000
	s_mov_b64 s[20:21], 0x4000
.LBB168_31:                             ; =>This Inner Loop Header: Depth=1
	v_ashrrev_i32_e32 v35, 31, v34
	v_lshl_add_u64 v[14:15], v[34:35], 2, s[8:9]
	global_load_dword v10, v[14:15], off
	global_load_dwordx4 v[20:23], v[36:37], off offset:48
	global_load_dwordx4 v[38:41], v[36:37], off offset:32
	;; [unrolled: 1-line block ×3, first 2 shown]
	global_load_dwordx4 v[56:59], v[36:37], off
	v_add_u32_e32 v34, 0x80, v34
	s_waitcnt vmcnt(4)
	v_subrev_u32_e32 v10, s12, v10
	v_lshlrev_b32_e32 v10, 2, v10
	v_ashrrev_i32_e32 v11, 31, v10
	s_waitcnt lgkmcnt(0)
	v_lshl_add_u64 v[52:53], v[10:11], 4, s[4:5]
	global_load_dwordx4 v[10:13], v[52:53], off offset:48
	global_load_dwordx4 v[60:63], v[52:53], off offset:32
	;; [unrolled: 1-line block ×3, first 2 shown]
	global_load_dwordx4 v[68:71], v[52:53], off
	s_waitcnt vmcnt(4)
	v_cvt_f64_f32_e32 v[16:17], v56
	v_cvt_f64_f32_e32 v[24:25], v57
	s_waitcnt vmcnt(0)
	v_fmac_f64_e32 v[44:45], v[16:17], v[68:69]
	v_fma_f64 v[44:45], -v[24:25], v[70:71], v[44:45]
	v_fmac_f64_e32 v[32:33], v[24:25], v[68:69]
	v_cvt_f64_f32_e32 v[24:25], v59
	v_fmac_f64_e32 v[32:33], v[16:17], v[70:71]
	v_cvt_f64_f32_e32 v[16:17], v58
	v_fmac_f64_e32 v[30:31], v[24:25], v[68:69]
	v_fmac_f64_e32 v[42:43], v[16:17], v[68:69]
	;; [unrolled: 1-line block ×3, first 2 shown]
	v_cvt_f64_f32_e32 v[16:17], v48
	v_fma_f64 v[42:43], -v[24:25], v[70:71], v[42:43]
	v_cvt_f64_f32_e32 v[24:25], v49
	v_fmac_f64_e32 v[46:47], v[16:17], v[68:69]
	v_fma_f64 v[46:47], -v[24:25], v[70:71], v[46:47]
	v_fmac_f64_e32 v[28:29], v[24:25], v[68:69]
	v_cvt_f64_f32_e32 v[24:25], v51
	v_fmac_f64_e32 v[28:29], v[16:17], v[70:71]
	v_cvt_f64_f32_e32 v[16:17], v50
	v_fmac_f64_e32 v[0:1], v[24:25], v[68:69]
	v_fmac_f64_e32 v[18:19], v[16:17], v[68:69]
	;; [unrolled: 1-line block ×3, first 2 shown]
	v_cvt_f64_f32_e32 v[16:17], v38
	v_fma_f64 v[18:19], -v[24:25], v[70:71], v[18:19]
	v_cvt_f64_f32_e32 v[24:25], v39
	v_fmac_f64_e32 v[44:45], v[16:17], v[64:65]
	v_fma_f64 v[48:49], -v[24:25], v[66:67], v[44:45]
	v_fmac_f64_e32 v[32:33], v[24:25], v[64:65]
	v_cvt_f64_f32_e32 v[24:25], v41
	v_fmac_f64_e32 v[32:33], v[16:17], v[66:67]
	v_cvt_f64_f32_e32 v[16:17], v40
	v_fmac_f64_e32 v[30:31], v[24:25], v[64:65]
	v_fmac_f64_e32 v[42:43], v[16:17], v[64:65]
	;; [unrolled: 1-line block ×3, first 2 shown]
	v_cvt_f64_f32_e32 v[16:17], v20
	v_cvt_f64_f32_e32 v[20:21], v21
	v_fmac_f64_e32 v[46:47], v[16:17], v[64:65]
	v_fmac_f64_e32 v[28:29], v[20:21], v[64:65]
	v_fma_f64 v[50:51], -v[24:25], v[66:67], v[42:43]
	v_fma_f64 v[24:25], -v[20:21], v[66:67], v[46:47]
	v_fmac_f64_e32 v[28:29], v[16:17], v[66:67]
	v_cvt_f64_f32_e32 v[16:17], v22
	v_cvt_f64_f32_e32 v[20:21], v23
	v_fmac_f64_e32 v[18:19], v[16:17], v[64:65]
	v_fmac_f64_e32 v[0:1], v[20:21], v[64:65]
	v_fma_f64 v[46:47], -v[20:21], v[66:67], v[18:19]
	v_fmac_f64_e32 v[0:1], v[16:17], v[66:67]
	global_load_dwordx4 v[16:19], v[36:37], off offset:112
	global_load_dwordx4 v[20:23], v[36:37], off offset:96
	;; [unrolled: 1-line block ×4, first 2 shown]
	s_waitcnt vmcnt(0)
	v_cvt_f64_f32_e32 v[52:53], v42
	v_cvt_f64_f32_e32 v[42:43], v43
	v_fmac_f64_e32 v[48:49], v[52:53], v[60:61]
	v_fma_f64 v[48:49], -v[42:43], v[62:63], v[48:49]
	v_fmac_f64_e32 v[32:33], v[42:43], v[60:61]
	v_cvt_f64_f32_e32 v[42:43], v44
	v_cvt_f64_f32_e32 v[44:45], v45
	v_fmac_f64_e32 v[30:31], v[44:45], v[60:61]
	v_fmac_f64_e32 v[50:51], v[42:43], v[60:61]
	;; [unrolled: 1-line block ×3, first 2 shown]
	v_cvt_f64_f32_e32 v[42:43], v38
	v_cvt_f64_f32_e32 v[38:39], v39
	v_fmac_f64_e32 v[24:25], v[42:43], v[60:61]
	v_fma_f64 v[24:25], -v[38:39], v[62:63], v[24:25]
	v_fmac_f64_e32 v[28:29], v[38:39], v[60:61]
	v_cvt_f64_f32_e32 v[38:39], v40
	v_cvt_f64_f32_e32 v[40:41], v41
	v_fmac_f64_e32 v[0:1], v[40:41], v[60:61]
	v_fmac_f64_e32 v[46:47], v[38:39], v[60:61]
	;; [unrolled: 1-line block ×3, first 2 shown]
	v_cvt_f64_f32_e32 v[38:39], v20
	v_fmac_f64_e32 v[32:33], v[52:53], v[62:63]
	v_cvt_f64_f32_e32 v[20:21], v21
	v_fmac_f64_e32 v[48:49], v[38:39], v[10:11]
	v_fma_f64 v[64:65], -v[20:21], v[12:13], v[48:49]
	v_fmac_f64_e32 v[32:33], v[20:21], v[10:11]
	v_cvt_f64_f32_e32 v[20:21], v22
	v_cvt_f64_f32_e32 v[22:23], v23
	v_fma_f64 v[50:51], -v[44:45], v[62:63], v[50:51]
	v_fmac_f64_e32 v[30:31], v[22:23], v[10:11]
	v_fmac_f64_e32 v[50:51], v[20:21], v[10:11]
	;; [unrolled: 1-line block ×3, first 2 shown]
	v_cvt_f64_f32_e32 v[20:21], v16
	v_fmac_f64_e32 v[28:29], v[42:43], v[62:63]
	v_cvt_f64_f32_e32 v[16:17], v17
	v_fmac_f64_e32 v[24:25], v[20:21], v[10:11]
	v_fma_f64 v[42:43], -v[40:41], v[62:63], v[46:47]
	v_fma_f64 v[24:25], -v[16:17], v[12:13], v[24:25]
	v_fmac_f64_e32 v[28:29], v[16:17], v[10:11]
	v_cvt_f64_f32_e32 v[16:17], v18
	v_cvt_f64_f32_e32 v[18:19], v19
	v_fmac_f64_e32 v[42:43], v[16:17], v[10:11]
	v_fmac_f64_e32 v[0:1], v[18:19], v[10:11]
	global_load_dword v10, v[14:15], off offset:128
	v_fmac_f64_e32 v[32:33], v[38:39], v[12:13]
	v_fma_f64 v[66:67], -v[22:23], v[12:13], v[50:51]
	v_fmac_f64_e32 v[28:29], v[20:21], v[12:13]
	v_fma_f64 v[68:69], -v[18:19], v[12:13], v[42:43]
	v_fmac_f64_e32 v[0:1], v[16:17], v[12:13]
	v_lshl_add_u64 v[12:13], v[36:37], 0, s[14:15]
	s_waitcnt vmcnt(0)
	v_subrev_u32_e32 v10, s12, v10
	v_lshlrev_b32_e32 v46, 2, v10
	v_add_co_u32_e32 v10, vcc, s13, v36
	v_ashrrev_i32_e32 v47, 31, v46
	s_nop 0
	v_addc_co_u32_e32 v11, vcc, 0, v37, vcc
	v_lshl_add_u64 v[72:73], v[46:47], 4, s[4:5]
	global_load_dwordx4 v[16:19], v[10:11], off offset:-4096
	global_load_dwordx4 v[20:23], v[12:13], off offset:48
	global_load_dwordx4 v[38:41], v[12:13], off offset:32
	;; [unrolled: 1-line block ×6, first 2 shown]
	global_load_dwordx4 v[60:63], v[72:73], off
	s_waitcnt vmcnt(7)
	v_cvt_f64_f32_e32 v[70:71], v16
	v_cvt_f64_f32_e32 v[16:17], v17
	s_waitcnt vmcnt(0)
	v_fmac_f64_e32 v[64:65], v[70:71], v[60:61]
	v_fma_f64 v[64:65], -v[16:17], v[62:63], v[64:65]
	v_fmac_f64_e32 v[32:33], v[16:17], v[60:61]
	v_cvt_f64_f32_e32 v[16:17], v18
	v_cvt_f64_f32_e32 v[18:19], v19
	v_fmac_f64_e32 v[66:67], v[16:17], v[60:61]
	v_fmac_f64_e32 v[30:31], v[18:19], v[60:61]
	v_fma_f64 v[66:67], -v[18:19], v[62:63], v[66:67]
	v_fmac_f64_e32 v[30:31], v[16:17], v[62:63]
	v_cvt_f64_f32_e32 v[16:17], v42
	v_cvt_f64_f32_e32 v[18:19], v43
	v_fmac_f64_e32 v[24:25], v[16:17], v[60:61]
	;; [unrolled: 6-line block ×3, first 2 shown]
	v_fmac_f64_e32 v[0:1], v[18:19], v[60:61]
	v_fmac_f64_e32 v[32:33], v[70:71], v[62:63]
	v_fma_f64 v[42:43], -v[18:19], v[62:63], v[68:69]
	v_fmac_f64_e32 v[0:1], v[16:17], v[62:63]
	v_cvt_f64_f32_e32 v[16:17], v38
	v_cvt_f64_f32_e32 v[18:19], v39
	v_fmac_f64_e32 v[64:65], v[16:17], v[56:57]
	v_fmac_f64_e32 v[32:33], v[18:19], v[56:57]
	v_fma_f64 v[60:61], -v[18:19], v[58:59], v[64:65]
	v_fmac_f64_e32 v[32:33], v[16:17], v[58:59]
	v_cvt_f64_f32_e32 v[16:17], v40
	v_cvt_f64_f32_e32 v[18:19], v41
	;; [unrolled: 6-line block ×4, first 2 shown]
	v_fmac_f64_e32 v[42:43], v[16:17], v[56:57]
	v_fmac_f64_e32 v[0:1], v[18:19], v[56:57]
	v_fma_f64 v[64:65], -v[18:19], v[58:59], v[42:43]
	v_fmac_f64_e32 v[0:1], v[16:17], v[58:59]
	global_load_dwordx4 v[20:23], v[12:13], off offset:112
	global_load_dwordx4 v[16:19], v[12:13], off offset:96
	;; [unrolled: 1-line block ×4, first 2 shown]
	s_waitcnt vmcnt(0)
	v_cvt_f64_f32_e32 v[12:13], v42
	v_cvt_f64_f32_e32 v[42:43], v43
	v_fmac_f64_e32 v[60:61], v[12:13], v[50:51]
	v_fma_f64 v[56:57], -v[42:43], v[52:53], v[60:61]
	v_fmac_f64_e32 v[32:33], v[42:43], v[50:51]
	v_cvt_f64_f32_e32 v[42:43], v45
	v_fmac_f64_e32 v[32:33], v[12:13], v[52:53]
	v_cvt_f64_f32_e32 v[12:13], v44
	v_fmac_f64_e32 v[30:31], v[42:43], v[50:51]
	v_fmac_f64_e32 v[62:63], v[12:13], v[50:51]
	;; [unrolled: 1-line block ×3, first 2 shown]
	v_cvt_f64_f32_e32 v[12:13], v38
	v_cvt_f64_f32_e32 v[38:39], v39
	v_fmac_f64_e32 v[24:25], v[12:13], v[50:51]
	v_fma_f64 v[24:25], -v[38:39], v[52:53], v[24:25]
	v_fmac_f64_e32 v[28:29], v[38:39], v[50:51]
	v_cvt_f64_f32_e32 v[38:39], v41
	v_fmac_f64_e32 v[28:29], v[12:13], v[52:53]
	v_cvt_f64_f32_e32 v[12:13], v40
	v_fmac_f64_e32 v[0:1], v[38:39], v[50:51]
	v_fmac_f64_e32 v[64:65], v[12:13], v[50:51]
	;; [unrolled: 1-line block ×3, first 2 shown]
	v_cvt_f64_f32_e32 v[12:13], v16
	v_fma_f64 v[40:41], -v[38:39], v[52:53], v[64:65]
	v_cvt_f64_f32_e32 v[38:39], v17
	v_fmac_f64_e32 v[56:57], v[12:13], v[46:47]
	v_fma_f64 v[16:17], -v[38:39], v[48:49], v[56:57]
	v_fmac_f64_e32 v[32:33], v[38:39], v[46:47]
	v_cvt_f64_f32_e32 v[38:39], v19
	v_fma_f64 v[44:45], -v[42:43], v[52:53], v[62:63]
	v_fmac_f64_e32 v[32:33], v[12:13], v[48:49]
	v_cvt_f64_f32_e32 v[12:13], v18
	v_fmac_f64_e32 v[30:31], v[38:39], v[46:47]
	v_fmac_f64_e32 v[44:45], v[12:13], v[46:47]
	;; [unrolled: 1-line block ×3, first 2 shown]
	v_cvt_f64_f32_e32 v[12:13], v20
	v_fma_f64 v[18:19], -v[38:39], v[48:49], v[44:45]
	v_cvt_f64_f32_e32 v[38:39], v21
	v_fmac_f64_e32 v[24:25], v[12:13], v[46:47]
	v_fma_f64 v[20:21], -v[38:39], v[48:49], v[24:25]
	v_fmac_f64_e32 v[28:29], v[38:39], v[46:47]
	v_cvt_f64_f32_e32 v[24:25], v23
	v_fmac_f64_e32 v[28:29], v[12:13], v[48:49]
	v_cvt_f64_f32_e32 v[12:13], v22
	v_fmac_f64_e32 v[0:1], v[24:25], v[46:47]
	v_fmac_f64_e32 v[40:41], v[12:13], v[46:47]
	;; [unrolled: 1-line block ×3, first 2 shown]
	global_load_dword v12, v[14:15], off offset:256
	v_fma_f64 v[22:23], -v[24:25], v[48:49], v[40:41]
	s_waitcnt vmcnt(0)
	v_subrev_u32_e32 v12, s12, v12
	v_lshlrev_b32_e32 v24, 2, v12
	v_ashrrev_i32_e32 v25, 31, v24
	v_lshl_add_u64 v[24:25], v[24:25], 4, s[4:5]
	v_lshl_add_u64 v[12:13], v[36:37], 0, s[16:17]
	global_load_dwordx4 v[38:41], v[10:11], off
	global_load_dwordx4 v[42:45], v[12:13], off offset:48
	global_load_dwordx4 v[46:49], v[12:13], off offset:32
	;; [unrolled: 1-line block ×6, first 2 shown]
	global_load_dwordx4 v[68:71], v[24:25], off
	s_waitcnt vmcnt(7)
	v_cvt_f64_f32_e32 v[10:11], v38
	v_cvt_f64_f32_e32 v[38:39], v39
	;; [unrolled: 1-line block ×3, first 2 shown]
	s_waitcnt vmcnt(0)
	v_fmac_f64_e32 v[32:33], v[38:39], v[68:69]
	v_fmac_f64_e32 v[16:17], v[10:11], v[68:69]
	;; [unrolled: 1-line block ×3, first 2 shown]
	v_cvt_f64_f32_e32 v[10:11], v40
	v_fmac_f64_e32 v[18:19], v[10:11], v[68:69]
	v_fma_f64 v[18:19], -v[24:25], v[70:71], v[18:19]
	v_fmac_f64_e32 v[30:31], v[24:25], v[68:69]
	v_cvt_f64_f32_e32 v[24:25], v51
	v_fmac_f64_e32 v[30:31], v[10:11], v[70:71]
	v_cvt_f64_f32_e32 v[10:11], v50
	v_fmac_f64_e32 v[28:29], v[24:25], v[68:69]
	v_fmac_f64_e32 v[20:21], v[10:11], v[68:69]
	;; [unrolled: 1-line block ×3, first 2 shown]
	v_cvt_f64_f32_e32 v[10:11], v52
	v_fma_f64 v[20:21], -v[24:25], v[70:71], v[20:21]
	v_cvt_f64_f32_e32 v[24:25], v53
	v_fmac_f64_e32 v[22:23], v[10:11], v[68:69]
	v_fma_f64 v[22:23], -v[24:25], v[70:71], v[22:23]
	v_fmac_f64_e32 v[0:1], v[24:25], v[68:69]
	v_cvt_f64_f32_e32 v[24:25], v47
	v_fma_f64 v[16:17], -v[38:39], v[70:71], v[16:17]
	v_fmac_f64_e32 v[0:1], v[10:11], v[70:71]
	v_cvt_f64_f32_e32 v[10:11], v46
	v_fmac_f64_e32 v[32:33], v[24:25], v[64:65]
	v_fmac_f64_e32 v[16:17], v[10:11], v[64:65]
	;; [unrolled: 1-line block ×3, first 2 shown]
	v_cvt_f64_f32_e32 v[10:11], v48
	v_fma_f64 v[16:17], -v[24:25], v[66:67], v[16:17]
	v_cvt_f64_f32_e32 v[24:25], v49
	v_fmac_f64_e32 v[18:19], v[10:11], v[64:65]
	v_fma_f64 v[46:47], -v[24:25], v[66:67], v[18:19]
	v_fmac_f64_e32 v[30:31], v[24:25], v[64:65]
	v_cvt_f64_f32_e32 v[18:19], v43
	v_fmac_f64_e32 v[30:31], v[10:11], v[66:67]
	v_cvt_f64_f32_e32 v[10:11], v42
	v_fmac_f64_e32 v[28:29], v[18:19], v[64:65]
	v_fmac_f64_e32 v[20:21], v[10:11], v[64:65]
	;; [unrolled: 1-line block ×3, first 2 shown]
	v_cvt_f64_f32_e32 v[10:11], v44
	v_fma_f64 v[48:49], -v[18:19], v[66:67], v[20:21]
	v_cvt_f64_f32_e32 v[18:19], v45
	v_fmac_f64_e32 v[22:23], v[10:11], v[64:65]
	v_fma_f64 v[50:51], -v[18:19], v[66:67], v[22:23]
	v_fmac_f64_e32 v[0:1], v[18:19], v[64:65]
	global_load_dwordx4 v[22:25], v[12:13], off offset:112
	global_load_dwordx4 v[18:21], v[12:13], off offset:96
	;; [unrolled: 1-line block ×4, first 2 shown]
	v_fmac_f64_e32 v[0:1], v[10:11], v[66:67]
	s_waitcnt vmcnt(0)
	v_cvt_f64_f32_e32 v[10:11], v42
	v_cvt_f64_f32_e32 v[12:13], v43
	v_fmac_f64_e32 v[16:17], v[10:11], v[60:61]
	v_fma_f64 v[16:17], -v[12:13], v[62:63], v[16:17]
	v_fmac_f64_e32 v[32:33], v[12:13], v[60:61]
	v_cvt_f64_f32_e32 v[12:13], v45
	v_fmac_f64_e32 v[32:33], v[10:11], v[62:63]
	v_cvt_f64_f32_e32 v[10:11], v44
	v_fmac_f64_e32 v[30:31], v[12:13], v[60:61]
	v_fmac_f64_e32 v[46:47], v[10:11], v[60:61]
	v_fmac_f64_e32 v[30:31], v[10:11], v[62:63]
	v_cvt_f64_f32_e32 v[10:11], v38
	v_fma_f64 v[42:43], -v[12:13], v[62:63], v[46:47]
	v_cvt_f64_f32_e32 v[12:13], v39
	v_fmac_f64_e32 v[48:49], v[10:11], v[60:61]
	v_fma_f64 v[38:39], -v[12:13], v[62:63], v[48:49]
	v_fmac_f64_e32 v[28:29], v[12:13], v[60:61]
	v_cvt_f64_f32_e32 v[12:13], v41
	v_fmac_f64_e32 v[28:29], v[10:11], v[62:63]
	v_cvt_f64_f32_e32 v[10:11], v40
	v_fmac_f64_e32 v[0:1], v[12:13], v[60:61]
	v_fmac_f64_e32 v[50:51], v[10:11], v[60:61]
	v_fmac_f64_e32 v[0:1], v[10:11], v[62:63]
	v_cvt_f64_f32_e32 v[10:11], v18
	v_fma_f64 v[40:41], -v[12:13], v[62:63], v[50:51]
	;; [unrolled: 12-line block ×3, first 2 shown]
	v_cvt_f64_f32_e32 v[12:13], v23
	v_fmac_f64_e32 v[38:39], v[10:11], v[56:57]
	v_fma_f64 v[22:23], -v[12:13], v[58:59], v[38:39]
	v_fmac_f64_e32 v[28:29], v[12:13], v[56:57]
	v_cvt_f64_f32_e32 v[12:13], v25
	v_fmac_f64_e32 v[28:29], v[10:11], v[58:59]
	v_cvt_f64_f32_e32 v[10:11], v24
	v_fmac_f64_e32 v[0:1], v[12:13], v[56:57]
	v_fmac_f64_e32 v[40:41], v[10:11], v[56:57]
	;; [unrolled: 1-line block ×3, first 2 shown]
	global_load_dword v10, v[14:15], off offset:384
	v_fma_f64 v[24:25], -v[12:13], v[58:59], v[40:41]
	v_add_co_u32_e32 v12, vcc, s22, v36
	v_lshl_add_u64 v[38:39], v[36:37], 0, s[18:19]
	s_nop 0
	v_addc_co_u32_e32 v13, vcc, 0, v37, vcc
	global_load_dwordx4 v[40:43], v[12:13], off
	global_load_dwordx4 v[44:47], v[38:39], off offset:48
	global_load_dwordx4 v[48:51], v[38:39], off offset:32
	;; [unrolled: 1-line block ×3, first 2 shown]
	v_cmp_ge_i32_e32 vcc, v34, v54
	v_lshl_add_u64 v[36:37], v[36:37], 0, s[20:21]
	s_or_b64 s[10:11], vcc, s[10:11]
	s_waitcnt vmcnt(4)
	v_subrev_u32_e32 v10, s12, v10
	v_lshlrev_b32_e32 v10, 2, v10
	v_ashrrev_i32_e32 v11, 31, v10
	v_lshl_add_u64 v[68:69], v[10:11], 4, s[4:5]
	global_load_dwordx4 v[10:13], v[68:69], off offset:48
	global_load_dwordx4 v[14:17], v[68:69], off offset:32
	;; [unrolled: 1-line block ×3, first 2 shown]
	global_load_dwordx4 v[64:67], v[68:69], off
	s_waitcnt vmcnt(7)
	v_cvt_f64_f32_e32 v[52:53], v40
	v_cvt_f64_f32_e32 v[40:41], v41
	s_waitcnt vmcnt(0)
	v_fmac_f64_e32 v[18:19], v[52:53], v[64:65]
	v_fma_f64 v[18:19], -v[40:41], v[66:67], v[18:19]
	v_fmac_f64_e32 v[32:33], v[40:41], v[64:65]
	v_cvt_f64_f32_e32 v[40:41], v42
	v_cvt_f64_f32_e32 v[42:43], v43
	v_fmac_f64_e32 v[20:21], v[40:41], v[64:65]
	v_fma_f64 v[20:21], -v[42:43], v[66:67], v[20:21]
	v_fmac_f64_e32 v[30:31], v[42:43], v[64:65]
	v_cvt_f64_f32_e32 v[42:43], v57
	v_fmac_f64_e32 v[30:31], v[40:41], v[66:67]
	v_cvt_f64_f32_e32 v[40:41], v56
	v_fmac_f64_e32 v[28:29], v[42:43], v[64:65]
	v_fmac_f64_e32 v[22:23], v[40:41], v[64:65]
	;; [unrolled: 1-line block ×3, first 2 shown]
	v_cvt_f64_f32_e32 v[40:41], v59
	v_fmac_f64_e32 v[32:33], v[52:53], v[66:67]
	v_fma_f64 v[52:53], -v[42:43], v[66:67], v[22:23]
	v_cvt_f64_f32_e32 v[22:23], v58
	v_fmac_f64_e32 v[0:1], v[40:41], v[64:65]
	v_fmac_f64_e32 v[24:25], v[22:23], v[64:65]
	;; [unrolled: 1-line block ×3, first 2 shown]
	v_cvt_f64_f32_e32 v[22:23], v48
	v_fma_f64 v[42:43], -v[40:41], v[66:67], v[24:25]
	v_cvt_f64_f32_e32 v[40:41], v49
	v_fmac_f64_e32 v[18:19], v[22:23], v[60:61]
	v_fma_f64 v[24:25], -v[40:41], v[62:63], v[18:19]
	v_fmac_f64_e32 v[32:33], v[40:41], v[60:61]
	v_cvt_f64_f32_e32 v[40:41], v51
	v_cvt_f64_f32_e32 v[18:19], v50
	v_fmac_f64_e32 v[30:31], v[40:41], v[60:61]
	v_fmac_f64_e32 v[20:21], v[18:19], v[60:61]
	;; [unrolled: 1-line block ×3, first 2 shown]
	v_cvt_f64_f32_e32 v[18:19], v44
	v_fmac_f64_e32 v[32:33], v[22:23], v[62:63]
	v_fma_f64 v[22:23], -v[40:41], v[62:63], v[20:21]
	v_cvt_f64_f32_e32 v[40:41], v45
	v_fmac_f64_e32 v[52:53], v[18:19], v[60:61]
	v_fma_f64 v[20:21], -v[40:41], v[62:63], v[52:53]
	v_fmac_f64_e32 v[28:29], v[40:41], v[60:61]
	v_cvt_f64_f32_e32 v[40:41], v46
	v_cvt_f64_f32_e32 v[44:45], v47
	v_fmac_f64_e32 v[42:43], v[40:41], v[60:61]
	v_fmac_f64_e32 v[0:1], v[44:45], v[60:61]
	;; [unrolled: 1-line block ×3, first 2 shown]
	v_fma_f64 v[18:19], -v[44:45], v[62:63], v[42:43]
	v_fmac_f64_e32 v[0:1], v[40:41], v[62:63]
	global_load_dwordx4 v[46:49], v[38:39], off offset:112
	global_load_dwordx4 v[40:43], v[38:39], off offset:96
	;; [unrolled: 1-line block ×4, first 2 shown]
	s_waitcnt vmcnt(0)
	v_cvt_f64_f32_e32 v[38:39], v56
	v_cvt_f64_f32_e32 v[44:45], v57
	v_fmac_f64_e32 v[24:25], v[38:39], v[14:15]
	v_fmac_f64_e32 v[32:33], v[44:45], v[14:15]
	v_fma_f64 v[24:25], -v[44:45], v[16:17], v[24:25]
	v_fmac_f64_e32 v[32:33], v[38:39], v[16:17]
	v_cvt_f64_f32_e32 v[38:39], v58
	v_cvt_f64_f32_e32 v[44:45], v59
	v_fmac_f64_e32 v[22:23], v[38:39], v[14:15]
	v_fmac_f64_e32 v[30:31], v[44:45], v[14:15]
	v_fma_f64 v[22:23], -v[44:45], v[16:17], v[22:23]
	v_fmac_f64_e32 v[30:31], v[38:39], v[16:17]
	;; [unrolled: 6-line block ×8, first 2 shown]
	s_andn2_b64 exec, exec, s[10:11]
	s_cbranch_execnz .LBB168_31
; %bb.32:
	s_or_b64 exec, exec, s[10:11]
.LBB168_33:
	s_or_b64 exec, exec, s[2:3]
.LBB168_34:
	s_or_b64 exec, exec, s[6:7]
.LBB168_35:
	v_mov_b32_dpp v14, v32 row_shr:1 row_mask:0xf bank_mask:0xf
	v_mov_b32_dpp v15, v33 row_shr:1 row_mask:0xf bank_mask:0xf
	;; [unrolled: 1-line block ×4, first 2 shown]
	v_add_f64 v[14:15], v[32:33], v[14:15]
	v_mov_b32_dpp v20, v42 row_shr:1 row_mask:0xf bank_mask:0xf
	v_mov_b32_dpp v21, v43 row_shr:1 row_mask:0xf bank_mask:0xf
	v_mov_b32_dpp v24, v30 row_shr:1 row_mask:0xf bank_mask:0xf
	v_mov_b32_dpp v25, v31 row_shr:1 row_mask:0xf bank_mask:0xf
	v_mov_b32_dpp v32, v46 row_shr:1 row_mask:0xf bank_mask:0xf
	v_mov_b32_dpp v33, v47 row_shr:1 row_mask:0xf bank_mask:0xf
	v_mov_b32_dpp v36, v28 row_shr:1 row_mask:0xf bank_mask:0xf
	v_mov_b32_dpp v37, v29 row_shr:1 row_mask:0xf bank_mask:0xf
	v_mov_b32_dpp v38, v18 row_shr:1 row_mask:0xf bank_mask:0xf
	v_mov_b32_dpp v39, v19 row_shr:1 row_mask:0xf bank_mask:0xf
	v_mov_b32_dpp v40, v0 row_shr:1 row_mask:0xf bank_mask:0xf
	v_mov_b32_dpp v41, v1 row_shr:1 row_mask:0xf bank_mask:0xf
	v_add_f64 v[10:11], v[44:45], v[10:11]
	v_add_f64 v[20:21], v[42:43], v[20:21]
	v_add_f64 v[24:25], v[30:31], v[24:25]
	v_add_f64 v[32:33], v[46:47], v[32:33]
	v_add_f64 v[28:29], v[28:29], v[36:37]
	v_add_f64 v[18:19], v[18:19], v[38:39]
	v_add_f64 v[0:1], v[0:1], v[40:41]
	v_mov_b32_dpp v12, v10 row_shr:2 row_mask:0xf bank_mask:0xf
	v_mov_b32_dpp v13, v11 row_shr:2 row_mask:0xf bank_mask:0xf
	v_mov_b32_dpp v16, v14 row_shr:2 row_mask:0xf bank_mask:0xf
	v_mov_b32_dpp v17, v15 row_shr:2 row_mask:0xf bank_mask:0xf
	v_mov_b32_dpp v22, v20 row_shr:2 row_mask:0xf bank_mask:0xf
	v_mov_b32_dpp v23, v21 row_shr:2 row_mask:0xf bank_mask:0xf
	v_mov_b32_dpp v30, v24 row_shr:2 row_mask:0xf bank_mask:0xf
	v_mov_b32_dpp v31, v25 row_shr:2 row_mask:0xf bank_mask:0xf
	v_mov_b32_dpp v34, v32 row_shr:2 row_mask:0xf bank_mask:0xf
	v_mov_b32_dpp v35, v33 row_shr:2 row_mask:0xf bank_mask:0xf
	v_mov_b32_dpp v36, v28 row_shr:2 row_mask:0xf bank_mask:0xf
	v_mov_b32_dpp v37, v29 row_shr:2 row_mask:0xf bank_mask:0xf
	v_mov_b32_dpp v38, v18 row_shr:2 row_mask:0xf bank_mask:0xf
	v_mov_b32_dpp v39, v19 row_shr:2 row_mask:0xf bank_mask:0xf
	v_mov_b32_dpp v40, v0 row_shr:2 row_mask:0xf bank_mask:0xf
	v_mov_b32_dpp v41, v1 row_shr:2 row_mask:0xf bank_mask:0xf
	v_add_f64 v[10:11], v[10:11], v[12:13]
	v_add_f64 v[14:15], v[14:15], v[16:17]
	v_add_f64 v[20:21], v[20:21], v[22:23]
	v_add_f64 v[24:25], v[24:25], v[30:31]
	v_add_f64 v[32:33], v[32:33], v[34:35]
	v_add_f64 v[28:29], v[28:29], v[36:37]
	v_add_f64 v[18:19], v[18:19], v[38:39]
	v_add_f64 v[0:1], v[0:1], v[40:41]
	v_mov_b32_dpp v12, v10 row_shr:4 row_mask:0xf bank_mask:0xe
	v_mov_b32_dpp v13, v11 row_shr:4 row_mask:0xf bank_mask:0xe
	v_mov_b32_dpp v16, v14 row_shr:4 row_mask:0xf bank_mask:0xe
	v_mov_b32_dpp v17, v15 row_shr:4 row_mask:0xf bank_mask:0xe
	v_mov_b32_dpp v22, v20 row_shr:4 row_mask:0xf bank_mask:0xe
	v_mov_b32_dpp v23, v21 row_shr:4 row_mask:0xf bank_mask:0xe
	v_mov_b32_dpp v30, v24 row_shr:4 row_mask:0xf bank_mask:0xe
	v_mov_b32_dpp v31, v25 row_shr:4 row_mask:0xf bank_mask:0xe
	v_mov_b32_dpp v34, v32 row_shr:4 row_mask:0xf bank_mask:0xe
	v_mov_b32_dpp v35, v33 row_shr:4 row_mask:0xf bank_mask:0xe
	v_mov_b32_dpp v36, v28 row_shr:4 row_mask:0xf bank_mask:0xe
	v_mov_b32_dpp v37, v29 row_shr:4 row_mask:0xf bank_mask:0xe
	v_mov_b32_dpp v38, v18 row_shr:4 row_mask:0xf bank_mask:0xe
	v_mov_b32_dpp v39, v19 row_shr:4 row_mask:0xf bank_mask:0xe
	v_mov_b32_dpp v40, v0 row_shr:4 row_mask:0xf bank_mask:0xe
	v_mov_b32_dpp v41, v1 row_shr:4 row_mask:0xf bank_mask:0xe
	v_add_f64 v[10:11], v[10:11], v[12:13]
	;; [unrolled: 24-line block ×3, first 2 shown]
	v_add_f64 v[14:15], v[14:15], v[16:17]
	v_add_f64 v[20:21], v[20:21], v[22:23]
	;; [unrolled: 1-line block ×7, first 2 shown]
	v_mov_b32_dpp v12, v10 row_bcast:15 row_mask:0xa bank_mask:0xf
	v_mov_b32_dpp v13, v11 row_bcast:15 row_mask:0xa bank_mask:0xf
	;; [unrolled: 1-line block ×16, first 2 shown]
	v_cmp_eq_u32_e32 vcc, 31, v27
	s_and_b64 exec, exec, vcc
	s_cbranch_execz .LBB168_8
; %bb.36:
	s_load_dwordx2 s[2:3], s[0:1], 0x60
	v_add_f64 v[42:43], v[10:11], v[12:13]
	v_add_f64 v[10:11], v[14:15], v[16:17]
	;; [unrolled: 1-line block ×8, first 2 shown]
	v_cmp_eq_f64_e32 vcc, 0, v[2:3]
	v_cmp_eq_f64_e64 s[0:1], 0, v[4:5]
	v_mul_f64 v[22:23], v[10:11], -v[8:9]
	v_mul_f64 v[24:25], v[6:7], v[10:11]
	v_mul_f64 v[18:19], v[12:13], -v[8:9]
	v_mul_f64 v[20:21], v[6:7], v[12:13]
	v_mul_f64 v[14:15], v[16:17], -v[8:9]
	v_mul_f64 v[16:17], v[6:7], v[16:17]
	v_mul_f64 v[10:11], v[0:1], -v[8:9]
	v_mul_f64 v[12:13], v[6:7], v[0:1]
	s_and_b64 s[0:1], vcc, s[0:1]
	v_fmac_f64_e32 v[22:23], v[6:7], v[42:43]
	v_fmac_f64_e32 v[24:25], v[8:9], v[42:43]
	v_lshlrev_b32_e32 v0, 2, v26
	v_fmac_f64_e32 v[18:19], v[6:7], v[44:45]
	v_fmac_f64_e32 v[20:21], v[8:9], v[44:45]
	;; [unrolled: 1-line block ×6, first 2 shown]
	s_waitcnt lgkmcnt(0)
	s_and_saveexec_b64 s[4:5], s[0:1]
	s_xor_b64 s[0:1], exec, s[4:5]
	s_cbranch_execz .LBB168_38
; %bb.37:
	v_ashrrev_i32_e32 v1, 31, v0
	v_lshl_add_u64 v[0:1], v[0:1], 4, s[2:3]
	global_store_dwordx4 v[0:1], v[22:25], off
	global_store_dwordx4 v[0:1], v[18:21], off offset:16
	global_store_dwordx4 v[0:1], v[14:17], off offset:32
	;; [unrolled: 1-line block ×3, first 2 shown]
                                        ; implicit-def: $vgpr4_vgpr5
                                        ; implicit-def: $vgpr22_vgpr23
                                        ; implicit-def: $vgpr0
                                        ; implicit-def: $vgpr18_vgpr19
                                        ; implicit-def: $vgpr14_vgpr15
                                        ; implicit-def: $vgpr10_vgpr11
.LBB168_38:
	s_andn2_saveexec_b64 s[0:1], s[0:1]
	s_cbranch_execz .LBB168_8
; %bb.39:
	v_ashrrev_i32_e32 v1, 31, v0
	v_lshl_add_u64 v[0:1], v[0:1], 4, s[2:3]
	global_load_dwordx4 v[6:9], v[0:1], off
	global_load_dwordx4 v[26:29], v[0:1], off offset:16
	global_load_dwordx4 v[30:33], v[0:1], off offset:32
	;; [unrolled: 1-line block ×3, first 2 shown]
	s_waitcnt vmcnt(3)
	v_fmac_f64_e32 v[22:23], v[2:3], v[6:7]
	v_fmac_f64_e32 v[24:25], v[4:5], v[6:7]
	s_waitcnt vmcnt(2)
	v_fmac_f64_e32 v[18:19], v[2:3], v[26:27]
	v_fmac_f64_e32 v[20:21], v[4:5], v[26:27]
	;; [unrolled: 3-line block ×4, first 2 shown]
	v_fma_f64 v[22:23], -v[4:5], v[8:9], v[22:23]
	v_fmac_f64_e32 v[24:25], v[2:3], v[8:9]
	v_fma_f64 v[18:19], -v[4:5], v[28:29], v[18:19]
	v_fmac_f64_e32 v[20:21], v[2:3], v[28:29]
	;; [unrolled: 2-line block ×4, first 2 shown]
	global_store_dwordx4 v[0:1], v[22:25], off
	global_store_dwordx4 v[0:1], v[18:21], off offset:16
	global_store_dwordx4 v[0:1], v[14:17], off offset:32
	;; [unrolled: 1-line block ×3, first 2 shown]
	s_endpgm
	.section	.rodata,"a",@progbits
	.p2align	6, 0x0
	.amdhsa_kernel _ZN9rocsparseL18bsrxmvn_4x4_kernelILj128ELj32E21rocsparse_complex_numIdEiiS1_IfES2_S2_EEvT3_20rocsparse_direction_NS_24const_host_device_scalarIT1_EES4_PKS4_PKT2_SD_SA_PKT4_PKT5_S8_PT6_21rocsparse_index_base_b
		.amdhsa_group_segment_fixed_size 0
		.amdhsa_private_segment_fixed_size 0
		.amdhsa_kernarg_size 112
		.amdhsa_user_sgpr_count 2
		.amdhsa_user_sgpr_dispatch_ptr 0
		.amdhsa_user_sgpr_queue_ptr 0
		.amdhsa_user_sgpr_kernarg_segment_ptr 1
		.amdhsa_user_sgpr_dispatch_id 0
		.amdhsa_user_sgpr_kernarg_preload_length 0
		.amdhsa_user_sgpr_kernarg_preload_offset 0
		.amdhsa_user_sgpr_private_segment_size 0
		.amdhsa_uses_dynamic_stack 0
		.amdhsa_enable_private_segment 0
		.amdhsa_system_sgpr_workgroup_id_x 1
		.amdhsa_system_sgpr_workgroup_id_y 0
		.amdhsa_system_sgpr_workgroup_id_z 0
		.amdhsa_system_sgpr_workgroup_info 0
		.amdhsa_system_vgpr_workitem_id 0
		.amdhsa_next_free_vgpr 118
		.amdhsa_next_free_sgpr 25
		.amdhsa_accum_offset 120
		.amdhsa_reserve_vcc 1
		.amdhsa_float_round_mode_32 0
		.amdhsa_float_round_mode_16_64 0
		.amdhsa_float_denorm_mode_32 3
		.amdhsa_float_denorm_mode_16_64 3
		.amdhsa_dx10_clamp 1
		.amdhsa_ieee_mode 1
		.amdhsa_fp16_overflow 0
		.amdhsa_tg_split 0
		.amdhsa_exception_fp_ieee_invalid_op 0
		.amdhsa_exception_fp_denorm_src 0
		.amdhsa_exception_fp_ieee_div_zero 0
		.amdhsa_exception_fp_ieee_overflow 0
		.amdhsa_exception_fp_ieee_underflow 0
		.amdhsa_exception_fp_ieee_inexact 0
		.amdhsa_exception_int_div_zero 0
	.end_amdhsa_kernel
	.section	.text._ZN9rocsparseL18bsrxmvn_4x4_kernelILj128ELj32E21rocsparse_complex_numIdEiiS1_IfES2_S2_EEvT3_20rocsparse_direction_NS_24const_host_device_scalarIT1_EES4_PKS4_PKT2_SD_SA_PKT4_PKT5_S8_PT6_21rocsparse_index_base_b,"axG",@progbits,_ZN9rocsparseL18bsrxmvn_4x4_kernelILj128ELj32E21rocsparse_complex_numIdEiiS1_IfES2_S2_EEvT3_20rocsparse_direction_NS_24const_host_device_scalarIT1_EES4_PKS4_PKT2_SD_SA_PKT4_PKT5_S8_PT6_21rocsparse_index_base_b,comdat
.Lfunc_end168:
	.size	_ZN9rocsparseL18bsrxmvn_4x4_kernelILj128ELj32E21rocsparse_complex_numIdEiiS1_IfES2_S2_EEvT3_20rocsparse_direction_NS_24const_host_device_scalarIT1_EES4_PKS4_PKT2_SD_SA_PKT4_PKT5_S8_PT6_21rocsparse_index_base_b, .Lfunc_end168-_ZN9rocsparseL18bsrxmvn_4x4_kernelILj128ELj32E21rocsparse_complex_numIdEiiS1_IfES2_S2_EEvT3_20rocsparse_direction_NS_24const_host_device_scalarIT1_EES4_PKS4_PKT2_SD_SA_PKT4_PKT5_S8_PT6_21rocsparse_index_base_b
                                        ; -- End function
	.set _ZN9rocsparseL18bsrxmvn_4x4_kernelILj128ELj32E21rocsparse_complex_numIdEiiS1_IfES2_S2_EEvT3_20rocsparse_direction_NS_24const_host_device_scalarIT1_EES4_PKS4_PKT2_SD_SA_PKT4_PKT5_S8_PT6_21rocsparse_index_base_b.num_vgpr, 118
	.set _ZN9rocsparseL18bsrxmvn_4x4_kernelILj128ELj32E21rocsparse_complex_numIdEiiS1_IfES2_S2_EEvT3_20rocsparse_direction_NS_24const_host_device_scalarIT1_EES4_PKS4_PKT2_SD_SA_PKT4_PKT5_S8_PT6_21rocsparse_index_base_b.num_agpr, 0
	.set _ZN9rocsparseL18bsrxmvn_4x4_kernelILj128ELj32E21rocsparse_complex_numIdEiiS1_IfES2_S2_EEvT3_20rocsparse_direction_NS_24const_host_device_scalarIT1_EES4_PKS4_PKT2_SD_SA_PKT4_PKT5_S8_PT6_21rocsparse_index_base_b.numbered_sgpr, 25
	.set _ZN9rocsparseL18bsrxmvn_4x4_kernelILj128ELj32E21rocsparse_complex_numIdEiiS1_IfES2_S2_EEvT3_20rocsparse_direction_NS_24const_host_device_scalarIT1_EES4_PKS4_PKT2_SD_SA_PKT4_PKT5_S8_PT6_21rocsparse_index_base_b.num_named_barrier, 0
	.set _ZN9rocsparseL18bsrxmvn_4x4_kernelILj128ELj32E21rocsparse_complex_numIdEiiS1_IfES2_S2_EEvT3_20rocsparse_direction_NS_24const_host_device_scalarIT1_EES4_PKS4_PKT2_SD_SA_PKT4_PKT5_S8_PT6_21rocsparse_index_base_b.private_seg_size, 0
	.set _ZN9rocsparseL18bsrxmvn_4x4_kernelILj128ELj32E21rocsparse_complex_numIdEiiS1_IfES2_S2_EEvT3_20rocsparse_direction_NS_24const_host_device_scalarIT1_EES4_PKS4_PKT2_SD_SA_PKT4_PKT5_S8_PT6_21rocsparse_index_base_b.uses_vcc, 1
	.set _ZN9rocsparseL18bsrxmvn_4x4_kernelILj128ELj32E21rocsparse_complex_numIdEiiS1_IfES2_S2_EEvT3_20rocsparse_direction_NS_24const_host_device_scalarIT1_EES4_PKS4_PKT2_SD_SA_PKT4_PKT5_S8_PT6_21rocsparse_index_base_b.uses_flat_scratch, 0
	.set _ZN9rocsparseL18bsrxmvn_4x4_kernelILj128ELj32E21rocsparse_complex_numIdEiiS1_IfES2_S2_EEvT3_20rocsparse_direction_NS_24const_host_device_scalarIT1_EES4_PKS4_PKT2_SD_SA_PKT4_PKT5_S8_PT6_21rocsparse_index_base_b.has_dyn_sized_stack, 0
	.set _ZN9rocsparseL18bsrxmvn_4x4_kernelILj128ELj32E21rocsparse_complex_numIdEiiS1_IfES2_S2_EEvT3_20rocsparse_direction_NS_24const_host_device_scalarIT1_EES4_PKS4_PKT2_SD_SA_PKT4_PKT5_S8_PT6_21rocsparse_index_base_b.has_recursion, 0
	.set _ZN9rocsparseL18bsrxmvn_4x4_kernelILj128ELj32E21rocsparse_complex_numIdEiiS1_IfES2_S2_EEvT3_20rocsparse_direction_NS_24const_host_device_scalarIT1_EES4_PKS4_PKT2_SD_SA_PKT4_PKT5_S8_PT6_21rocsparse_index_base_b.has_indirect_call, 0
	.section	.AMDGPU.csdata,"",@progbits
; Kernel info:
; codeLenInByte = 8572
; TotalNumSgprs: 31
; NumVgprs: 118
; NumAgprs: 0
; TotalNumVgprs: 118
; ScratchSize: 0
; MemoryBound: 0
; FloatMode: 240
; IeeeMode: 1
; LDSByteSize: 0 bytes/workgroup (compile time only)
; SGPRBlocks: 3
; VGPRBlocks: 14
; NumSGPRsForWavesPerEU: 31
; NumVGPRsForWavesPerEU: 118
; AccumOffset: 120
; Occupancy: 4
; WaveLimiterHint : 1
; COMPUTE_PGM_RSRC2:SCRATCH_EN: 0
; COMPUTE_PGM_RSRC2:USER_SGPR: 2
; COMPUTE_PGM_RSRC2:TRAP_HANDLER: 0
; COMPUTE_PGM_RSRC2:TGID_X_EN: 1
; COMPUTE_PGM_RSRC2:TGID_Y_EN: 0
; COMPUTE_PGM_RSRC2:TGID_Z_EN: 0
; COMPUTE_PGM_RSRC2:TIDIG_COMP_CNT: 0
; COMPUTE_PGM_RSRC3_GFX90A:ACCUM_OFFSET: 29
; COMPUTE_PGM_RSRC3_GFX90A:TG_SPLIT: 0
	.section	.text._ZN9rocsparseL18bsrxmvn_4x4_kernelILj128ELj64E21rocsparse_complex_numIdEiiS1_IfES2_S2_EEvT3_20rocsparse_direction_NS_24const_host_device_scalarIT1_EES4_PKS4_PKT2_SD_SA_PKT4_PKT5_S8_PT6_21rocsparse_index_base_b,"axG",@progbits,_ZN9rocsparseL18bsrxmvn_4x4_kernelILj128ELj64E21rocsparse_complex_numIdEiiS1_IfES2_S2_EEvT3_20rocsparse_direction_NS_24const_host_device_scalarIT1_EES4_PKS4_PKT2_SD_SA_PKT4_PKT5_S8_PT6_21rocsparse_index_base_b,comdat
	.globl	_ZN9rocsparseL18bsrxmvn_4x4_kernelILj128ELj64E21rocsparse_complex_numIdEiiS1_IfES2_S2_EEvT3_20rocsparse_direction_NS_24const_host_device_scalarIT1_EES4_PKS4_PKT2_SD_SA_PKT4_PKT5_S8_PT6_21rocsparse_index_base_b ; -- Begin function _ZN9rocsparseL18bsrxmvn_4x4_kernelILj128ELj64E21rocsparse_complex_numIdEiiS1_IfES2_S2_EEvT3_20rocsparse_direction_NS_24const_host_device_scalarIT1_EES4_PKS4_PKT2_SD_SA_PKT4_PKT5_S8_PT6_21rocsparse_index_base_b
	.p2align	8
	.type	_ZN9rocsparseL18bsrxmvn_4x4_kernelILj128ELj64E21rocsparse_complex_numIdEiiS1_IfES2_S2_EEvT3_20rocsparse_direction_NS_24const_host_device_scalarIT1_EES4_PKS4_PKT2_SD_SA_PKT4_PKT5_S8_PT6_21rocsparse_index_base_b,@function
_ZN9rocsparseL18bsrxmvn_4x4_kernelILj128ELj64E21rocsparse_complex_numIdEiiS1_IfES2_S2_EEvT3_20rocsparse_direction_NS_24const_host_device_scalarIT1_EES4_PKS4_PKT2_SD_SA_PKT4_PKT5_S8_PT6_21rocsparse_index_base_b: ; @_ZN9rocsparseL18bsrxmvn_4x4_kernelILj128ELj64E21rocsparse_complex_numIdEiiS1_IfES2_S2_EEvT3_20rocsparse_direction_NS_24const_host_device_scalarIT1_EES4_PKS4_PKT2_SD_SA_PKT4_PKT5_S8_PT6_21rocsparse_index_base_b
; %bb.0:
	s_load_dwordx2 s[4:5], s[0:1], 0x8
	s_load_dwordx2 s[12:13], s[0:1], 0x68
	s_add_u32 s3, s0, 8
	s_addc_u32 s8, s1, 0
	s_add_u32 s9, s0, 0x50
	s_load_dwordx2 s[6:7], s[0:1], 0x50
	s_addc_u32 s10, s1, 0
	s_waitcnt lgkmcnt(0)
	s_bitcmp1_b32 s13, 0
	s_cselect_b32 s5, s8, s5
	s_cselect_b32 s3, s3, s4
	v_mov_b32_e32 v2, s3
	v_mov_b32_e32 v3, s5
	flat_load_dwordx4 v[6:9], v[2:3]
	s_cselect_b32 s3, s10, s7
	s_cselect_b32 s4, s9, s6
	v_mov_b32_e32 v2, s4
	v_mov_b32_e32 v3, s3
	flat_load_dwordx4 v[2:5], v[2:3]
	s_waitcnt vmcnt(0) lgkmcnt(0)
	v_cmp_eq_f64_e32 vcc, 0, v[6:7]
	v_cmp_eq_f64_e64 s[4:5], 0, v[8:9]
	s_and_b64 s[8:9], vcc, s[4:5]
	s_mov_b64 s[4:5], -1
	s_and_saveexec_b64 s[6:7], s[8:9]
; %bb.1:
	v_cmp_neq_f64_e32 vcc, 1.0, v[2:3]
	v_cmp_neq_f64_e64 s[4:5], 0, v[4:5]
	s_or_b64 s[4:5], vcc, s[4:5]
	s_orn2_b64 s[4:5], s[4:5], exec
; %bb.2:
	s_or_b64 exec, exec, s[6:7]
	s_and_saveexec_b64 s[6:7], s[4:5]
	s_cbranch_execz .LBB169_8
; %bb.3:
	s_load_dwordx2 s[4:5], s[0:1], 0x20
	s_load_dwordx2 s[14:15], s[0:1], 0x0
	v_lshrrev_b32_e32 v1, 6, v0
	v_lshl_or_b32 v26, s2, 1, v1
	s_mov_b64 s[2:3], 0
	s_waitcnt lgkmcnt(0)
	s_cmp_lg_u64 s[4:5], 0
	s_cbranch_scc0 .LBB169_9
; %bb.4:
	s_load_dword s6, s[0:1], 0x18
                                        ; implicit-def: $vgpr1
	s_waitcnt lgkmcnt(0)
	v_cmp_gt_i32_e32 vcc, s6, v26
	s_and_saveexec_b64 s[6:7], vcc
	s_xor_b64 s[6:7], exec, s[6:7]
	s_cbranch_execz .LBB169_6
; %bb.5:
	v_ashrrev_i32_e32 v27, 31, v26
	v_lshl_add_u64 v[10:11], v[26:27], 2, s[4:5]
	global_load_dword v1, v[10:11], off
	s_mov_b64 s[2:3], exec
	s_waitcnt vmcnt(0)
	v_subrev_u32_e32 v1, s12, v1
.LBB169_6:
	s_or_b64 exec, exec, s[6:7]
	s_branch .LBB169_10
.LBB169_7:
	v_cmp_gt_i32_e32 vcc, s14, v26
	s_andn2_b64 s[2:3], s[2:3], exec
	s_and_b64 s[4:5], vcc, exec
	s_or_b64 s[2:3], s[2:3], s[4:5]
	s_and_b64 exec, exec, s[2:3]
	s_cbranch_execnz .LBB169_11
.LBB169_8:
	s_endpgm
.LBB169_9:
                                        ; implicit-def: $vgpr1
	s_cbranch_execnz .LBB169_7
.LBB169_10:
	v_mov_b32_e32 v26, v1
	s_and_b64 exec, exec, s[2:3]
	s_cbranch_execz .LBB169_8
.LBB169_11:
	s_load_dwordx8 s[4:11], s[0:1], 0x28
	v_ashrrev_i32_e32 v27, 31, v26
	v_lshlrev_b64 v[10:11], 2, v[26:27]
	v_and_b32_e32 v27, 63, v0
	s_waitcnt lgkmcnt(0)
	v_lshl_add_u64 v[12:13], s[4:5], 0, v[10:11]
	s_cmp_eq_u64 s[6:7], 0
	global_load_dword v57, v[12:13], off
	v_lshl_add_u64 v[12:13], v[12:13], 0, 4
	v_lshl_add_u64 v[10:11], s[6:7], 0, v[10:11]
	s_cselect_b64 vcc, -1, 0
	v_cndmask_b32_e32 v11, v11, v13, vcc
	v_cndmask_b32_e32 v10, v10, v12, vcc
	global_load_dword v1, v[10:11], off
	s_load_dwordx2 s[4:5], s[0:1], 0x48
	s_cmp_eq_u32 s15, 1
	s_waitcnt vmcnt(1)
	v_subrev_u32_e32 v0, s12, v57
	v_add_u32_e32 v34, v0, v27
	v_ashrrev_i32_e32 v35, 31, v34
	s_waitcnt vmcnt(0)
	v_subrev_u32_e32 v56, s12, v1
	v_lshlrev_b64 v[0:1], 7, v[34:35]
	v_lshl_add_u64 v[36:37], s[10:11], 0, v[0:1]
	v_cmp_lt_i32_e64 s[2:3], v34, v56
	s_cbranch_scc1 .LBB169_23
; %bb.12:
	v_mov_b64_e32 v[32:33], 0
	v_mov_b64_e32 v[44:45], 0
	;; [unrolled: 1-line block ×8, first 2 shown]
	s_and_saveexec_b64 s[6:7], s[2:3]
	s_cbranch_execz .LBB169_22
; %bb.13:
	v_add_u32_e32 v0, v57, v27
	v_subrev_u32_e32 v0, s12, v0
	v_add_u32_e32 v0, 64, v0
	v_max_i32_e32 v0, v0, v56
	v_not_b32_e32 v1, v57
	v_add3_u32 v0, s12, v0, v1
	v_sub_u32_e32 v14, v0, v27
	s_movk_i32 s10, 0xc0
	v_and_b32_e32 v0, 0xc0, v14
	v_cmp_ne_u32_e32 vcc, s10, v0
	v_mov_b64_e32 v[18:19], 0
	v_mov_b64_e32 v[0:1], 0
	;; [unrolled: 1-line block ×9, first 2 shown]
	v_mov_b32_e32 v38, v34
	s_and_saveexec_b64 s[10:11], vcc
	s_cbranch_execz .LBB169_17
; %bb.14:
	v_lshrrev_b32_e32 v0, 6, v14
	v_add_u32_e32 v0, 1, v0
	v_and_b32_e32 v0, 3, v0
	v_sub_u32_e32 v15, 0, v0
	v_mov_b64_e32 v[32:33], 0
	s_mov_b64 s[14:15], 0
	s_mov_b64 s[16:17], 0x2000
	v_mov_b32_e32 v38, v34
	v_mov_b64_e32 v[40:41], v[36:37]
	v_mov_b64_e32 v[44:45], 0
	;; [unrolled: 1-line block ×8, first 2 shown]
.LBB169_15:                             ; =>This Inner Loop Header: Depth=1
	global_load_dwordx4 v[20:23], v[40:41], off
	global_load_dwordx4 v[48:51], v[40:41], off offset:16
	global_load_dwordx4 v[10:13], v[40:41], off offset:32
	v_ashrrev_i32_e32 v39, 31, v38
	v_lshl_add_u64 v[16:17], v[38:39], 2, s[8:9]
	global_load_dwordx4 v[52:55], v[40:41], off offset:64
	global_load_dwordx4 v[58:61], v[40:41], off offset:96
	global_load_dword v35, v[16:17], off
	global_load_dwordx4 v[62:65], v[40:41], off offset:48
	global_load_dwordx4 v[66:69], v[40:41], off offset:80
	;; [unrolled: 1-line block ×3, first 2 shown]
	v_add_co_u32_e32 v15, vcc, 1, v15
	v_lshl_add_u64 v[40:41], v[40:41], 0, s[16:17]
	v_add_u32_e32 v38, 64, v38
	s_or_b64 s[14:15], vcc, s[14:15]
	s_waitcnt vmcnt(8)
	v_cvt_f64_f32_e32 v[16:17], v20
	v_cvt_f64_f32_e32 v[24:25], v21
	s_waitcnt vmcnt(6)
	v_cvt_f64_f32_e32 v[90:91], v10
	s_waitcnt vmcnt(3)
	v_subrev_u32_e32 v10, s12, v35
	v_lshlrev_b32_e32 v10, 2, v10
	v_cvt_f64_f32_e32 v[92:93], v11
	v_ashrrev_i32_e32 v11, 31, v10
	s_waitcnt lgkmcnt(0)
	v_lshl_add_u64 v[102:103], v[10:11], 4, s[4:5]
	v_cvt_f64_f32_e32 v[78:79], v22
	v_cvt_f64_f32_e32 v[80:81], v23
	;; [unrolled: 1-line block ×8, first 2 shown]
	global_load_dwordx4 v[10:13], v[102:103], off
	global_load_dwordx4 v[20:23], v[102:103], off offset:16
	global_load_dwordx4 v[48:51], v[102:103], off offset:32
	;; [unrolled: 1-line block ×3, first 2 shown]
	v_cvt_f64_f32_e32 v[98:99], v52
	v_cvt_f64_f32_e32 v[52:53], v53
	v_cvt_f64_f32_e32 v[100:101], v58
	v_cvt_f64_f32_e32 v[58:59], v59
	v_cvt_f64_f32_e32 v[106:107], v54
	v_cvt_f64_f32_e32 v[54:55], v55
	v_cvt_f64_f32_e32 v[112:113], v60
	v_cvt_f64_f32_e32 v[60:61], v61
	s_waitcnt vmcnt(6)
	v_cvt_f64_f32_e32 v[102:103], v62
	v_cvt_f64_f32_e32 v[62:63], v63
	s_waitcnt vmcnt(5)
	v_cvt_f64_f32_e32 v[108:109], v66
	v_cvt_f64_f32_e32 v[66:67], v67
	;; [unrolled: 3-line block ×3, first 2 shown]
	v_cvt_f64_f32_e32 v[104:105], v64
	v_cvt_f64_f32_e32 v[64:65], v65
	;; [unrolled: 1-line block ×6, first 2 shown]
	s_waitcnt vmcnt(3)
	v_fmac_f64_e32 v[44:45], v[16:17], v[10:11]
	v_fmac_f64_e32 v[32:33], v[24:25], v[10:11]
	v_fmac_f64_e32 v[42:43], v[90:91], v[10:11]
	v_fmac_f64_e32 v[30:31], v[92:93], v[10:11]
	v_fmac_f64_e32 v[46:47], v[98:99], v[10:11]
	v_fmac_f64_e32 v[28:29], v[52:53], v[10:11]
	v_fmac_f64_e32 v[18:19], v[100:101], v[10:11]
	v_fmac_f64_e32 v[0:1], v[58:59], v[10:11]
	v_fma_f64 v[10:11], -v[24:25], v[12:13], v[44:45]
	v_fmac_f64_e32 v[32:33], v[16:17], v[12:13]
	v_fma_f64 v[16:17], -v[92:93], v[12:13], v[42:43]
	v_fmac_f64_e32 v[30:31], v[90:91], v[12:13]
	v_fma_f64 v[24:25], -v[52:53], v[12:13], v[46:47]
	v_fmac_f64_e32 v[28:29], v[98:99], v[12:13]
	v_fma_f64 v[18:19], -v[58:59], v[12:13], v[18:19]
	v_fmac_f64_e32 v[0:1], v[100:101], v[12:13]
	s_waitcnt vmcnt(2)
	v_fmac_f64_e32 v[10:11], v[78:79], v[20:21]
	v_fmac_f64_e32 v[32:33], v[80:81], v[20:21]
	v_fmac_f64_e32 v[16:17], v[94:95], v[20:21]
	v_fmac_f64_e32 v[30:31], v[96:97], v[20:21]
	v_fmac_f64_e32 v[24:25], v[106:107], v[20:21]
	v_fmac_f64_e32 v[28:29], v[54:55], v[20:21]
	v_fmac_f64_e32 v[18:19], v[112:113], v[20:21]
	v_fmac_f64_e32 v[0:1], v[60:61], v[20:21]
	v_fma_f64 v[10:11], -v[80:81], v[22:23], v[10:11]
	v_fmac_f64_e32 v[32:33], v[78:79], v[22:23]
	v_fma_f64 v[12:13], -v[96:97], v[22:23], v[16:17]
	v_fmac_f64_e32 v[30:31], v[94:95], v[22:23]
	v_fma_f64 v[16:17], -v[54:55], v[22:23], v[24:25]
	v_fmac_f64_e32 v[28:29], v[106:107], v[22:23]
	v_fma_f64 v[18:19], -v[60:61], v[22:23], v[18:19]
	v_fmac_f64_e32 v[0:1], v[112:113], v[22:23]
	;; [unrolled: 17-line block ×4, first 2 shown]
	s_andn2_b64 exec, exec, s[14:15]
	s_cbranch_execnz .LBB169_15
; %bb.16:
	s_or_b64 exec, exec, s[14:15]
.LBB169_17:
	s_or_b64 exec, exec, s[10:11]
	s_movk_i32 s10, 0xbf
	v_cmp_lt_u32_e32 vcc, s10, v14
	s_and_saveexec_b64 s[10:11], vcc
	s_cbranch_execz .LBB169_21
; %bb.18:
	s_mov_b64 s[14:15], 0
	s_mov_b64 s[16:17], 0x2000
	s_movk_i32 s13, 0x2000
	s_mov_b64 s[18:19], 0x4000
	s_movk_i32 s24, 0x4000
	;; [unrolled: 2-line block ×3, first 2 shown]
	s_mov_b64 s[22:23], 0x8000
.LBB169_19:                             ; =>This Inner Loop Header: Depth=1
	v_ashrrev_i32_e32 v39, 31, v38
	v_lshl_add_u64 v[48:49], v[38:39], 2, s[8:9]
	global_load_dword v10, v[48:49], off
	global_load_dwordx4 v[20:23], v[40:41], off offset:48
	global_load_dwordx4 v[52:55], v[40:41], off offset:32
	global_load_dwordx4 v[58:61], v[40:41], off offset:16
	global_load_dwordx4 v[62:65], v[40:41], off
	v_add_u32_e32 v38, 0x100, v38
	s_waitcnt vmcnt(4)
	v_subrev_u32_e32 v10, s12, v10
	v_lshlrev_b32_e32 v10, 2, v10
	v_ashrrev_i32_e32 v11, 31, v10
	s_waitcnt vmcnt(0)
	v_cvt_f64_f32_e32 v[24:25], v62
	v_cvt_f64_f32_e32 v[50:51], v63
	s_waitcnt lgkmcnt(0)
	v_lshl_add_u64 v[62:63], v[10:11], 4, s[4:5]
	global_load_dwordx4 v[10:13], v[62:63], off offset:48
	global_load_dwordx4 v[14:17], v[62:63], off offset:32
	;; [unrolled: 1-line block ×3, first 2 shown]
	global_load_dwordx4 v[70:73], v[62:63], off
	s_waitcnt vmcnt(0)
	v_fmac_f64_e32 v[44:45], v[24:25], v[70:71]
	v_fmac_f64_e32 v[32:33], v[50:51], v[70:71]
	v_fma_f64 v[44:45], -v[50:51], v[72:73], v[44:45]
	v_fmac_f64_e32 v[32:33], v[24:25], v[72:73]
	v_cvt_f64_f32_e32 v[24:25], v64
	v_cvt_f64_f32_e32 v[50:51], v65
	v_fmac_f64_e32 v[44:45], v[24:25], v[66:67]
	v_fmac_f64_e32 v[32:33], v[50:51], v[66:67]
	v_fma_f64 v[44:45], -v[50:51], v[68:69], v[44:45]
	v_fmac_f64_e32 v[32:33], v[24:25], v[68:69]
	v_cvt_f64_f32_e32 v[24:25], v58
	v_cvt_f64_f32_e32 v[50:51], v59
	;; [unrolled: 6-line block ×7, first 2 shown]
	v_fmac_f64_e32 v[42:43], v[20:21], v[10:11]
	v_fmac_f64_e32 v[30:31], v[22:23], v[10:11]
	v_fma_f64 v[52:53], -v[22:23], v[12:13], v[42:43]
	v_fmac_f64_e32 v[30:31], v[20:21], v[12:13]
	global_load_dwordx4 v[20:23], v[40:41], off offset:112
	global_load_dwordx4 v[58:61], v[40:41], off offset:96
	;; [unrolled: 1-line block ×4, first 2 shown]
	s_waitcnt vmcnt(0)
	v_cvt_f64_f32_e32 v[24:25], v62
	v_cvt_f64_f32_e32 v[54:55], v63
	v_fmac_f64_e32 v[46:47], v[24:25], v[70:71]
	v_fmac_f64_e32 v[28:29], v[54:55], v[70:71]
	v_fma_f64 v[46:47], -v[54:55], v[72:73], v[46:47]
	v_fmac_f64_e32 v[28:29], v[24:25], v[72:73]
	v_cvt_f64_f32_e32 v[24:25], v64
	v_cvt_f64_f32_e32 v[54:55], v65
	v_fmac_f64_e32 v[46:47], v[24:25], v[66:67]
	v_fmac_f64_e32 v[28:29], v[54:55], v[66:67]
	v_fma_f64 v[46:47], -v[54:55], v[68:69], v[46:47]
	v_fmac_f64_e32 v[28:29], v[24:25], v[68:69]
	;; [unrolled: 6-line block ×7, first 2 shown]
	v_cvt_f64_f32_e32 v[14:15], v22
	v_cvt_f64_f32_e32 v[16:17], v23
	v_fmac_f64_e32 v[18:19], v[14:15], v[10:11]
	v_fmac_f64_e32 v[0:1], v[16:17], v[10:11]
	global_load_dword v10, v[48:49], off offset:256
	v_fma_f64 v[44:45], -v[16:17], v[12:13], v[18:19]
	v_fmac_f64_e32 v[0:1], v[14:15], v[12:13]
	v_add_co_u32_e32 v12, vcc, s13, v40
	v_lshl_add_u64 v[54:55], v[40:41], 0, s[16:17]
	s_nop 0
	v_addc_co_u32_e32 v13, vcc, 0, v41, vcc
	global_load_dwordx4 v[58:61], v[12:13], off
	global_load_dwordx4 v[62:65], v[54:55], off offset:48
	global_load_dwordx4 v[66:69], v[54:55], off offset:32
	;; [unrolled: 1-line block ×3, first 2 shown]
	s_waitcnt vmcnt(4)
	v_subrev_u32_e32 v10, s12, v10
	v_lshlrev_b32_e32 v10, 2, v10
	v_ashrrev_i32_e32 v11, 31, v10
	v_lshl_add_u64 v[74:75], v[10:11], 4, s[4:5]
	global_load_dwordx4 v[10:13], v[74:75], off offset:48
	global_load_dwordx4 v[14:17], v[74:75], off offset:32
	;; [unrolled: 1-line block ×3, first 2 shown]
	global_load_dwordx4 v[22:25], v[74:75], off
	s_waitcnt vmcnt(7)
	v_cvt_f64_f32_e32 v[46:47], v58
	v_cvt_f64_f32_e32 v[58:59], v59
	s_waitcnt vmcnt(0)
	v_fmac_f64_e32 v[50:51], v[46:47], v[22:23]
	v_fmac_f64_e32 v[32:33], v[58:59], v[22:23]
	v_fma_f64 v[50:51], -v[58:59], v[24:25], v[50:51]
	v_fmac_f64_e32 v[32:33], v[46:47], v[24:25]
	v_cvt_f64_f32_e32 v[46:47], v60
	v_cvt_f64_f32_e32 v[58:59], v61
	v_fmac_f64_e32 v[50:51], v[46:47], v[18:19]
	v_fmac_f64_e32 v[32:33], v[58:59], v[18:19]
	v_fma_f64 v[50:51], -v[58:59], v[20:21], v[50:51]
	v_fmac_f64_e32 v[32:33], v[46:47], v[20:21]
	v_cvt_f64_f32_e32 v[46:47], v70
	v_cvt_f64_f32_e32 v[58:59], v71
	v_fmac_f64_e32 v[50:51], v[46:47], v[14:15]
	v_fmac_f64_e32 v[32:33], v[58:59], v[14:15]
	v_fma_f64 v[50:51], -v[58:59], v[16:17], v[50:51]
	v_fmac_f64_e32 v[32:33], v[46:47], v[16:17]
	v_cvt_f64_f32_e32 v[58:59], v72
	v_cvt_f64_f32_e32 v[60:61], v73
	v_fmac_f64_e32 v[50:51], v[58:59], v[10:11]
	v_fmac_f64_e32 v[32:33], v[60:61], v[10:11]
	v_fma_f64 v[46:47], -v[60:61], v[12:13], v[50:51]
	v_fmac_f64_e32 v[32:33], v[58:59], v[12:13]
	v_cvt_f64_f32_e32 v[50:51], v66
	v_cvt_f64_f32_e32 v[58:59], v67
	v_fmac_f64_e32 v[52:53], v[50:51], v[22:23]
	v_fmac_f64_e32 v[30:31], v[58:59], v[22:23]
	v_fma_f64 v[52:53], -v[58:59], v[24:25], v[52:53]
	v_fmac_f64_e32 v[30:31], v[50:51], v[24:25]
	v_cvt_f64_f32_e32 v[50:51], v68
	v_cvt_f64_f32_e32 v[58:59], v69
	v_fmac_f64_e32 v[52:53], v[50:51], v[18:19]
	v_fmac_f64_e32 v[30:31], v[58:59], v[18:19]
	v_fma_f64 v[52:53], -v[58:59], v[20:21], v[52:53]
	v_fmac_f64_e32 v[30:31], v[50:51], v[20:21]
	v_cvt_f64_f32_e32 v[50:51], v62
	v_cvt_f64_f32_e32 v[58:59], v63
	v_fmac_f64_e32 v[52:53], v[50:51], v[14:15]
	v_fmac_f64_e32 v[30:31], v[58:59], v[14:15]
	v_fma_f64 v[52:53], -v[58:59], v[16:17], v[52:53]
	v_fmac_f64_e32 v[30:31], v[50:51], v[16:17]
	v_cvt_f64_f32_e32 v[58:59], v64
	v_cvt_f64_f32_e32 v[60:61], v65
	v_fmac_f64_e32 v[52:53], v[58:59], v[10:11]
	v_fmac_f64_e32 v[30:31], v[60:61], v[10:11]
	v_fma_f64 v[50:51], -v[60:61], v[12:13], v[52:53]
	v_fmac_f64_e32 v[30:31], v[58:59], v[12:13]
	global_load_dwordx4 v[58:61], v[54:55], off offset:112
	global_load_dwordx4 v[62:65], v[54:55], off offset:96
	;; [unrolled: 1-line block ×4, first 2 shown]
	s_waitcnt vmcnt(0)
	v_cvt_f64_f32_e32 v[52:53], v70
	v_cvt_f64_f32_e32 v[54:55], v71
	v_fmac_f64_e32 v[42:43], v[52:53], v[22:23]
	v_fmac_f64_e32 v[28:29], v[54:55], v[22:23]
	v_fma_f64 v[42:43], -v[54:55], v[24:25], v[42:43]
	v_fmac_f64_e32 v[28:29], v[52:53], v[24:25]
	v_cvt_f64_f32_e32 v[52:53], v72
	v_cvt_f64_f32_e32 v[54:55], v73
	v_fmac_f64_e32 v[42:43], v[52:53], v[18:19]
	v_fmac_f64_e32 v[28:29], v[54:55], v[18:19]
	v_fma_f64 v[42:43], -v[54:55], v[20:21], v[42:43]
	v_fmac_f64_e32 v[28:29], v[52:53], v[20:21]
	;; [unrolled: 6-line block ×7, first 2 shown]
	v_cvt_f64_f32_e32 v[14:15], v60
	v_cvt_f64_f32_e32 v[16:17], v61
	v_fmac_f64_e32 v[22:23], v[14:15], v[10:11]
	v_fmac_f64_e32 v[0:1], v[16:17], v[10:11]
	global_load_dword v10, v[48:49], off offset:512
	v_add_co_u32_e32 v52, vcc, s24, v40
	v_fma_f64 v[44:45], -v[16:17], v[12:13], v[22:23]
	s_nop 0
	v_addc_co_u32_e32 v53, vcc, 0, v41, vcc
	v_fmac_f64_e32 v[0:1], v[14:15], v[12:13]
	v_lshl_add_u64 v[54:55], v[40:41], 0, s[18:19]
	s_waitcnt vmcnt(0)
	v_subrev_u32_e32 v10, s12, v10
	v_lshlrev_b32_e32 v42, 2, v10
	v_ashrrev_i32_e32 v43, 31, v42
	v_lshl_add_u64 v[42:43], v[42:43], 4, s[4:5]
	global_load_dwordx4 v[10:13], v[52:53], off
	global_load_dwordx4 v[14:17], v[54:55], off offset:48
	global_load_dwordx4 v[18:21], v[54:55], off offset:32
	;; [unrolled: 1-line block ×6, first 2 shown]
	global_load_dwordx4 v[70:73], v[42:43], off
	s_waitcnt vmcnt(7)
	v_cvt_f64_f32_e32 v[52:53], v10
	v_cvt_f64_f32_e32 v[10:11], v11
	s_waitcnt vmcnt(0)
	v_fmac_f64_e32 v[46:47], v[52:53], v[70:71]
	v_fmac_f64_e32 v[32:33], v[10:11], v[70:71]
	v_fma_f64 v[42:43], -v[10:11], v[72:73], v[46:47]
	v_fmac_f64_e32 v[32:33], v[52:53], v[72:73]
	v_cvt_f64_f32_e32 v[10:11], v12
	v_cvt_f64_f32_e32 v[12:13], v13
	v_fmac_f64_e32 v[42:43], v[10:11], v[66:67]
	v_fmac_f64_e32 v[32:33], v[12:13], v[66:67]
	v_fma_f64 v[42:43], -v[12:13], v[68:69], v[42:43]
	v_fmac_f64_e32 v[32:33], v[10:11], v[68:69]
	v_cvt_f64_f32_e32 v[10:11], v22
	v_cvt_f64_f32_e32 v[12:13], v23
	;; [unrolled: 6-line block ×7, first 2 shown]
	v_fmac_f64_e32 v[14:15], v[10:11], v[58:59]
	v_fmac_f64_e32 v[30:31], v[12:13], v[58:59]
	v_fma_f64 v[52:53], -v[12:13], v[60:61], v[14:15]
	v_fmac_f64_e32 v[30:31], v[10:11], v[60:61]
	global_load_dwordx4 v[10:13], v[54:55], off offset:112
	global_load_dwordx4 v[14:17], v[54:55], off offset:96
	;; [unrolled: 1-line block ×4, first 2 shown]
	s_waitcnt vmcnt(0)
	v_cvt_f64_f32_e32 v[46:47], v22
	v_cvt_f64_f32_e32 v[22:23], v23
	v_fmac_f64_e32 v[74:75], v[46:47], v[70:71]
	v_fmac_f64_e32 v[28:29], v[22:23], v[70:71]
	v_fma_f64 v[50:51], -v[22:23], v[72:73], v[74:75]
	v_fmac_f64_e32 v[28:29], v[46:47], v[72:73]
	v_cvt_f64_f32_e32 v[22:23], v24
	v_cvt_f64_f32_e32 v[24:25], v25
	v_fmac_f64_e32 v[50:51], v[22:23], v[66:67]
	v_fmac_f64_e32 v[28:29], v[24:25], v[66:67]
	v_fma_f64 v[46:47], -v[24:25], v[68:69], v[50:51]
	v_fmac_f64_e32 v[28:29], v[22:23], v[68:69]
	;; [unrolled: 6-line block ×3, first 2 shown]
	v_cvt_f64_f32_e32 v[18:19], v20
	v_cvt_f64_f32_e32 v[20:21], v21
	v_fmac_f64_e32 v[28:29], v[20:21], v[58:59]
	v_fmac_f64_e32 v[24:25], v[18:19], v[58:59]
	;; [unrolled: 1-line block ×3, first 2 shown]
	v_cvt_f64_f32_e32 v[18:19], v14
	v_cvt_f64_f32_e32 v[14:15], v15
	v_fmac_f64_e32 v[44:45], v[18:19], v[70:71]
	v_fmac_f64_e32 v[0:1], v[14:15], v[70:71]
	v_fma_f64 v[46:47], -v[20:21], v[60:61], v[24:25]
	v_fma_f64 v[20:21], -v[14:15], v[72:73], v[44:45]
	v_fmac_f64_e32 v[0:1], v[18:19], v[72:73]
	v_cvt_f64_f32_e32 v[14:15], v16
	v_cvt_f64_f32_e32 v[16:17], v17
	v_fmac_f64_e32 v[20:21], v[14:15], v[66:67]
	v_fmac_f64_e32 v[0:1], v[16:17], v[66:67]
	v_fma_f64 v[18:19], -v[16:17], v[68:69], v[20:21]
	v_fmac_f64_e32 v[0:1], v[14:15], v[68:69]
	v_cvt_f64_f32_e32 v[14:15], v10
	v_cvt_f64_f32_e32 v[10:11], v11
	v_fmac_f64_e32 v[18:19], v[14:15], v[62:63]
	v_fmac_f64_e32 v[0:1], v[10:11], v[62:63]
	;; [unrolled: 6-line block ×3, first 2 shown]
	v_fmac_f64_e32 v[0:1], v[10:11], v[60:61]
	global_load_dword v10, v[48:49], off offset:768
	v_fma_f64 v[50:51], -v[12:13], v[60:61], v[16:17]
	v_add_co_u32_e32 v12, vcc, s25, v40
	v_lshl_add_u64 v[48:49], v[40:41], 0, s[20:21]
	s_nop 0
	v_addc_co_u32_e32 v13, vcc, 0, v41, vcc
	global_load_dwordx4 v[58:61], v[12:13], off
	global_load_dwordx4 v[62:65], v[48:49], off offset:48
	global_load_dwordx4 v[66:69], v[48:49], off offset:32
	;; [unrolled: 1-line block ×3, first 2 shown]
	v_cmp_ge_i32_e32 vcc, v38, v56
	v_lshl_add_u64 v[40:41], v[40:41], 0, s[22:23]
	s_or_b64 s[14:15], vcc, s[14:15]
	s_waitcnt vmcnt(4)
	v_subrev_u32_e32 v10, s12, v10
	v_lshlrev_b32_e32 v10, 2, v10
	v_ashrrev_i32_e32 v11, 31, v10
	s_waitcnt vmcnt(3)
	v_cvt_f64_f32_e32 v[44:45], v58
	v_cvt_f64_f32_e32 v[54:55], v59
	v_lshl_add_u64 v[58:59], v[10:11], 4, s[4:5]
	global_load_dwordx4 v[10:13], v[58:59], off offset:48
	global_load_dwordx4 v[14:17], v[58:59], off offset:32
	;; [unrolled: 1-line block ×3, first 2 shown]
	global_load_dwordx4 v[22:25], v[58:59], off
	s_waitcnt vmcnt(4)
	v_cvt_f64_f32_e32 v[58:59], v73
	s_waitcnt vmcnt(0)
	v_fmac_f64_e32 v[42:43], v[44:45], v[22:23]
	v_fmac_f64_e32 v[32:33], v[54:55], v[22:23]
	v_fma_f64 v[42:43], -v[54:55], v[24:25], v[42:43]
	v_fmac_f64_e32 v[32:33], v[44:45], v[24:25]
	v_cvt_f64_f32_e32 v[44:45], v60
	v_cvt_f64_f32_e32 v[54:55], v61
	v_fmac_f64_e32 v[42:43], v[44:45], v[18:19]
	v_fmac_f64_e32 v[32:33], v[54:55], v[18:19]
	v_fma_f64 v[42:43], -v[54:55], v[20:21], v[42:43]
	v_fmac_f64_e32 v[32:33], v[44:45], v[20:21]
	v_cvt_f64_f32_e32 v[44:45], v70
	v_cvt_f64_f32_e32 v[54:55], v71
	v_fmac_f64_e32 v[42:43], v[44:45], v[14:15]
	v_fmac_f64_e32 v[32:33], v[54:55], v[14:15]
	v_fma_f64 v[42:43], -v[54:55], v[16:17], v[42:43]
	v_fmac_f64_e32 v[32:33], v[44:45], v[16:17]
	v_cvt_f64_f32_e32 v[54:55], v72
	v_fmac_f64_e32 v[42:43], v[54:55], v[10:11]
	v_fmac_f64_e32 v[32:33], v[58:59], v[10:11]
	v_fma_f64 v[44:45], -v[58:59], v[12:13], v[42:43]
	v_fmac_f64_e32 v[32:33], v[54:55], v[12:13]
	v_cvt_f64_f32_e32 v[42:43], v66
	v_cvt_f64_f32_e32 v[54:55], v67
	v_fmac_f64_e32 v[52:53], v[42:43], v[22:23]
	v_fmac_f64_e32 v[30:31], v[54:55], v[22:23]
	v_fma_f64 v[52:53], -v[54:55], v[24:25], v[52:53]
	v_fmac_f64_e32 v[30:31], v[42:43], v[24:25]
	v_cvt_f64_f32_e32 v[42:43], v68
	;; [unrolled: 6-line block ×4, first 2 shown]
	v_cvt_f64_f32_e32 v[58:59], v65
	v_fmac_f64_e32 v[52:53], v[54:55], v[10:11]
	v_fmac_f64_e32 v[30:31], v[58:59], v[10:11]
	v_fma_f64 v[42:43], -v[58:59], v[12:13], v[52:53]
	v_fmac_f64_e32 v[30:31], v[54:55], v[12:13]
	global_load_dwordx4 v[52:55], v[48:49], off offset:112
	global_load_dwordx4 v[58:61], v[48:49], off offset:96
	;; [unrolled: 1-line block ×4, first 2 shown]
	s_waitcnt vmcnt(0)
	v_cvt_f64_f32_e32 v[48:49], v66
	v_cvt_f64_f32_e32 v[66:67], v67
	v_fmac_f64_e32 v[46:47], v[48:49], v[22:23]
	v_fmac_f64_e32 v[28:29], v[66:67], v[22:23]
	v_fma_f64 v[46:47], -v[66:67], v[24:25], v[46:47]
	v_fmac_f64_e32 v[28:29], v[48:49], v[24:25]
	v_cvt_f64_f32_e32 v[48:49], v68
	v_cvt_f64_f32_e32 v[66:67], v69
	v_fmac_f64_e32 v[46:47], v[48:49], v[18:19]
	v_fmac_f64_e32 v[28:29], v[66:67], v[18:19]
	v_fma_f64 v[46:47], -v[66:67], v[20:21], v[46:47]
	v_fmac_f64_e32 v[28:29], v[48:49], v[20:21]
	;; [unrolled: 6-line block ×3, first 2 shown]
	v_cvt_f64_f32_e32 v[62:63], v65
	v_cvt_f64_f32_e32 v[48:49], v64
	v_fmac_f64_e32 v[28:29], v[62:63], v[10:11]
	v_fmac_f64_e32 v[46:47], v[48:49], v[10:11]
	;; [unrolled: 1-line block ×3, first 2 shown]
	v_cvt_f64_f32_e32 v[48:49], v58
	v_cvt_f64_f32_e32 v[58:59], v59
	v_fmac_f64_e32 v[50:51], v[48:49], v[22:23]
	v_fmac_f64_e32 v[0:1], v[58:59], v[22:23]
	v_fma_f64 v[50:51], -v[58:59], v[24:25], v[50:51]
	v_fmac_f64_e32 v[0:1], v[48:49], v[24:25]
	v_cvt_f64_f32_e32 v[22:23], v60
	v_cvt_f64_f32_e32 v[24:25], v61
	v_fmac_f64_e32 v[50:51], v[22:23], v[18:19]
	v_fmac_f64_e32 v[0:1], v[24:25], v[18:19]
	v_fma_f64 v[48:49], -v[24:25], v[20:21], v[50:51]
	v_fmac_f64_e32 v[0:1], v[22:23], v[20:21]
	v_cvt_f64_f32_e32 v[18:19], v52
	v_cvt_f64_f32_e32 v[20:21], v53
	v_fmac_f64_e32 v[48:49], v[18:19], v[14:15]
	v_fmac_f64_e32 v[0:1], v[20:21], v[14:15]
	v_fma_f64 v[22:23], -v[20:21], v[16:17], v[48:49]
	v_fmac_f64_e32 v[0:1], v[18:19], v[16:17]
	v_cvt_f64_f32_e32 v[14:15], v54
	v_cvt_f64_f32_e32 v[16:17], v55
	v_fmac_f64_e32 v[22:23], v[14:15], v[10:11]
	v_fmac_f64_e32 v[0:1], v[16:17], v[10:11]
	v_fma_f64 v[46:47], -v[62:63], v[12:13], v[46:47]
	v_fma_f64 v[18:19], -v[16:17], v[12:13], v[22:23]
	v_fmac_f64_e32 v[0:1], v[14:15], v[12:13]
	s_andn2_b64 exec, exec, s[14:15]
	s_cbranch_execnz .LBB169_19
; %bb.20:
	s_or_b64 exec, exec, s[14:15]
.LBB169_21:
	s_or_b64 exec, exec, s[10:11]
.LBB169_22:
	s_or_b64 exec, exec, s[6:7]
	s_cbranch_execz .LBB169_24
	s_branch .LBB169_35
.LBB169_23:
                                        ; implicit-def: $vgpr32_vgpr33
                                        ; implicit-def: $vgpr44_vgpr45
                                        ; implicit-def: $vgpr30_vgpr31
                                        ; implicit-def: $vgpr42_vgpr43
                                        ; implicit-def: $vgpr28_vgpr29
                                        ; implicit-def: $vgpr46_vgpr47
                                        ; implicit-def: $vgpr0_vgpr1
                                        ; implicit-def: $vgpr18_vgpr19
.LBB169_24:
	v_mov_b64_e32 v[32:33], 0
	v_mov_b64_e32 v[44:45], 0
	;; [unrolled: 1-line block ×8, first 2 shown]
	s_and_saveexec_b64 s[6:7], s[2:3]
	s_cbranch_execz .LBB169_34
; %bb.25:
	v_add_u32_e32 v0, v57, v27
	v_subrev_u32_e32 v0, s12, v0
	v_add_u32_e32 v0, 64, v0
	v_max_i32_e32 v0, v0, v56
	v_not_b32_e32 v1, v57
	v_add3_u32 v0, s12, v0, v1
	v_sub_u32_e32 v14, v0, v27
	s_movk_i32 s2, 0xc0
	v_and_b32_e32 v0, 0xc0, v14
	v_cmp_ne_u32_e32 vcc, s2, v0
	v_mov_b64_e32 v[18:19], 0
	v_mov_b64_e32 v[0:1], 0
	;; [unrolled: 1-line block ×8, first 2 shown]
	s_and_saveexec_b64 s[2:3], vcc
	s_cbranch_execz .LBB169_29
; %bb.26:
	v_lshrrev_b32_e32 v0, 6, v14
	v_add_u32_e32 v0, 1, v0
	v_and_b32_e32 v0, 3, v0
	v_sub_u32_e32 v15, 0, v0
	v_mov_b64_e32 v[32:33], 0
	s_mov_b64 s[10:11], 0
	s_mov_b64 s[14:15], 0x2000
	v_mov_b64_e32 v[44:45], 0
	v_mov_b64_e32 v[30:31], 0
	v_mov_b64_e32 v[42:43], 0
	v_mov_b64_e32 v[28:29], 0
	v_mov_b64_e32 v[46:47], 0
	v_mov_b64_e32 v[0:1], 0
	v_mov_b64_e32 v[18:19], 0
.LBB169_27:                             ; =>This Inner Loop Header: Depth=1
	global_load_dwordx4 v[20:23], v[36:37], off
	global_load_dwordx4 v[38:41], v[36:37], off offset:16
	global_load_dwordx4 v[48:51], v[36:37], off offset:32
	;; [unrolled: 1-line block ×4, first 2 shown]
	v_ashrrev_i32_e32 v35, 31, v34
	v_lshl_add_u64 v[16:17], v[34:35], 2, s[8:9]
	global_load_dword v35, v[16:17], off
	global_load_dwordx4 v[58:61], v[36:37], off offset:80
	global_load_dwordx4 v[62:65], v[36:37], off offset:96
	;; [unrolled: 1-line block ×3, first 2 shown]
	v_add_co_u32_e32 v15, vcc, 1, v15
	v_lshl_add_u64 v[36:37], v[36:37], 0, s[14:15]
	v_add_u32_e32 v34, 64, v34
	s_or_b64 s[10:11], vcc, s[10:11]
	s_waitcnt vmcnt(8)
	v_cvt_f64_f32_e32 v[16:17], v20
	v_cvt_f64_f32_e32 v[24:25], v21
	;; [unrolled: 1-line block ×3, first 2 shown]
	s_waitcnt vmcnt(5)
	v_cvt_f64_f32_e32 v[96:97], v12
	s_waitcnt vmcnt(3)
	v_subrev_u32_e32 v12, s12, v35
	v_lshlrev_b32_e32 v20, 2, v12
	v_ashrrev_i32_e32 v21, 31, v20
	s_waitcnt lgkmcnt(0)
	v_lshl_add_u64 v[98:99], v[20:21], 4, s[4:5]
	v_cvt_f64_f32_e32 v[76:77], v23
	v_cvt_f64_f32_e32 v[78:79], v38
	v_cvt_f64_f32_e32 v[80:81], v39
	v_cvt_f64_f32_e32 v[82:83], v40
	v_cvt_f64_f32_e32 v[84:85], v41
	v_cvt_f64_f32_e32 v[86:87], v48
	v_cvt_f64_f32_e32 v[88:89], v49
	v_cvt_f64_f32_e32 v[90:91], v50
	v_cvt_f64_f32_e32 v[92:93], v51
	global_load_dwordx4 v[20:23], v[98:99], off
	global_load_dwordx4 v[38:41], v[98:99], off offset:16
	global_load_dwordx4 v[48:51], v[98:99], off offset:32
	global_load_dwordx4 v[70:73], v[98:99], off offset:48
	v_cvt_f64_f32_e32 v[94:95], v10
	v_cvt_f64_f32_e32 v[10:11], v11
	;; [unrolled: 1-line block ×7, first 2 shown]
	s_waitcnt vmcnt(6)
	v_cvt_f64_f32_e32 v[102:103], v58
	v_cvt_f64_f32_e32 v[58:59], v59
	v_cvt_f64_f32_e32 v[104:105], v60
	v_cvt_f64_f32_e32 v[60:61], v61
	s_waitcnt vmcnt(5)
	v_cvt_f64_f32_e32 v[106:107], v62
	v_cvt_f64_f32_e32 v[62:63], v63
	v_cvt_f64_f32_e32 v[108:109], v64
	v_cvt_f64_f32_e32 v[64:65], v65
	;; [unrolled: 5-line block ×3, first 2 shown]
	s_waitcnt vmcnt(3)
	v_fmac_f64_e32 v[44:45], v[16:17], v[20:21]
	v_fmac_f64_e32 v[32:33], v[24:25], v[20:21]
	v_fmac_f64_e32 v[42:43], v[74:75], v[20:21]
	v_fmac_f64_e32 v[30:31], v[76:77], v[20:21]
	v_fmac_f64_e32 v[46:47], v[78:79], v[20:21]
	v_fmac_f64_e32 v[28:29], v[80:81], v[20:21]
	v_fmac_f64_e32 v[18:19], v[82:83], v[20:21]
	v_fmac_f64_e32 v[0:1], v[84:85], v[20:21]
	v_fma_f64 v[20:21], -v[24:25], v[22:23], v[44:45]
	v_fmac_f64_e32 v[32:33], v[16:17], v[22:23]
	v_fma_f64 v[16:17], -v[76:77], v[22:23], v[42:43]
	v_fmac_f64_e32 v[30:31], v[74:75], v[22:23]
	v_fma_f64 v[24:25], -v[80:81], v[22:23], v[46:47]
	v_fmac_f64_e32 v[28:29], v[78:79], v[22:23]
	v_fma_f64 v[18:19], -v[84:85], v[22:23], v[18:19]
	v_fmac_f64_e32 v[0:1], v[82:83], v[22:23]
	s_waitcnt vmcnt(2)
	v_fmac_f64_e32 v[20:21], v[86:87], v[38:39]
	v_fmac_f64_e32 v[32:33], v[88:89], v[38:39]
	v_fmac_f64_e32 v[16:17], v[90:91], v[38:39]
	v_fmac_f64_e32 v[30:31], v[92:93], v[38:39]
	v_fmac_f64_e32 v[24:25], v[94:95], v[38:39]
	v_fmac_f64_e32 v[28:29], v[10:11], v[38:39]
	v_fmac_f64_e32 v[18:19], v[96:97], v[38:39]
	v_fmac_f64_e32 v[0:1], v[12:13], v[38:39]
	v_fma_f64 v[20:21], -v[88:89], v[40:41], v[20:21]
	v_fmac_f64_e32 v[32:33], v[86:87], v[40:41]
	v_fma_f64 v[16:17], -v[92:93], v[40:41], v[16:17]
	v_fmac_f64_e32 v[30:31], v[90:91], v[40:41]
	v_fma_f64 v[10:11], -v[10:11], v[40:41], v[24:25]
	v_fmac_f64_e32 v[28:29], v[94:95], v[40:41]
	v_fma_f64 v[12:13], -v[12:13], v[40:41], v[18:19]
	v_fmac_f64_e32 v[0:1], v[96:97], v[40:41]
	;; [unrolled: 17-line block ×4, first 2 shown]
	s_andn2_b64 exec, exec, s[10:11]
	s_cbranch_execnz .LBB169_27
; %bb.28:
	s_or_b64 exec, exec, s[10:11]
.LBB169_29:
	s_or_b64 exec, exec, s[2:3]
	s_movk_i32 s2, 0xbf
	v_cmp_lt_u32_e32 vcc, s2, v14
	s_and_saveexec_b64 s[2:3], vcc
	s_cbranch_execz .LBB169_33
; %bb.30:
	s_mov_b64 s[10:11], 0
	s_mov_b64 s[14:15], 0x2000
	s_movk_i32 s13, 0x2000
	s_mov_b64 s[16:17], 0x4000
	s_movk_i32 s22, 0x4000
	;; [unrolled: 2-line block ×3, first 2 shown]
	s_mov_b64 s[20:21], 0x8000
.LBB169_31:                             ; =>This Inner Loop Header: Depth=1
	v_ashrrev_i32_e32 v35, 31, v34
	v_lshl_add_u64 v[20:21], v[34:35], 2, s[8:9]
	global_load_dword v10, v[20:21], off
	global_load_dwordx4 v[14:17], v[36:37], off offset:48
	global_load_dwordx4 v[22:25], v[36:37], off offset:32
	;; [unrolled: 1-line block ×3, first 2 shown]
	global_load_dwordx4 v[48:51], v[36:37], off
	v_add_u32_e32 v34, 0x100, v34
	s_waitcnt vmcnt(4)
	v_subrev_u32_e32 v10, s12, v10
	v_lshlrev_b32_e32 v10, 2, v10
	v_ashrrev_i32_e32 v11, 31, v10
	s_waitcnt lgkmcnt(0)
	v_lshl_add_u64 v[68:69], v[10:11], 4, s[4:5]
	global_load_dwordx4 v[10:13], v[68:69], off offset:48
	global_load_dwordx4 v[52:55], v[68:69], off offset:32
	;; [unrolled: 1-line block ×3, first 2 shown]
	global_load_dwordx4 v[62:65], v[68:69], off
	s_waitcnt vmcnt(4)
	v_cvt_f64_f32_e32 v[66:67], v48
	v_cvt_f64_f32_e32 v[48:49], v49
	s_waitcnt vmcnt(0)
	v_fmac_f64_e32 v[44:45], v[66:67], v[62:63]
	v_fma_f64 v[44:45], -v[48:49], v[64:65], v[44:45]
	v_fmac_f64_e32 v[32:33], v[48:49], v[62:63]
	v_cvt_f64_f32_e32 v[48:49], v50
	v_cvt_f64_f32_e32 v[50:51], v51
	v_fmac_f64_e32 v[30:31], v[50:51], v[62:63]
	v_fmac_f64_e32 v[42:43], v[48:49], v[62:63]
	;; [unrolled: 1-line block ×3, first 2 shown]
	v_cvt_f64_f32_e32 v[48:49], v38
	v_cvt_f64_f32_e32 v[38:39], v39
	v_fmac_f64_e32 v[46:47], v[48:49], v[62:63]
	v_fma_f64 v[46:47], -v[38:39], v[64:65], v[46:47]
	v_fmac_f64_e32 v[28:29], v[38:39], v[62:63]
	v_cvt_f64_f32_e32 v[38:39], v40
	v_cvt_f64_f32_e32 v[40:41], v41
	v_fmac_f64_e32 v[0:1], v[40:41], v[62:63]
	v_fmac_f64_e32 v[18:19], v[38:39], v[62:63]
	;; [unrolled: 1-line block ×3, first 2 shown]
	v_cvt_f64_f32_e32 v[38:39], v22
	v_fmac_f64_e32 v[32:33], v[66:67], v[64:65]
	v_cvt_f64_f32_e32 v[22:23], v23
	v_fmac_f64_e32 v[44:45], v[38:39], v[58:59]
	v_fmac_f64_e32 v[28:29], v[48:49], v[64:65]
	v_fma_f64 v[48:49], -v[22:23], v[60:61], v[44:45]
	v_fmac_f64_e32 v[32:33], v[22:23], v[58:59]
	v_cvt_f64_f32_e32 v[22:23], v24
	v_cvt_f64_f32_e32 v[24:25], v25
	v_fma_f64 v[42:43], -v[50:51], v[64:65], v[42:43]
	v_fmac_f64_e32 v[30:31], v[24:25], v[58:59]
	v_fmac_f64_e32 v[42:43], v[22:23], v[58:59]
	;; [unrolled: 1-line block ×3, first 2 shown]
	v_cvt_f64_f32_e32 v[22:23], v14
	v_cvt_f64_f32_e32 v[14:15], v15
	v_fmac_f64_e32 v[46:47], v[22:23], v[58:59]
	v_fma_f64 v[18:19], -v[40:41], v[64:65], v[18:19]
	v_fma_f64 v[46:47], -v[14:15], v[60:61], v[46:47]
	v_fmac_f64_e32 v[28:29], v[14:15], v[58:59]
	v_cvt_f64_f32_e32 v[14:15], v16
	v_cvt_f64_f32_e32 v[16:17], v17
	v_fmac_f64_e32 v[18:19], v[14:15], v[58:59]
	v_fmac_f64_e32 v[0:1], v[16:17], v[58:59]
	;; [unrolled: 1-line block ×3, first 2 shown]
	v_fma_f64 v[50:51], -v[24:25], v[60:61], v[42:43]
	v_fmac_f64_e32 v[28:29], v[22:23], v[60:61]
	v_fma_f64 v[18:19], -v[16:17], v[60:61], v[18:19]
	v_fmac_f64_e32 v[0:1], v[14:15], v[60:61]
	global_load_dwordx4 v[14:17], v[36:37], off offset:112
	global_load_dwordx4 v[22:25], v[36:37], off offset:96
	;; [unrolled: 1-line block ×4, first 2 shown]
	s_waitcnt vmcnt(0)
	v_cvt_f64_f32_e32 v[58:59], v42
	v_cvt_f64_f32_e32 v[42:43], v43
	v_fmac_f64_e32 v[48:49], v[58:59], v[52:53]
	v_fma_f64 v[48:49], -v[42:43], v[54:55], v[48:49]
	v_fmac_f64_e32 v[32:33], v[42:43], v[52:53]
	v_cvt_f64_f32_e32 v[42:43], v44
	v_cvt_f64_f32_e32 v[44:45], v45
	v_fmac_f64_e32 v[30:31], v[44:45], v[52:53]
	v_fmac_f64_e32 v[50:51], v[42:43], v[52:53]
	;; [unrolled: 1-line block ×3, first 2 shown]
	v_cvt_f64_f32_e32 v[42:43], v38
	v_cvt_f64_f32_e32 v[38:39], v39
	v_fmac_f64_e32 v[46:47], v[42:43], v[52:53]
	v_fma_f64 v[50:51], -v[44:45], v[54:55], v[50:51]
	v_fma_f64 v[44:45], -v[38:39], v[54:55], v[46:47]
	v_fmac_f64_e32 v[28:29], v[38:39], v[52:53]
	v_cvt_f64_f32_e32 v[38:39], v40
	v_cvt_f64_f32_e32 v[40:41], v41
	v_fmac_f64_e32 v[0:1], v[40:41], v[52:53]
	v_fmac_f64_e32 v[18:19], v[38:39], v[52:53]
	;; [unrolled: 1-line block ×3, first 2 shown]
	v_cvt_f64_f32_e32 v[38:39], v22
	v_fmac_f64_e32 v[32:33], v[58:59], v[54:55]
	v_cvt_f64_f32_e32 v[22:23], v23
	v_fmac_f64_e32 v[48:49], v[38:39], v[10:11]
	v_fmac_f64_e32 v[28:29], v[42:43], v[54:55]
	v_fma_f64 v[18:19], -v[40:41], v[54:55], v[18:19]
	v_fma_f64 v[54:55], -v[22:23], v[12:13], v[48:49]
	v_fmac_f64_e32 v[32:33], v[22:23], v[10:11]
	v_cvt_f64_f32_e32 v[22:23], v24
	v_cvt_f64_f32_e32 v[24:25], v25
	v_fmac_f64_e32 v[30:31], v[24:25], v[10:11]
	v_fmac_f64_e32 v[50:51], v[22:23], v[10:11]
	;; [unrolled: 1-line block ×3, first 2 shown]
	v_cvt_f64_f32_e32 v[22:23], v14
	v_cvt_f64_f32_e32 v[14:15], v15
	v_fmac_f64_e32 v[44:45], v[22:23], v[10:11]
	v_fma_f64 v[64:65], -v[14:15], v[12:13], v[44:45]
	v_fmac_f64_e32 v[28:29], v[14:15], v[10:11]
	v_cvt_f64_f32_e32 v[14:15], v16
	v_cvt_f64_f32_e32 v[16:17], v17
	v_fmac_f64_e32 v[18:19], v[14:15], v[10:11]
	v_fmac_f64_e32 v[0:1], v[16:17], v[10:11]
	global_load_dword v10, v[20:21], off offset:256
	v_fmac_f64_e32 v[32:33], v[38:39], v[12:13]
	v_fma_f64 v[62:63], -v[24:25], v[12:13], v[50:51]
	v_fmac_f64_e32 v[28:29], v[22:23], v[12:13]
	v_fma_f64 v[66:67], -v[16:17], v[12:13], v[18:19]
	v_fmac_f64_e32 v[0:1], v[14:15], v[12:13]
	v_add_co_u32_e32 v12, vcc, s13, v36
	v_lshl_add_u64 v[18:19], v[36:37], 0, s[14:15]
	s_nop 0
	v_addc_co_u32_e32 v13, vcc, 0, v37, vcc
	global_load_dwordx4 v[22:25], v[12:13], off
	global_load_dwordx4 v[38:41], v[18:19], off offset:48
	global_load_dwordx4 v[42:45], v[18:19], off offset:32
	;; [unrolled: 1-line block ×3, first 2 shown]
	s_waitcnt vmcnt(4)
	v_subrev_u32_e32 v10, s12, v10
	v_lshlrev_b32_e32 v10, 2, v10
	v_ashrrev_i32_e32 v11, 31, v10
	v_lshl_add_u64 v[70:71], v[10:11], 4, s[4:5]
	global_load_dwordx4 v[10:13], v[70:71], off offset:48
	global_load_dwordx4 v[14:17], v[70:71], off offset:32
	;; [unrolled: 1-line block ×3, first 2 shown]
	global_load_dwordx4 v[58:61], v[70:71], off
	s_waitcnt vmcnt(7)
	v_cvt_f64_f32_e32 v[68:69], v22
	v_cvt_f64_f32_e32 v[22:23], v23
	s_waitcnt vmcnt(0)
	v_fmac_f64_e32 v[54:55], v[68:69], v[58:59]
	v_fma_f64 v[54:55], -v[22:23], v[60:61], v[54:55]
	v_fmac_f64_e32 v[32:33], v[22:23], v[58:59]
	v_cvt_f64_f32_e32 v[22:23], v24
	v_cvt_f64_f32_e32 v[24:25], v25
	v_fmac_f64_e32 v[62:63], v[22:23], v[58:59]
	v_fma_f64 v[62:63], -v[24:25], v[60:61], v[62:63]
	v_fmac_f64_e32 v[30:31], v[24:25], v[58:59]
	v_cvt_f64_f32_e32 v[24:25], v47
	v_fmac_f64_e32 v[30:31], v[22:23], v[60:61]
	v_cvt_f64_f32_e32 v[22:23], v46
	v_fmac_f64_e32 v[28:29], v[24:25], v[58:59]
	v_fmac_f64_e32 v[64:65], v[22:23], v[58:59]
	;; [unrolled: 1-line block ×3, first 2 shown]
	v_cvt_f64_f32_e32 v[22:23], v48
	v_fma_f64 v[46:47], -v[24:25], v[60:61], v[64:65]
	v_cvt_f64_f32_e32 v[24:25], v49
	v_fmac_f64_e32 v[66:67], v[22:23], v[58:59]
	v_fma_f64 v[48:49], -v[24:25], v[60:61], v[66:67]
	v_fmac_f64_e32 v[0:1], v[24:25], v[58:59]
	v_cvt_f64_f32_e32 v[24:25], v42
	v_fmac_f64_e32 v[32:33], v[68:69], v[60:61]
	v_cvt_f64_f32_e32 v[42:43], v43
	v_fmac_f64_e32 v[54:55], v[24:25], v[50:51]
	v_fmac_f64_e32 v[0:1], v[22:23], v[60:61]
	v_fma_f64 v[22:23], -v[42:43], v[52:53], v[54:55]
	v_fmac_f64_e32 v[32:33], v[42:43], v[50:51]
	v_cvt_f64_f32_e32 v[42:43], v44
	v_cvt_f64_f32_e32 v[44:45], v45
	v_fmac_f64_e32 v[62:63], v[42:43], v[50:51]
	v_fmac_f64_e32 v[30:31], v[44:45], v[50:51]
	v_fmac_f64_e32 v[32:33], v[24:25], v[52:53]
	v_fma_f64 v[24:25], -v[44:45], v[52:53], v[62:63]
	v_fmac_f64_e32 v[30:31], v[42:43], v[52:53]
	v_cvt_f64_f32_e32 v[42:43], v38
	v_cvt_f64_f32_e32 v[44:45], v39
	v_fmac_f64_e32 v[46:47], v[42:43], v[50:51]
	v_fmac_f64_e32 v[28:29], v[44:45], v[50:51]
	v_fma_f64 v[38:39], -v[44:45], v[52:53], v[46:47]
	v_fmac_f64_e32 v[28:29], v[42:43], v[52:53]
	v_cvt_f64_f32_e32 v[42:43], v40
	v_cvt_f64_f32_e32 v[44:45], v41
	v_fmac_f64_e32 v[48:49], v[42:43], v[50:51]
	v_fmac_f64_e32 v[0:1], v[44:45], v[50:51]
	v_fma_f64 v[40:41], -v[44:45], v[52:53], v[48:49]
	v_fmac_f64_e32 v[0:1], v[42:43], v[52:53]
	global_load_dwordx4 v[42:45], v[18:19], off offset:112
	global_load_dwordx4 v[46:49], v[18:19], off offset:96
	;; [unrolled: 1-line block ×4, first 2 shown]
	v_lshl_add_u64 v[66:67], v[36:37], 0, s[16:17]
	s_waitcnt vmcnt(0)
	v_cvt_f64_f32_e32 v[18:19], v58
	v_cvt_f64_f32_e32 v[54:55], v59
	v_fmac_f64_e32 v[22:23], v[18:19], v[14:15]
	v_fma_f64 v[22:23], -v[54:55], v[16:17], v[22:23]
	v_fmac_f64_e32 v[32:33], v[54:55], v[14:15]
	v_cvt_f64_f32_e32 v[54:55], v61
	v_fmac_f64_e32 v[32:33], v[18:19], v[16:17]
	v_cvt_f64_f32_e32 v[18:19], v60
	v_fmac_f64_e32 v[30:31], v[54:55], v[14:15]
	v_fmac_f64_e32 v[24:25], v[18:19], v[14:15]
	;; [unrolled: 1-line block ×3, first 2 shown]
	v_cvt_f64_f32_e32 v[18:19], v50
	v_cvt_f64_f32_e32 v[50:51], v51
	v_fmac_f64_e32 v[38:39], v[18:19], v[14:15]
	v_fmac_f64_e32 v[28:29], v[50:51], v[14:15]
	v_fma_f64 v[38:39], -v[50:51], v[16:17], v[38:39]
	v_fmac_f64_e32 v[28:29], v[18:19], v[16:17]
	v_cvt_f64_f32_e32 v[18:19], v52
	v_cvt_f64_f32_e32 v[50:51], v53
	v_fmac_f64_e32 v[40:41], v[18:19], v[14:15]
	v_fmac_f64_e32 v[0:1], v[50:51], v[14:15]
	v_fma_f64 v[24:25], -v[54:55], v[16:17], v[24:25]
	v_fma_f64 v[40:41], -v[50:51], v[16:17], v[40:41]
	v_fmac_f64_e32 v[0:1], v[18:19], v[16:17]
	v_cvt_f64_f32_e32 v[14:15], v46
	v_cvt_f64_f32_e32 v[16:17], v47
	v_fmac_f64_e32 v[22:23], v[14:15], v[10:11]
	v_fmac_f64_e32 v[32:33], v[16:17], v[10:11]
	v_fma_f64 v[18:19], -v[16:17], v[12:13], v[22:23]
	v_fmac_f64_e32 v[32:33], v[14:15], v[12:13]
	v_cvt_f64_f32_e32 v[14:15], v48
	v_cvt_f64_f32_e32 v[16:17], v49
	v_fmac_f64_e32 v[24:25], v[14:15], v[10:11]
	v_fmac_f64_e32 v[30:31], v[16:17], v[10:11]
	;; [unrolled: 6-line block ×4, first 2 shown]
	global_load_dword v10, v[20:21], off offset:512
	v_add_co_u32_e32 v44, vcc, s22, v36
	v_fma_f64 v[64:65], -v[16:17], v[12:13], v[40:41]
	s_nop 0
	v_addc_co_u32_e32 v45, vcc, 0, v37, vcc
	v_fmac_f64_e32 v[0:1], v[14:15], v[12:13]
	s_waitcnt vmcnt(0)
	v_subrev_u32_e32 v10, s12, v10
	v_lshlrev_b32_e32 v42, 2, v10
	v_ashrrev_i32_e32 v43, 31, v42
	v_lshl_add_u64 v[70:71], v[42:43], 4, s[4:5]
	global_load_dwordx4 v[10:13], v[44:45], off
	global_load_dwordx4 v[14:17], v[66:67], off offset:48
	global_load_dwordx4 v[22:25], v[66:67], off offset:32
	;; [unrolled: 1-line block ×3, first 2 shown]
	s_nop 0
	global_load_dwordx4 v[42:45], v[70:71], off offset:48
	global_load_dwordx4 v[46:49], v[70:71], off offset:32
	;; [unrolled: 1-line block ×3, first 2 shown]
	global_load_dwordx4 v[58:61], v[70:71], off
	s_waitcnt vmcnt(7)
	v_cvt_f64_f32_e32 v[68:69], v10
	v_cvt_f64_f32_e32 v[10:11], v11
	s_waitcnt vmcnt(0)
	v_fmac_f64_e32 v[18:19], v[68:69], v[58:59]
	v_fma_f64 v[18:19], -v[10:11], v[60:61], v[18:19]
	v_fmac_f64_e32 v[32:33], v[10:11], v[58:59]
	v_cvt_f64_f32_e32 v[10:11], v12
	v_cvt_f64_f32_e32 v[12:13], v13
	v_fmac_f64_e32 v[54:55], v[10:11], v[58:59]
	v_fmac_f64_e32 v[30:31], v[12:13], v[58:59]
	v_fma_f64 v[54:55], -v[12:13], v[60:61], v[54:55]
	v_fmac_f64_e32 v[30:31], v[10:11], v[60:61]
	v_cvt_f64_f32_e32 v[10:11], v38
	v_cvt_f64_f32_e32 v[12:13], v39
	v_fmac_f64_e32 v[62:63], v[10:11], v[58:59]
	;; [unrolled: 6-line block ×3, first 2 shown]
	v_fmac_f64_e32 v[0:1], v[12:13], v[58:59]
	v_fmac_f64_e32 v[32:33], v[68:69], v[60:61]
	v_fma_f64 v[40:41], -v[12:13], v[60:61], v[64:65]
	v_fmac_f64_e32 v[0:1], v[10:11], v[60:61]
	v_cvt_f64_f32_e32 v[10:11], v22
	v_cvt_f64_f32_e32 v[12:13], v23
	v_fmac_f64_e32 v[18:19], v[10:11], v[50:51]
	v_fmac_f64_e32 v[32:33], v[12:13], v[50:51]
	v_fma_f64 v[18:19], -v[12:13], v[52:53], v[18:19]
	v_fmac_f64_e32 v[32:33], v[10:11], v[52:53]
	v_cvt_f64_f32_e32 v[10:11], v24
	v_cvt_f64_f32_e32 v[12:13], v25
	;; [unrolled: 6-line block ×4, first 2 shown]
	v_fmac_f64_e32 v[40:41], v[10:11], v[50:51]
	v_fmac_f64_e32 v[0:1], v[12:13], v[50:51]
	v_fma_f64 v[60:61], -v[12:13], v[52:53], v[40:41]
	v_fmac_f64_e32 v[0:1], v[10:11], v[52:53]
	global_load_dwordx4 v[10:13], v[66:67], off offset:112
	global_load_dwordx4 v[14:17], v[66:67], off offset:96
	;; [unrolled: 1-line block ×4, first 2 shown]
	s_waitcnt vmcnt(0)
	v_cvt_f64_f32_e32 v[50:51], v38
	v_cvt_f64_f32_e32 v[38:39], v39
	v_fmac_f64_e32 v[18:19], v[50:51], v[46:47]
	v_fma_f64 v[18:19], -v[38:39], v[48:49], v[18:19]
	v_fmac_f64_e32 v[32:33], v[38:39], v[46:47]
	v_cvt_f64_f32_e32 v[38:39], v40
	v_cvt_f64_f32_e32 v[40:41], v41
	v_fmac_f64_e32 v[30:31], v[40:41], v[46:47]
	v_fmac_f64_e32 v[54:55], v[38:39], v[46:47]
	;; [unrolled: 1-line block ×3, first 2 shown]
	v_cvt_f64_f32_e32 v[38:39], v22
	v_cvt_f64_f32_e32 v[22:23], v23
	v_fmac_f64_e32 v[58:59], v[38:39], v[46:47]
	v_fmac_f64_e32 v[32:33], v[50:51], v[48:49]
	v_fma_f64 v[50:51], -v[40:41], v[48:49], v[54:55]
	v_fma_f64 v[40:41], -v[22:23], v[48:49], v[58:59]
	v_fmac_f64_e32 v[28:29], v[22:23], v[46:47]
	v_cvt_f64_f32_e32 v[22:23], v24
	v_cvt_f64_f32_e32 v[24:25], v25
	v_fmac_f64_e32 v[0:1], v[24:25], v[46:47]
	v_fmac_f64_e32 v[60:61], v[22:23], v[46:47]
	v_fmac_f64_e32 v[0:1], v[22:23], v[48:49]
	v_cvt_f64_f32_e32 v[22:23], v14
	v_cvt_f64_f32_e32 v[14:15], v15
	v_fmac_f64_e32 v[18:19], v[22:23], v[42:43]
	v_fma_f64 v[18:19], -v[14:15], v[44:45], v[18:19]
	v_fmac_f64_e32 v[32:33], v[14:15], v[42:43]
	v_cvt_f64_f32_e32 v[14:15], v16
	v_cvt_f64_f32_e32 v[16:17], v17
	v_fmac_f64_e32 v[30:31], v[16:17], v[42:43]
	v_fmac_f64_e32 v[50:51], v[14:15], v[42:43]
	;; [unrolled: 1-line block ×3, first 2 shown]
	v_cvt_f64_f32_e32 v[14:15], v10
	v_fmac_f64_e32 v[28:29], v[38:39], v[48:49]
	v_cvt_f64_f32_e32 v[10:11], v11
	v_fmac_f64_e32 v[40:41], v[14:15], v[42:43]
	v_fma_f64 v[38:39], -v[24:25], v[48:49], v[60:61]
	v_fma_f64 v[24:25], -v[10:11], v[44:45], v[40:41]
	v_fmac_f64_e32 v[28:29], v[10:11], v[42:43]
	v_cvt_f64_f32_e32 v[10:11], v12
	v_cvt_f64_f32_e32 v[12:13], v13
	v_fmac_f64_e32 v[0:1], v[12:13], v[42:43]
	v_fmac_f64_e32 v[38:39], v[10:11], v[42:43]
	;; [unrolled: 1-line block ×3, first 2 shown]
	global_load_dword v10, v[20:21], off offset:768
	v_fma_f64 v[38:39], -v[12:13], v[44:45], v[38:39]
	v_add_co_u32_e32 v12, vcc, s23, v36
	v_fmac_f64_e32 v[32:33], v[22:23], v[44:45]
	s_nop 0
	v_addc_co_u32_e32 v13, vcc, 0, v37, vcc
	v_fma_f64 v[22:23], -v[16:17], v[44:45], v[50:51]
	v_fmac_f64_e32 v[28:29], v[14:15], v[44:45]
	v_lshl_add_u64 v[40:41], v[36:37], 0, s[18:19]
	global_load_dwordx4 v[42:45], v[12:13], off
	global_load_dwordx4 v[46:49], v[40:41], off offset:48
	global_load_dwordx4 v[50:53], v[40:41], off offset:32
	;; [unrolled: 1-line block ×3, first 2 shown]
	v_cmp_ge_i32_e32 vcc, v34, v56
	v_lshl_add_u64 v[36:37], v[36:37], 0, s[20:21]
	s_or_b64 s[10:11], vcc, s[10:11]
	s_waitcnt vmcnt(4)
	v_subrev_u32_e32 v10, s12, v10
	v_lshlrev_b32_e32 v10, 2, v10
	v_ashrrev_i32_e32 v11, 31, v10
	v_lshl_add_u64 v[54:55], v[10:11], 4, s[4:5]
	global_load_dwordx4 v[10:13], v[54:55], off offset:48
	global_load_dwordx4 v[14:17], v[54:55], off offset:32
	;; [unrolled: 1-line block ×3, first 2 shown]
	global_load_dwordx4 v[66:69], v[54:55], off
	s_waitcnt vmcnt(7)
	v_cvt_f64_f32_e32 v[20:21], v42
	v_cvt_f64_f32_e32 v[42:43], v43
	s_waitcnt vmcnt(0)
	v_fmac_f64_e32 v[18:19], v[20:21], v[66:67]
	v_fma_f64 v[18:19], -v[42:43], v[68:69], v[18:19]
	v_fmac_f64_e32 v[32:33], v[42:43], v[66:67]
	v_cvt_f64_f32_e32 v[42:43], v45
	v_fmac_f64_e32 v[32:33], v[20:21], v[68:69]
	v_cvt_f64_f32_e32 v[20:21], v44
	v_fmac_f64_e32 v[30:31], v[42:43], v[66:67]
	v_fmac_f64_e32 v[22:23], v[20:21], v[66:67]
	;; [unrolled: 1-line block ×3, first 2 shown]
	v_cvt_f64_f32_e32 v[20:21], v58
	v_fma_f64 v[22:23], -v[42:43], v[68:69], v[22:23]
	v_cvt_f64_f32_e32 v[42:43], v59
	v_fmac_f64_e32 v[24:25], v[20:21], v[66:67]
	v_fma_f64 v[44:45], -v[42:43], v[68:69], v[24:25]
	v_fmac_f64_e32 v[28:29], v[42:43], v[66:67]
	v_cvt_f64_f32_e32 v[24:25], v61
	v_fmac_f64_e32 v[28:29], v[20:21], v[68:69]
	v_cvt_f64_f32_e32 v[20:21], v60
	;; [unrolled: 2-line block ×3, first 2 shown]
	v_fmac_f64_e32 v[38:39], v[20:21], v[66:67]
	v_fmac_f64_e32 v[0:1], v[20:21], v[68:69]
	v_cvt_f64_f32_e32 v[20:21], v50
	v_fmac_f64_e32 v[32:33], v[42:43], v[62:63]
	v_fmac_f64_e32 v[18:19], v[20:21], v[62:63]
	;; [unrolled: 1-line block ×3, first 2 shown]
	v_cvt_f64_f32_e32 v[20:21], v53
	v_fma_f64 v[38:39], -v[24:25], v[68:69], v[38:39]
	v_fma_f64 v[24:25], -v[42:43], v[64:65], v[18:19]
	v_cvt_f64_f32_e32 v[18:19], v52
	v_fmac_f64_e32 v[30:31], v[20:21], v[62:63]
	v_fmac_f64_e32 v[22:23], v[18:19], v[62:63]
	;; [unrolled: 1-line block ×3, first 2 shown]
	v_cvt_f64_f32_e32 v[18:19], v46
	v_cvt_f64_f32_e32 v[42:43], v47
	v_fmac_f64_e32 v[44:45], v[18:19], v[62:63]
	v_fma_f64 v[22:23], -v[20:21], v[64:65], v[22:23]
	v_fma_f64 v[20:21], -v[42:43], v[64:65], v[44:45]
	v_fmac_f64_e32 v[28:29], v[42:43], v[62:63]
	v_cvt_f64_f32_e32 v[42:43], v48
	v_cvt_f64_f32_e32 v[44:45], v49
	v_fmac_f64_e32 v[38:39], v[42:43], v[62:63]
	v_fmac_f64_e32 v[0:1], v[44:45], v[62:63]
	;; [unrolled: 1-line block ×3, first 2 shown]
	v_fma_f64 v[18:19], -v[44:45], v[64:65], v[38:39]
	v_fmac_f64_e32 v[0:1], v[42:43], v[64:65]
	global_load_dwordx4 v[46:49], v[40:41], off offset:112
	global_load_dwordx4 v[50:53], v[40:41], off offset:96
	;; [unrolled: 1-line block ×4, first 2 shown]
	s_waitcnt vmcnt(0)
	v_cvt_f64_f32_e32 v[38:39], v58
	v_cvt_f64_f32_e32 v[40:41], v59
	v_fmac_f64_e32 v[24:25], v[38:39], v[14:15]
	v_fmac_f64_e32 v[32:33], v[40:41], v[14:15]
	v_fma_f64 v[24:25], -v[40:41], v[16:17], v[24:25]
	v_fmac_f64_e32 v[32:33], v[38:39], v[16:17]
	v_cvt_f64_f32_e32 v[38:39], v60
	v_cvt_f64_f32_e32 v[40:41], v61
	v_fmac_f64_e32 v[22:23], v[38:39], v[14:15]
	v_fmac_f64_e32 v[30:31], v[40:41], v[14:15]
	v_fma_f64 v[22:23], -v[40:41], v[16:17], v[22:23]
	v_fmac_f64_e32 v[30:31], v[38:39], v[16:17]
	;; [unrolled: 6-line block ×8, first 2 shown]
	s_andn2_b64 exec, exec, s[10:11]
	s_cbranch_execnz .LBB169_31
; %bb.32:
	s_or_b64 exec, exec, s[10:11]
.LBB169_33:
	s_or_b64 exec, exec, s[2:3]
.LBB169_34:
	s_or_b64 exec, exec, s[6:7]
.LBB169_35:
	v_mov_b32_dpp v14, v32 row_shr:1 row_mask:0xf bank_mask:0xf
	v_mov_b32_dpp v15, v33 row_shr:1 row_mask:0xf bank_mask:0xf
	;; [unrolled: 1-line block ×4, first 2 shown]
	v_add_f64 v[14:15], v[32:33], v[14:15]
	v_mov_b32_dpp v20, v42 row_shr:1 row_mask:0xf bank_mask:0xf
	v_mov_b32_dpp v21, v43 row_shr:1 row_mask:0xf bank_mask:0xf
	;; [unrolled: 1-line block ×12, first 2 shown]
	v_add_f64 v[10:11], v[44:45], v[10:11]
	v_add_f64 v[20:21], v[42:43], v[20:21]
	v_add_f64 v[24:25], v[30:31], v[24:25]
	v_add_f64 v[32:33], v[46:47], v[32:33]
	v_add_f64 v[28:29], v[28:29], v[36:37]
	v_add_f64 v[18:19], v[18:19], v[38:39]
	v_add_f64 v[0:1], v[0:1], v[40:41]
	v_mov_b32_dpp v12, v10 row_shr:2 row_mask:0xf bank_mask:0xf
	v_mov_b32_dpp v13, v11 row_shr:2 row_mask:0xf bank_mask:0xf
	v_mov_b32_dpp v16, v14 row_shr:2 row_mask:0xf bank_mask:0xf
	v_mov_b32_dpp v17, v15 row_shr:2 row_mask:0xf bank_mask:0xf
	v_mov_b32_dpp v22, v20 row_shr:2 row_mask:0xf bank_mask:0xf
	v_mov_b32_dpp v23, v21 row_shr:2 row_mask:0xf bank_mask:0xf
	v_mov_b32_dpp v30, v24 row_shr:2 row_mask:0xf bank_mask:0xf
	v_mov_b32_dpp v31, v25 row_shr:2 row_mask:0xf bank_mask:0xf
	v_mov_b32_dpp v34, v32 row_shr:2 row_mask:0xf bank_mask:0xf
	v_mov_b32_dpp v35, v33 row_shr:2 row_mask:0xf bank_mask:0xf
	v_mov_b32_dpp v36, v28 row_shr:2 row_mask:0xf bank_mask:0xf
	v_mov_b32_dpp v37, v29 row_shr:2 row_mask:0xf bank_mask:0xf
	v_mov_b32_dpp v38, v18 row_shr:2 row_mask:0xf bank_mask:0xf
	v_mov_b32_dpp v39, v19 row_shr:2 row_mask:0xf bank_mask:0xf
	v_mov_b32_dpp v40, v0 row_shr:2 row_mask:0xf bank_mask:0xf
	v_mov_b32_dpp v41, v1 row_shr:2 row_mask:0xf bank_mask:0xf
	v_add_f64 v[10:11], v[10:11], v[12:13]
	v_add_f64 v[14:15], v[14:15], v[16:17]
	v_add_f64 v[20:21], v[20:21], v[22:23]
	v_add_f64 v[24:25], v[24:25], v[30:31]
	v_add_f64 v[32:33], v[32:33], v[34:35]
	v_add_f64 v[28:29], v[28:29], v[36:37]
	v_add_f64 v[18:19], v[18:19], v[38:39]
	v_add_f64 v[0:1], v[0:1], v[40:41]
	v_mov_b32_dpp v12, v10 row_shr:4 row_mask:0xf bank_mask:0xe
	v_mov_b32_dpp v13, v11 row_shr:4 row_mask:0xf bank_mask:0xe
	v_mov_b32_dpp v16, v14 row_shr:4 row_mask:0xf bank_mask:0xe
	v_mov_b32_dpp v17, v15 row_shr:4 row_mask:0xf bank_mask:0xe
	v_mov_b32_dpp v22, v20 row_shr:4 row_mask:0xf bank_mask:0xe
	v_mov_b32_dpp v23, v21 row_shr:4 row_mask:0xf bank_mask:0xe
	v_mov_b32_dpp v30, v24 row_shr:4 row_mask:0xf bank_mask:0xe
	v_mov_b32_dpp v31, v25 row_shr:4 row_mask:0xf bank_mask:0xe
	v_mov_b32_dpp v34, v32 row_shr:4 row_mask:0xf bank_mask:0xe
	v_mov_b32_dpp v35, v33 row_shr:4 row_mask:0xf bank_mask:0xe
	v_mov_b32_dpp v36, v28 row_shr:4 row_mask:0xf bank_mask:0xe
	v_mov_b32_dpp v37, v29 row_shr:4 row_mask:0xf bank_mask:0xe
	v_mov_b32_dpp v38, v18 row_shr:4 row_mask:0xf bank_mask:0xe
	v_mov_b32_dpp v39, v19 row_shr:4 row_mask:0xf bank_mask:0xe
	v_mov_b32_dpp v40, v0 row_shr:4 row_mask:0xf bank_mask:0xe
	v_mov_b32_dpp v41, v1 row_shr:4 row_mask:0xf bank_mask:0xe
	v_add_f64 v[10:11], v[10:11], v[12:13]
	;; [unrolled: 24-line block ×3, first 2 shown]
	v_add_f64 v[14:15], v[14:15], v[16:17]
	v_add_f64 v[20:21], v[20:21], v[22:23]
	;; [unrolled: 1-line block ×7, first 2 shown]
	v_mov_b32_dpp v12, v10 row_bcast:15 row_mask:0xa bank_mask:0xf
	v_mov_b32_dpp v13, v11 row_bcast:15 row_mask:0xa bank_mask:0xf
	;; [unrolled: 1-line block ×16, first 2 shown]
	v_add_f64 v[10:11], v[10:11], v[12:13]
	v_add_f64 v[14:15], v[14:15], v[16:17]
	v_add_f64 v[20:21], v[20:21], v[22:23]
	v_add_f64 v[24:25], v[24:25], v[30:31]
	v_add_f64 v[32:33], v[32:33], v[34:35]
	v_add_f64 v[28:29], v[28:29], v[36:37]
	v_add_f64 v[18:19], v[18:19], v[38:39]
	v_add_f64 v[0:1], v[0:1], v[40:41]
	v_mov_b32_dpp v12, v10 row_bcast:31 row_mask:0xc bank_mask:0xf
	v_mov_b32_dpp v13, v11 row_bcast:31 row_mask:0xc bank_mask:0xf
	;; [unrolled: 1-line block ×16, first 2 shown]
	v_cmp_eq_u32_e32 vcc, 63, v27
	s_and_b64 exec, exec, vcc
	s_cbranch_execz .LBB169_8
; %bb.36:
	s_load_dwordx2 s[2:3], s[0:1], 0x60
	v_add_f64 v[42:43], v[10:11], v[12:13]
	v_add_f64 v[10:11], v[14:15], v[16:17]
	;; [unrolled: 1-line block ×8, first 2 shown]
	v_cmp_eq_f64_e32 vcc, 0, v[2:3]
	v_cmp_eq_f64_e64 s[0:1], 0, v[4:5]
	v_mul_f64 v[22:23], v[10:11], -v[8:9]
	v_mul_f64 v[24:25], v[6:7], v[10:11]
	v_mul_f64 v[18:19], v[12:13], -v[8:9]
	v_mul_f64 v[20:21], v[6:7], v[12:13]
	;; [unrolled: 2-line block ×4, first 2 shown]
	s_and_b64 s[0:1], vcc, s[0:1]
	v_fmac_f64_e32 v[22:23], v[6:7], v[42:43]
	v_fmac_f64_e32 v[24:25], v[8:9], v[42:43]
	v_lshlrev_b32_e32 v0, 2, v26
	v_fmac_f64_e32 v[18:19], v[6:7], v[44:45]
	v_fmac_f64_e32 v[20:21], v[8:9], v[44:45]
	v_fmac_f64_e32 v[14:15], v[6:7], v[30:31]
	v_fmac_f64_e32 v[16:17], v[8:9], v[30:31]
	v_fmac_f64_e32 v[10:11], v[6:7], v[28:29]
	v_fmac_f64_e32 v[12:13], v[8:9], v[28:29]
	s_waitcnt lgkmcnt(0)
	s_and_saveexec_b64 s[4:5], s[0:1]
	s_xor_b64 s[0:1], exec, s[4:5]
	s_cbranch_execz .LBB169_38
; %bb.37:
	v_ashrrev_i32_e32 v1, 31, v0
	v_lshl_add_u64 v[0:1], v[0:1], 4, s[2:3]
	global_store_dwordx4 v[0:1], v[22:25], off
	global_store_dwordx4 v[0:1], v[18:21], off offset:16
	global_store_dwordx4 v[0:1], v[14:17], off offset:32
	;; [unrolled: 1-line block ×3, first 2 shown]
                                        ; implicit-def: $vgpr4_vgpr5
                                        ; implicit-def: $vgpr22_vgpr23
                                        ; implicit-def: $vgpr0
                                        ; implicit-def: $vgpr18_vgpr19
                                        ; implicit-def: $vgpr14_vgpr15
                                        ; implicit-def: $vgpr10_vgpr11
.LBB169_38:
	s_andn2_saveexec_b64 s[0:1], s[0:1]
	s_cbranch_execz .LBB169_8
; %bb.39:
	v_ashrrev_i32_e32 v1, 31, v0
	v_lshl_add_u64 v[0:1], v[0:1], 4, s[2:3]
	global_load_dwordx4 v[6:9], v[0:1], off
	global_load_dwordx4 v[26:29], v[0:1], off offset:16
	global_load_dwordx4 v[30:33], v[0:1], off offset:32
	;; [unrolled: 1-line block ×3, first 2 shown]
	s_waitcnt vmcnt(3)
	v_fmac_f64_e32 v[22:23], v[2:3], v[6:7]
	v_fmac_f64_e32 v[24:25], v[4:5], v[6:7]
	s_waitcnt vmcnt(2)
	v_fmac_f64_e32 v[18:19], v[2:3], v[26:27]
	v_fmac_f64_e32 v[20:21], v[4:5], v[26:27]
	;; [unrolled: 3-line block ×4, first 2 shown]
	v_fma_f64 v[22:23], -v[4:5], v[8:9], v[22:23]
	v_fmac_f64_e32 v[24:25], v[2:3], v[8:9]
	v_fma_f64 v[18:19], -v[4:5], v[28:29], v[18:19]
	v_fmac_f64_e32 v[20:21], v[2:3], v[28:29]
	v_fma_f64 v[14:15], -v[4:5], v[32:33], v[14:15]
	v_fmac_f64_e32 v[16:17], v[2:3], v[32:33]
	v_fma_f64 v[10:11], -v[4:5], v[36:37], v[10:11]
	v_fmac_f64_e32 v[12:13], v[2:3], v[36:37]
	global_store_dwordx4 v[0:1], v[22:25], off
	global_store_dwordx4 v[0:1], v[18:21], off offset:16
	global_store_dwordx4 v[0:1], v[14:17], off offset:32
	;; [unrolled: 1-line block ×3, first 2 shown]
	s_endpgm
	.section	.rodata,"a",@progbits
	.p2align	6, 0x0
	.amdhsa_kernel _ZN9rocsparseL18bsrxmvn_4x4_kernelILj128ELj64E21rocsparse_complex_numIdEiiS1_IfES2_S2_EEvT3_20rocsparse_direction_NS_24const_host_device_scalarIT1_EES4_PKS4_PKT2_SD_SA_PKT4_PKT5_S8_PT6_21rocsparse_index_base_b
		.amdhsa_group_segment_fixed_size 0
		.amdhsa_private_segment_fixed_size 0
		.amdhsa_kernarg_size 112
		.amdhsa_user_sgpr_count 2
		.amdhsa_user_sgpr_dispatch_ptr 0
		.amdhsa_user_sgpr_queue_ptr 0
		.amdhsa_user_sgpr_kernarg_segment_ptr 1
		.amdhsa_user_sgpr_dispatch_id 0
		.amdhsa_user_sgpr_kernarg_preload_length 0
		.amdhsa_user_sgpr_kernarg_preload_offset 0
		.amdhsa_user_sgpr_private_segment_size 0
		.amdhsa_uses_dynamic_stack 0
		.amdhsa_enable_private_segment 0
		.amdhsa_system_sgpr_workgroup_id_x 1
		.amdhsa_system_sgpr_workgroup_id_y 0
		.amdhsa_system_sgpr_workgroup_id_z 0
		.amdhsa_system_sgpr_workgroup_info 0
		.amdhsa_system_vgpr_workitem_id 0
		.amdhsa_next_free_vgpr 118
		.amdhsa_next_free_sgpr 26
		.amdhsa_accum_offset 120
		.amdhsa_reserve_vcc 1
		.amdhsa_float_round_mode_32 0
		.amdhsa_float_round_mode_16_64 0
		.amdhsa_float_denorm_mode_32 3
		.amdhsa_float_denorm_mode_16_64 3
		.amdhsa_dx10_clamp 1
		.amdhsa_ieee_mode 1
		.amdhsa_fp16_overflow 0
		.amdhsa_tg_split 0
		.amdhsa_exception_fp_ieee_invalid_op 0
		.amdhsa_exception_fp_denorm_src 0
		.amdhsa_exception_fp_ieee_div_zero 0
		.amdhsa_exception_fp_ieee_overflow 0
		.amdhsa_exception_fp_ieee_underflow 0
		.amdhsa_exception_fp_ieee_inexact 0
		.amdhsa_exception_int_div_zero 0
	.end_amdhsa_kernel
	.section	.text._ZN9rocsparseL18bsrxmvn_4x4_kernelILj128ELj64E21rocsparse_complex_numIdEiiS1_IfES2_S2_EEvT3_20rocsparse_direction_NS_24const_host_device_scalarIT1_EES4_PKS4_PKT2_SD_SA_PKT4_PKT5_S8_PT6_21rocsparse_index_base_b,"axG",@progbits,_ZN9rocsparseL18bsrxmvn_4x4_kernelILj128ELj64E21rocsparse_complex_numIdEiiS1_IfES2_S2_EEvT3_20rocsparse_direction_NS_24const_host_device_scalarIT1_EES4_PKS4_PKT2_SD_SA_PKT4_PKT5_S8_PT6_21rocsparse_index_base_b,comdat
.Lfunc_end169:
	.size	_ZN9rocsparseL18bsrxmvn_4x4_kernelILj128ELj64E21rocsparse_complex_numIdEiiS1_IfES2_S2_EEvT3_20rocsparse_direction_NS_24const_host_device_scalarIT1_EES4_PKS4_PKT2_SD_SA_PKT4_PKT5_S8_PT6_21rocsparse_index_base_b, .Lfunc_end169-_ZN9rocsparseL18bsrxmvn_4x4_kernelILj128ELj64E21rocsparse_complex_numIdEiiS1_IfES2_S2_EEvT3_20rocsparse_direction_NS_24const_host_device_scalarIT1_EES4_PKS4_PKT2_SD_SA_PKT4_PKT5_S8_PT6_21rocsparse_index_base_b
                                        ; -- End function
	.set _ZN9rocsparseL18bsrxmvn_4x4_kernelILj128ELj64E21rocsparse_complex_numIdEiiS1_IfES2_S2_EEvT3_20rocsparse_direction_NS_24const_host_device_scalarIT1_EES4_PKS4_PKT2_SD_SA_PKT4_PKT5_S8_PT6_21rocsparse_index_base_b.num_vgpr, 118
	.set _ZN9rocsparseL18bsrxmvn_4x4_kernelILj128ELj64E21rocsparse_complex_numIdEiiS1_IfES2_S2_EEvT3_20rocsparse_direction_NS_24const_host_device_scalarIT1_EES4_PKS4_PKT2_SD_SA_PKT4_PKT5_S8_PT6_21rocsparse_index_base_b.num_agpr, 0
	.set _ZN9rocsparseL18bsrxmvn_4x4_kernelILj128ELj64E21rocsparse_complex_numIdEiiS1_IfES2_S2_EEvT3_20rocsparse_direction_NS_24const_host_device_scalarIT1_EES4_PKS4_PKT2_SD_SA_PKT4_PKT5_S8_PT6_21rocsparse_index_base_b.numbered_sgpr, 26
	.set _ZN9rocsparseL18bsrxmvn_4x4_kernelILj128ELj64E21rocsparse_complex_numIdEiiS1_IfES2_S2_EEvT3_20rocsparse_direction_NS_24const_host_device_scalarIT1_EES4_PKS4_PKT2_SD_SA_PKT4_PKT5_S8_PT6_21rocsparse_index_base_b.num_named_barrier, 0
	.set _ZN9rocsparseL18bsrxmvn_4x4_kernelILj128ELj64E21rocsparse_complex_numIdEiiS1_IfES2_S2_EEvT3_20rocsparse_direction_NS_24const_host_device_scalarIT1_EES4_PKS4_PKT2_SD_SA_PKT4_PKT5_S8_PT6_21rocsparse_index_base_b.private_seg_size, 0
	.set _ZN9rocsparseL18bsrxmvn_4x4_kernelILj128ELj64E21rocsparse_complex_numIdEiiS1_IfES2_S2_EEvT3_20rocsparse_direction_NS_24const_host_device_scalarIT1_EES4_PKS4_PKT2_SD_SA_PKT4_PKT5_S8_PT6_21rocsparse_index_base_b.uses_vcc, 1
	.set _ZN9rocsparseL18bsrxmvn_4x4_kernelILj128ELj64E21rocsparse_complex_numIdEiiS1_IfES2_S2_EEvT3_20rocsparse_direction_NS_24const_host_device_scalarIT1_EES4_PKS4_PKT2_SD_SA_PKT4_PKT5_S8_PT6_21rocsparse_index_base_b.uses_flat_scratch, 0
	.set _ZN9rocsparseL18bsrxmvn_4x4_kernelILj128ELj64E21rocsparse_complex_numIdEiiS1_IfES2_S2_EEvT3_20rocsparse_direction_NS_24const_host_device_scalarIT1_EES4_PKS4_PKT2_SD_SA_PKT4_PKT5_S8_PT6_21rocsparse_index_base_b.has_dyn_sized_stack, 0
	.set _ZN9rocsparseL18bsrxmvn_4x4_kernelILj128ELj64E21rocsparse_complex_numIdEiiS1_IfES2_S2_EEvT3_20rocsparse_direction_NS_24const_host_device_scalarIT1_EES4_PKS4_PKT2_SD_SA_PKT4_PKT5_S8_PT6_21rocsparse_index_base_b.has_recursion, 0
	.set _ZN9rocsparseL18bsrxmvn_4x4_kernelILj128ELj64E21rocsparse_complex_numIdEiiS1_IfES2_S2_EEvT3_20rocsparse_direction_NS_24const_host_device_scalarIT1_EES4_PKS4_PKT2_SD_SA_PKT4_PKT5_S8_PT6_21rocsparse_index_base_b.has_indirect_call, 0
	.section	.AMDGPU.csdata,"",@progbits
; Kernel info:
; codeLenInByte = 8804
; TotalNumSgprs: 32
; NumVgprs: 118
; NumAgprs: 0
; TotalNumVgprs: 118
; ScratchSize: 0
; MemoryBound: 0
; FloatMode: 240
; IeeeMode: 1
; LDSByteSize: 0 bytes/workgroup (compile time only)
; SGPRBlocks: 3
; VGPRBlocks: 14
; NumSGPRsForWavesPerEU: 32
; NumVGPRsForWavesPerEU: 118
; AccumOffset: 120
; Occupancy: 4
; WaveLimiterHint : 1
; COMPUTE_PGM_RSRC2:SCRATCH_EN: 0
; COMPUTE_PGM_RSRC2:USER_SGPR: 2
; COMPUTE_PGM_RSRC2:TRAP_HANDLER: 0
; COMPUTE_PGM_RSRC2:TGID_X_EN: 1
; COMPUTE_PGM_RSRC2:TGID_Y_EN: 0
; COMPUTE_PGM_RSRC2:TGID_Z_EN: 0
; COMPUTE_PGM_RSRC2:TIDIG_COMP_CNT: 0
; COMPUTE_PGM_RSRC3_GFX90A:ACCUM_OFFSET: 29
; COMPUTE_PGM_RSRC3_GFX90A:TG_SPLIT: 0
	.section	.text._ZN9rocsparseL18bsrxmvn_4x4_kernelILj128ELj4E21rocsparse_complex_numIdEliS1_IfES2_S2_EEvT3_20rocsparse_direction_NS_24const_host_device_scalarIT1_EES4_PKS4_PKT2_SD_SA_PKT4_PKT5_S8_PT6_21rocsparse_index_base_b,"axG",@progbits,_ZN9rocsparseL18bsrxmvn_4x4_kernelILj128ELj4E21rocsparse_complex_numIdEliS1_IfES2_S2_EEvT3_20rocsparse_direction_NS_24const_host_device_scalarIT1_EES4_PKS4_PKT2_SD_SA_PKT4_PKT5_S8_PT6_21rocsparse_index_base_b,comdat
	.globl	_ZN9rocsparseL18bsrxmvn_4x4_kernelILj128ELj4E21rocsparse_complex_numIdEliS1_IfES2_S2_EEvT3_20rocsparse_direction_NS_24const_host_device_scalarIT1_EES4_PKS4_PKT2_SD_SA_PKT4_PKT5_S8_PT6_21rocsparse_index_base_b ; -- Begin function _ZN9rocsparseL18bsrxmvn_4x4_kernelILj128ELj4E21rocsparse_complex_numIdEliS1_IfES2_S2_EEvT3_20rocsparse_direction_NS_24const_host_device_scalarIT1_EES4_PKS4_PKT2_SD_SA_PKT4_PKT5_S8_PT6_21rocsparse_index_base_b
	.p2align	8
	.type	_ZN9rocsparseL18bsrxmvn_4x4_kernelILj128ELj4E21rocsparse_complex_numIdEliS1_IfES2_S2_EEvT3_20rocsparse_direction_NS_24const_host_device_scalarIT1_EES4_PKS4_PKT2_SD_SA_PKT4_PKT5_S8_PT6_21rocsparse_index_base_b,@function
_ZN9rocsparseL18bsrxmvn_4x4_kernelILj128ELj4E21rocsparse_complex_numIdEliS1_IfES2_S2_EEvT3_20rocsparse_direction_NS_24const_host_device_scalarIT1_EES4_PKS4_PKT2_SD_SA_PKT4_PKT5_S8_PT6_21rocsparse_index_base_b: ; @_ZN9rocsparseL18bsrxmvn_4x4_kernelILj128ELj4E21rocsparse_complex_numIdEliS1_IfES2_S2_EEvT3_20rocsparse_direction_NS_24const_host_device_scalarIT1_EES4_PKS4_PKT2_SD_SA_PKT4_PKT5_S8_PT6_21rocsparse_index_base_b
; %bb.0:
	s_load_dwordx2 s[4:5], s[0:1], 0x8
	s_load_dwordx2 s[12:13], s[0:1], 0x68
	s_add_u32 s3, s0, 8
	s_addc_u32 s8, s1, 0
	s_add_u32 s9, s0, 0x50
	s_load_dwordx2 s[6:7], s[0:1], 0x50
	s_addc_u32 s10, s1, 0
	s_waitcnt lgkmcnt(0)
	s_bitcmp1_b32 s13, 0
	s_cselect_b32 s5, s8, s5
	s_cselect_b32 s3, s3, s4
	v_mov_b32_e32 v2, s3
	v_mov_b32_e32 v3, s5
	flat_load_dwordx4 v[6:9], v[2:3]
	s_cselect_b32 s3, s10, s7
	s_cselect_b32 s4, s9, s6
	v_mov_b32_e32 v2, s4
	v_mov_b32_e32 v3, s3
	flat_load_dwordx4 v[2:5], v[2:3]
	s_waitcnt vmcnt(0) lgkmcnt(0)
	v_cmp_eq_f64_e32 vcc, 0, v[6:7]
	v_cmp_eq_f64_e64 s[4:5], 0, v[8:9]
	s_and_b64 s[8:9], vcc, s[4:5]
	s_mov_b64 s[4:5], -1
	s_and_saveexec_b64 s[6:7], s[8:9]
; %bb.1:
	v_cmp_neq_f64_e32 vcc, 1.0, v[2:3]
	v_cmp_neq_f64_e64 s[4:5], 0, v[4:5]
	s_or_b64 s[4:5], vcc, s[4:5]
	s_orn2_b64 s[4:5], s[4:5], exec
; %bb.2:
	s_or_b64 exec, exec, s[6:7]
	s_and_saveexec_b64 s[6:7], s[4:5]
	s_cbranch_execz .LBB170_8
; %bb.3:
	s_load_dwordx2 s[4:5], s[0:1], 0x20
	s_load_dwordx2 s[14:15], s[0:1], 0x0
	v_lshrrev_b32_e32 v1, 2, v0
	v_lshl_or_b32 v38, s2, 5, v1
	s_mov_b64 s[2:3], 0
	s_waitcnt lgkmcnt(0)
	s_cmp_lg_u64 s[4:5], 0
	s_cbranch_scc0 .LBB170_9
; %bb.4:
	s_load_dword s6, s[0:1], 0x18
                                        ; implicit-def: $vgpr1
	s_waitcnt lgkmcnt(0)
	v_cmp_gt_i32_e32 vcc, s6, v38
	s_and_saveexec_b64 s[6:7], vcc
	s_xor_b64 s[6:7], exec, s[6:7]
	s_cbranch_execz .LBB170_6
; %bb.5:
	v_ashrrev_i32_e32 v39, 31, v38
	v_lshl_add_u64 v[10:11], v[38:39], 2, s[4:5]
	global_load_dword v1, v[10:11], off
	s_mov_b64 s[2:3], exec
	s_waitcnt vmcnt(0)
	v_subrev_u32_e32 v1, s12, v1
.LBB170_6:
	s_or_b64 exec, exec, s[6:7]
	s_branch .LBB170_10
.LBB170_7:
	v_cmp_gt_i32_e32 vcc, s14, v38
	s_andn2_b64 s[2:3], s[2:3], exec
	s_and_b64 s[4:5], vcc, exec
	s_or_b64 s[2:3], s[2:3], s[4:5]
	s_and_b64 exec, exec, s[2:3]
	s_cbranch_execnz .LBB170_11
.LBB170_8:
	s_endpgm
.LBB170_9:
                                        ; implicit-def: $vgpr1
	s_cbranch_execnz .LBB170_7
.LBB170_10:
	v_mov_b32_e32 v38, v1
	s_and_b64 exec, exec, s[2:3]
	s_cbranch_execz .LBB170_8
.LBB170_11:
	s_load_dwordx8 s[4:11], s[0:1], 0x28
	v_ashrrev_i32_e32 v39, 31, v38
	v_lshlrev_b64 v[10:11], 3, v[38:39]
	v_and_b32_e32 v0, 3, v0
	v_mov_b32_e32 v1, 0
	s_waitcnt lgkmcnt(0)
	v_lshl_add_u64 v[12:13], s[4:5], 0, v[10:11]
	s_cmp_eq_u64 s[6:7], 0
	v_lshl_add_u64 v[10:11], s[6:7], 0, v[10:11]
	global_load_dwordx2 v[54:55], v[12:13], off
	v_lshl_add_u64 v[12:13], v[12:13], 0, 8
	s_cselect_b64 vcc, -1, 0
	v_cndmask_b32_e32 v11, v11, v13, vcc
	v_cndmask_b32_e32 v10, v10, v12, vcc
	global_load_dwordx2 v[10:11], v[10:11], off
	s_load_dwordx2 s[4:5], s[0:1], 0x48
	s_cmp_eq_u32 s15, 1
	s_waitcnt vmcnt(1)
	v_subrev_co_u32_e32 v12, vcc, s12, v54
	s_nop 1
	v_subbrev_co_u32_e32 v13, vcc, 0, v55, vcc
	v_lshl_add_u64 v[40:41], v[12:13], 0, v[0:1]
	s_waitcnt vmcnt(0)
	v_subrev_co_u32_e32 v42, vcc, s12, v10
	s_nop 1
	v_subbrev_co_u32_e32 v43, vcc, 0, v11, vcc
	v_lshlrev_b64 v[10:11], 7, v[40:41]
	v_lshl_add_u64 v[44:45], s[10:11], 0, v[10:11]
	v_cmp_lt_i64_e64 s[2:3], v[40:41], v[42:43]
	s_cbranch_scc1 .LBB170_23
; %bb.12:
	v_mov_b64_e32 v[48:49], 0
	v_mov_b64_e32 v[18:19], 0
	;; [unrolled: 1-line block ×8, first 2 shown]
	s_and_saveexec_b64 s[6:7], s[2:3]
	s_cbranch_execz .LBB170_22
; %bb.13:
	v_or_b32_e32 v1, 4, v0
	v_subrev_co_u32_e32 v10, vcc, s12, v1
	v_not_b32_e32 v13, v55
	s_nop 0
	v_subb_co_u32_e64 v11, s[10:11], 0, 0, vcc
	v_lshl_add_u64 v[10:11], v[10:11], 0, v[54:55]
	v_cmp_gt_i64_e32 vcc, v[10:11], v[42:43]
	v_not_b32_e32 v12, v54
	v_mov_b64_e32 v[26:27], 0
	v_cndmask_b32_e32 v11, v43, v11, vcc
	v_cndmask_b32_e32 v10, v42, v10, vcc
	v_sub_co_u32_e32 v14, vcc, s12, v0
	v_mov_b64_e32 v[46:47], 0
	s_nop 0
	v_subb_co_u32_e64 v15, s[10:11], 0, 0, vcc
	v_lshl_add_u64 v[12:13], v[14:15], 0, v[12:13]
	v_lshl_add_u64 v[14:15], v[12:13], 0, v[10:11]
	v_and_b32_e32 v10, 12, v14
	v_mov_b32_e32 v11, 0
	v_cmp_ne_u64_e32 vcc, 12, v[10:11]
	v_mov_b64_e32 v[20:21], 0
	v_mov_b64_e32 v[50:51], 0
	;; [unrolled: 1-line block ×8, first 2 shown]
	s_and_saveexec_b64 s[10:11], vcc
	s_cbranch_execz .LBB170_17
; %bb.14:
	v_lshrrev_b32_e32 v1, 2, v14
	v_add_u32_e32 v1, 1, v1
	v_and_b32_e32 v1, 3, v1
	v_sub_co_u32_e32 v22, vcc, 0, v1
	v_lshl_add_u64 v[16:17], v[40:41], 2, s[8:9]
	s_nop 0
	v_subb_co_u32_e64 v23, s[16:17], 0, 0, vcc
	s_mov_b64 s[14:15], 0
	v_mov_b64_e32 v[48:49], 0
	s_mov_b64 s[16:17], 0x200
	v_mov_b64_e32 v[58:59], v[40:41]
	v_mov_b64_e32 v[56:57], v[44:45]
	;; [unrolled: 1-line block ×9, first 2 shown]
.LBB170_15:                             ; =>This Inner Loop Header: Depth=1
	global_load_dword v1, v[16:17], off
	global_load_dwordx4 v[28:31], v[56:57], off
	global_load_dwordx4 v[32:35], v[56:57], off offset:16
	global_load_dwordx4 v[10:13], v[56:57], off offset:32
	;; [unrolled: 1-line block ×7, first 2 shown]
	v_lshl_add_u64 v[22:23], v[22:23], 0, 1
	v_cmp_eq_u64_e32 vcc, 0, v[22:23]
	v_lshl_add_u64 v[56:57], v[56:57], 0, s[16:17]
	v_lshl_add_u64 v[58:59], v[58:59], 0, 4
	;; [unrolled: 1-line block ×3, first 2 shown]
	s_or_b64 s[14:15], vcc, s[14:15]
	s_waitcnt vmcnt(8)
	v_subrev_u32_e32 v1, s12, v1
	s_waitcnt vmcnt(7)
	v_cvt_f64_f32_e32 v[24:25], v28
	v_cvt_f64_f32_e32 v[36:37], v29
	s_waitcnt vmcnt(5)
	v_cvt_f64_f32_e32 v[98:99], v10
	v_lshlrev_b32_e32 v10, 2, v1
	v_cvt_f64_f32_e32 v[100:101], v11
	v_ashrrev_i32_e32 v11, 31, v10
	s_waitcnt lgkmcnt(0)
	v_lshl_add_u64 v[110:111], v[10:11], 4, s[4:5]
	v_cvt_f64_f32_e32 v[60:61], v30
	v_cvt_f64_f32_e32 v[88:89], v31
	;; [unrolled: 1-line block ×8, first 2 shown]
	global_load_dwordx4 v[10:13], v[110:111], off
	global_load_dwordx4 v[28:31], v[110:111], off offset:16
	global_load_dwordx4 v[32:35], v[110:111], off offset:32
	global_load_dwordx4 v[84:87], v[110:111], off offset:48
	s_waitcnt vmcnt(8)
	v_cvt_f64_f32_e32 v[106:107], v64
	v_cvt_f64_f32_e32 v[64:65], v65
	s_waitcnt vmcnt(7)
	v_cvt_f64_f32_e32 v[108:109], v68
	v_cvt_f64_f32_e32 v[68:69], v69
	;; [unrolled: 1-line block ×6, first 2 shown]
	s_waitcnt vmcnt(6)
	v_cvt_f64_f32_e32 v[110:111], v72
	v_cvt_f64_f32_e32 v[72:73], v73
	s_waitcnt vmcnt(5)
	v_cvt_f64_f32_e32 v[116:117], v76
	v_cvt_f64_f32_e32 v[76:77], v77
	;; [unrolled: 3-line block ×3, first 2 shown]
	v_cvt_f64_f32_e32 v[112:113], v74
	v_cvt_f64_f32_e32 v[74:75], v75
	;; [unrolled: 1-line block ×6, first 2 shown]
	s_waitcnt vmcnt(3)
	v_fmac_f64_e32 v[18:19], v[24:25], v[10:11]
	v_fmac_f64_e32 v[48:49], v[36:37], v[10:11]
	v_fmac_f64_e32 v[62:63], v[98:99], v[10:11]
	v_fmac_f64_e32 v[52:53], v[100:101], v[10:11]
	v_fmac_f64_e32 v[20:21], v[106:107], v[10:11]
	v_fmac_f64_e32 v[50:51], v[64:65], v[10:11]
	v_fmac_f64_e32 v[26:27], v[108:109], v[10:11]
	v_fmac_f64_e32 v[46:47], v[68:69], v[10:11]
	v_fma_f64 v[10:11], -v[36:37], v[12:13], v[18:19]
	v_fmac_f64_e32 v[48:49], v[24:25], v[12:13]
	v_fma_f64 v[18:19], -v[100:101], v[12:13], v[62:63]
	v_fmac_f64_e32 v[52:53], v[98:99], v[12:13]
	v_fma_f64 v[20:21], -v[64:65], v[12:13], v[20:21]
	v_fmac_f64_e32 v[50:51], v[106:107], v[12:13]
	v_fma_f64 v[24:25], -v[68:69], v[12:13], v[26:27]
	v_fmac_f64_e32 v[46:47], v[108:109], v[12:13]
	s_waitcnt vmcnt(2)
	v_fmac_f64_e32 v[10:11], v[60:61], v[28:29]
	v_fmac_f64_e32 v[48:49], v[88:89], v[28:29]
	v_fmac_f64_e32 v[18:19], v[102:103], v[28:29]
	v_fmac_f64_e32 v[52:53], v[104:105], v[28:29]
	v_fmac_f64_e32 v[20:21], v[114:115], v[28:29]
	v_fmac_f64_e32 v[50:51], v[66:67], v[28:29]
	v_fmac_f64_e32 v[24:25], v[120:121], v[28:29]
	v_fmac_f64_e32 v[46:47], v[70:71], v[28:29]
	v_fma_f64 v[10:11], -v[88:89], v[30:31], v[10:11]
	v_fmac_f64_e32 v[48:49], v[60:61], v[30:31]
	v_fma_f64 v[12:13], -v[104:105], v[30:31], v[18:19]
	v_fmac_f64_e32 v[52:53], v[102:103], v[30:31]
	v_fma_f64 v[18:19], -v[66:67], v[30:31], v[20:21]
	v_fmac_f64_e32 v[50:51], v[114:115], v[30:31]
	v_fma_f64 v[20:21], -v[70:71], v[30:31], v[24:25]
	v_fmac_f64_e32 v[46:47], v[120:121], v[30:31]
	;; [unrolled: 17-line block ×4, first 2 shown]
	s_andn2_b64 exec, exec, s[14:15]
	s_cbranch_execnz .LBB170_15
; %bb.16:
	s_or_b64 exec, exec, s[14:15]
.LBB170_17:
	s_or_b64 exec, exec, s[10:11]
	v_cmp_lt_u64_e32 vcc, 11, v[14:15]
	s_and_saveexec_b64 s[10:11], vcc
	s_cbranch_execz .LBB170_21
; %bb.18:
	v_lshl_add_u64 v[10:11], v[58:59], 2, s[8:9]
	v_lshl_add_u64 v[60:61], v[10:11], 0, 32
	s_mov_b64 s[14:15], 0
	s_mov_b64 s[16:17], 0x800
.LBB170_19:                             ; =>This Inner Loop Header: Depth=1
	global_load_dword v1, v[60:61], off offset:-32
	global_load_dwordx4 v[28:31], v[56:57], off offset:48
	global_load_dwordx4 v[32:35], v[56:57], off offset:32
	;; [unrolled: 1-line block ×3, first 2 shown]
	global_load_dwordx4 v[64:67], v[56:57], off
	v_lshl_add_u64 v[58:59], v[58:59], 0, 16
	v_cmp_ge_i64_e32 vcc, v[58:59], v[42:43]
	s_or_b64 s[14:15], vcc, s[14:15]
	s_waitcnt vmcnt(4)
	v_subrev_u32_e32 v1, s12, v1
	v_lshlrev_b32_e32 v10, 2, v1
	v_ashrrev_i32_e32 v11, 31, v10
	s_waitcnt lgkmcnt(0)
	v_lshl_add_u64 v[76:77], v[10:11], 4, s[4:5]
	global_load_dwordx4 v[10:13], v[76:77], off offset:48
	global_load_dwordx4 v[14:17], v[76:77], off offset:32
	;; [unrolled: 1-line block ×3, first 2 shown]
	global_load_dwordx4 v[72:75], v[76:77], off
	s_waitcnt vmcnt(4)
	v_cvt_f64_f32_e32 v[36:37], v64
	v_cvt_f64_f32_e32 v[64:65], v65
	s_waitcnt vmcnt(0)
	v_fmac_f64_e32 v[18:19], v[36:37], v[72:73]
	v_fmac_f64_e32 v[48:49], v[64:65], v[72:73]
	v_fma_f64 v[18:19], -v[64:65], v[74:75], v[18:19]
	v_fmac_f64_e32 v[48:49], v[36:37], v[74:75]
	v_cvt_f64_f32_e32 v[36:37], v66
	v_cvt_f64_f32_e32 v[64:65], v67
	v_fmac_f64_e32 v[18:19], v[36:37], v[68:69]
	v_fmac_f64_e32 v[48:49], v[64:65], v[68:69]
	v_fma_f64 v[18:19], -v[64:65], v[70:71], v[18:19]
	v_fmac_f64_e32 v[48:49], v[36:37], v[70:71]
	v_cvt_f64_f32_e32 v[36:37], v22
	v_cvt_f64_f32_e32 v[22:23], v23
	;; [unrolled: 6-line block ×7, first 2 shown]
	v_fmac_f64_e32 v[28:29], v[18:19], v[10:11]
	v_fma_f64 v[22:23], -v[30:31], v[12:13], v[28:29]
	v_fmac_f64_e32 v[52:53], v[30:31], v[10:11]
	global_load_dwordx4 v[30:33], v[56:57], off offset:112
	global_load_dwordx4 v[34:37], v[56:57], off offset:96
	;; [unrolled: 1-line block ×4, first 2 shown]
	global_load_dword v1, v[60:61], off offset:-16
	v_fmac_f64_e32 v[52:53], v[18:19], v[12:13]
	s_waitcnt vmcnt(1)
	v_cvt_f64_f32_e32 v[18:19], v76
	v_cvt_f64_f32_e32 v[28:29], v77
	v_fmac_f64_e32 v[20:21], v[18:19], v[72:73]
	v_fmac_f64_e32 v[50:51], v[28:29], v[72:73]
	v_fma_f64 v[20:21], -v[28:29], v[74:75], v[20:21]
	v_fmac_f64_e32 v[50:51], v[18:19], v[74:75]
	v_cvt_f64_f32_e32 v[18:19], v78
	v_cvt_f64_f32_e32 v[28:29], v79
	v_fmac_f64_e32 v[20:21], v[18:19], v[68:69]
	v_fmac_f64_e32 v[50:51], v[28:29], v[68:69]
	v_fma_f64 v[20:21], -v[28:29], v[70:71], v[20:21]
	v_fmac_f64_e32 v[50:51], v[18:19], v[70:71]
	v_cvt_f64_f32_e32 v[18:19], v62
	v_cvt_f64_f32_e32 v[28:29], v63
	v_fmac_f64_e32 v[20:21], v[18:19], v[14:15]
	v_fmac_f64_e32 v[50:51], v[28:29], v[14:15]
	v_fma_f64 v[20:21], -v[28:29], v[16:17], v[20:21]
	v_fmac_f64_e32 v[50:51], v[18:19], v[16:17]
	v_cvt_f64_f32_e32 v[18:19], v64
	v_cvt_f64_f32_e32 v[62:63], v65
	v_fmac_f64_e32 v[20:21], v[18:19], v[10:11]
	v_fmac_f64_e32 v[50:51], v[62:63], v[10:11]
	v_fma_f64 v[28:29], -v[62:63], v[12:13], v[20:21]
	v_fmac_f64_e32 v[50:51], v[18:19], v[12:13]
	v_cvt_f64_f32_e32 v[18:19], v34
	v_cvt_f64_f32_e32 v[20:21], v35
	v_fmac_f64_e32 v[26:27], v[18:19], v[72:73]
	v_fmac_f64_e32 v[46:47], v[20:21], v[72:73]
	v_fma_f64 v[26:27], -v[20:21], v[74:75], v[26:27]
	v_fmac_f64_e32 v[46:47], v[18:19], v[74:75]
	v_cvt_f64_f32_e32 v[18:19], v36
	v_cvt_f64_f32_e32 v[20:21], v37
	v_fmac_f64_e32 v[26:27], v[18:19], v[68:69]
	v_fmac_f64_e32 v[46:47], v[20:21], v[68:69]
	v_fma_f64 v[26:27], -v[20:21], v[70:71], v[26:27]
	v_fmac_f64_e32 v[46:47], v[18:19], v[70:71]
	v_cvt_f64_f32_e32 v[18:19], v30
	v_cvt_f64_f32_e32 v[20:21], v31
	v_fmac_f64_e32 v[26:27], v[18:19], v[14:15]
	v_fmac_f64_e32 v[46:47], v[20:21], v[14:15]
	s_waitcnt vmcnt(0)
	v_subrev_u32_e32 v1, s12, v1
	v_fma_f64 v[26:27], -v[20:21], v[16:17], v[26:27]
	v_fmac_f64_e32 v[46:47], v[18:19], v[16:17]
	v_cvt_f64_f32_e32 v[14:15], v32
	v_cvt_f64_f32_e32 v[16:17], v33
	v_lshlrev_b32_e32 v34, 2, v1
	v_fmac_f64_e32 v[26:27], v[14:15], v[10:11]
	v_fmac_f64_e32 v[46:47], v[16:17], v[10:11]
	v_ashrrev_i32_e32 v35, 31, v34
	v_fma_f64 v[26:27], -v[16:17], v[12:13], v[26:27]
	v_fmac_f64_e32 v[46:47], v[14:15], v[12:13]
	global_load_dwordx4 v[10:13], v[56:57], off offset:560
	global_load_dwordx4 v[14:17], v[56:57], off offset:544
	global_load_dwordx4 v[18:21], v[56:57], off offset:528
	global_load_dwordx4 v[30:33], v[56:57], off offset:512
	v_lshl_add_u64 v[76:77], v[34:35], 4, s[4:5]
	global_load_dwordx4 v[34:37], v[76:77], off offset:48
	global_load_dwordx4 v[62:65], v[76:77], off offset:32
	;; [unrolled: 1-line block ×3, first 2 shown]
	global_load_dwordx4 v[70:73], v[76:77], off
	s_waitcnt vmcnt(4)
	v_cvt_f64_f32_e32 v[74:75], v30
	v_cvt_f64_f32_e32 v[30:31], v31
	s_waitcnt vmcnt(0)
	v_fmac_f64_e32 v[24:25], v[74:75], v[70:71]
	v_fmac_f64_e32 v[48:49], v[30:31], v[70:71]
	v_fma_f64 v[24:25], -v[30:31], v[72:73], v[24:25]
	v_fmac_f64_e32 v[48:49], v[74:75], v[72:73]
	v_cvt_f64_f32_e32 v[30:31], v32
	v_cvt_f64_f32_e32 v[32:33], v33
	v_fmac_f64_e32 v[24:25], v[30:31], v[66:67]
	v_fmac_f64_e32 v[48:49], v[32:33], v[66:67]
	v_fma_f64 v[24:25], -v[32:33], v[68:69], v[24:25]
	v_fmac_f64_e32 v[48:49], v[30:31], v[68:69]
	v_cvt_f64_f32_e32 v[30:31], v18
	v_cvt_f64_f32_e32 v[18:19], v19
	;; [unrolled: 6-line block ×3, first 2 shown]
	v_fmac_f64_e32 v[24:25], v[30:31], v[34:35]
	v_fma_f64 v[18:19], -v[20:21], v[36:37], v[24:25]
	v_fmac_f64_e32 v[48:49], v[20:21], v[34:35]
	v_cvt_f64_f32_e32 v[20:21], v14
	v_cvt_f64_f32_e32 v[14:15], v15
	v_fmac_f64_e32 v[22:23], v[20:21], v[70:71]
	v_fmac_f64_e32 v[52:53], v[14:15], v[70:71]
	v_fma_f64 v[22:23], -v[14:15], v[72:73], v[22:23]
	v_fmac_f64_e32 v[52:53], v[20:21], v[72:73]
	v_cvt_f64_f32_e32 v[14:15], v16
	v_cvt_f64_f32_e32 v[16:17], v17
	v_fmac_f64_e32 v[22:23], v[14:15], v[66:67]
	;; [unrolled: 6-line block ×4, first 2 shown]
	v_fmac_f64_e32 v[52:53], v[12:13], v[34:35]
	v_fmac_f64_e32 v[48:49], v[30:31], v[36:37]
	v_fma_f64 v[78:79], -v[12:13], v[36:37], v[16:17]
	v_fmac_f64_e32 v[52:53], v[10:11], v[36:37]
	global_load_dwordx4 v[10:13], v[56:57], off offset:624
	global_load_dwordx4 v[14:17], v[56:57], off offset:608
	;; [unrolled: 1-line block ×4, first 2 shown]
	global_load_dword v1, v[60:61], off
	s_waitcnt vmcnt(1)
	v_cvt_f64_f32_e32 v[24:25], v30
	v_cvt_f64_f32_e32 v[30:31], v31
	v_fmac_f64_e32 v[28:29], v[24:25], v[70:71]
	v_fmac_f64_e32 v[50:51], v[30:31], v[70:71]
	v_fma_f64 v[28:29], -v[30:31], v[72:73], v[28:29]
	v_fmac_f64_e32 v[50:51], v[24:25], v[72:73]
	v_cvt_f64_f32_e32 v[24:25], v32
	v_cvt_f64_f32_e32 v[30:31], v33
	v_fmac_f64_e32 v[28:29], v[24:25], v[66:67]
	v_fmac_f64_e32 v[50:51], v[30:31], v[66:67]
	v_fma_f64 v[28:29], -v[30:31], v[68:69], v[28:29]
	v_fmac_f64_e32 v[50:51], v[24:25], v[68:69]
	;; [unrolled: 6-line block ×3, first 2 shown]
	v_cvt_f64_f32_e32 v[20:21], v22
	v_cvt_f64_f32_e32 v[22:23], v23
	v_fmac_f64_e32 v[50:51], v[22:23], v[34:35]
	v_fmac_f64_e32 v[28:29], v[20:21], v[34:35]
	;; [unrolled: 1-line block ×3, first 2 shown]
	v_cvt_f64_f32_e32 v[20:21], v14
	v_cvt_f64_f32_e32 v[14:15], v15
	v_fmac_f64_e32 v[26:27], v[20:21], v[70:71]
	v_fmac_f64_e32 v[46:47], v[14:15], v[70:71]
	v_fma_f64 v[80:81], -v[22:23], v[36:37], v[28:29]
	v_fma_f64 v[22:23], -v[14:15], v[72:73], v[26:27]
	v_fmac_f64_e32 v[46:47], v[20:21], v[72:73]
	v_cvt_f64_f32_e32 v[14:15], v16
	v_cvt_f64_f32_e32 v[16:17], v17
	v_fmac_f64_e32 v[22:23], v[14:15], v[66:67]
	v_fmac_f64_e32 v[46:47], v[16:17], v[66:67]
	v_fma_f64 v[20:21], -v[16:17], v[68:69], v[22:23]
	v_fmac_f64_e32 v[46:47], v[14:15], v[68:69]
	v_cvt_f64_f32_e32 v[14:15], v10
	v_cvt_f64_f32_e32 v[10:11], v11
	v_fmac_f64_e32 v[20:21], v[14:15], v[62:63]
	v_fmac_f64_e32 v[46:47], v[10:11], v[62:63]
	s_waitcnt vmcnt(0)
	v_subrev_u32_e32 v1, s12, v1
	v_fma_f64 v[16:17], -v[10:11], v[64:65], v[20:21]
	v_fmac_f64_e32 v[46:47], v[14:15], v[64:65]
	v_cvt_f64_f32_e32 v[10:11], v12
	v_cvt_f64_f32_e32 v[12:13], v13
	v_lshlrev_b32_e32 v28, 2, v1
	v_fmac_f64_e32 v[16:17], v[10:11], v[34:35]
	v_fmac_f64_e32 v[46:47], v[12:13], v[34:35]
	v_ashrrev_i32_e32 v29, 31, v28
	v_fma_f64 v[64:65], -v[12:13], v[36:37], v[16:17]
	v_fmac_f64_e32 v[46:47], v[10:11], v[36:37]
	global_load_dwordx4 v[10:13], v[56:57], off offset:1072
	global_load_dwordx4 v[14:17], v[56:57], off offset:1056
	;; [unrolled: 1-line block ×4, first 2 shown]
	v_lshl_add_u64 v[62:63], v[28:29], 4, s[4:5]
	global_load_dwordx4 v[28:31], v[62:63], off offset:48
	global_load_dwordx4 v[32:35], v[62:63], off offset:32
	;; [unrolled: 1-line block ×3, first 2 shown]
	global_load_dwordx4 v[74:77], v[62:63], off
	s_waitcnt vmcnt(4)
	v_cvt_f64_f32_e32 v[36:37], v24
	v_cvt_f64_f32_e32 v[24:25], v25
	s_waitcnt vmcnt(0)
	v_fmac_f64_e32 v[18:19], v[36:37], v[74:75]
	v_fmac_f64_e32 v[48:49], v[24:25], v[74:75]
	v_fma_f64 v[18:19], -v[24:25], v[76:77], v[18:19]
	v_fmac_f64_e32 v[48:49], v[36:37], v[76:77]
	v_cvt_f64_f32_e32 v[24:25], v26
	v_cvt_f64_f32_e32 v[26:27], v27
	v_fmac_f64_e32 v[18:19], v[24:25], v[70:71]
	v_fmac_f64_e32 v[48:49], v[26:27], v[70:71]
	v_fma_f64 v[18:19], -v[26:27], v[72:73], v[18:19]
	v_fmac_f64_e32 v[48:49], v[24:25], v[72:73]
	v_cvt_f64_f32_e32 v[24:25], v20
	v_cvt_f64_f32_e32 v[20:21], v21
	v_fmac_f64_e32 v[18:19], v[24:25], v[32:33]
	v_fma_f64 v[18:19], -v[20:21], v[34:35], v[18:19]
	v_fmac_f64_e32 v[48:49], v[20:21], v[32:33]
	v_cvt_f64_f32_e32 v[20:21], v22
	v_cvt_f64_f32_e32 v[22:23], v23
	v_fmac_f64_e32 v[18:19], v[20:21], v[28:29]
	v_fmac_f64_e32 v[48:49], v[24:25], v[34:35]
	v_fma_f64 v[68:69], -v[22:23], v[30:31], v[18:19]
	v_cvt_f64_f32_e32 v[18:19], v14
	v_cvt_f64_f32_e32 v[14:15], v15
	v_fmac_f64_e32 v[48:49], v[22:23], v[28:29]
	v_fmac_f64_e32 v[78:79], v[18:19], v[74:75]
	;; [unrolled: 1-line block ×4, first 2 shown]
	v_fma_f64 v[20:21], -v[14:15], v[76:77], v[78:79]
	v_fmac_f64_e32 v[52:53], v[18:19], v[76:77]
	v_cvt_f64_f32_e32 v[14:15], v16
	v_cvt_f64_f32_e32 v[16:17], v17
	v_fmac_f64_e32 v[20:21], v[14:15], v[70:71]
	v_fmac_f64_e32 v[52:53], v[16:17], v[70:71]
	v_fma_f64 v[18:19], -v[16:17], v[72:73], v[20:21]
	v_fmac_f64_e32 v[52:53], v[14:15], v[72:73]
	v_cvt_f64_f32_e32 v[14:15], v10
	v_cvt_f64_f32_e32 v[10:11], v11
	v_fmac_f64_e32 v[18:19], v[14:15], v[32:33]
	v_fmac_f64_e32 v[52:53], v[10:11], v[32:33]
	;; [unrolled: 6-line block ×3, first 2 shown]
	v_fma_f64 v[62:63], -v[12:13], v[30:31], v[16:17]
	v_fmac_f64_e32 v[52:53], v[10:11], v[30:31]
	global_load_dwordx4 v[10:13], v[56:57], off offset:1136
	global_load_dwordx4 v[14:17], v[56:57], off offset:1120
	;; [unrolled: 1-line block ×4, first 2 shown]
	global_load_dword v1, v[60:61], off offset:16
	v_lshl_add_u64 v[60:61], v[60:61], 0, 64
	s_waitcnt vmcnt(1)
	v_cvt_f64_f32_e32 v[26:27], v22
	v_cvt_f64_f32_e32 v[22:23], v23
	v_fmac_f64_e32 v[80:81], v[26:27], v[74:75]
	v_fmac_f64_e32 v[50:51], v[22:23], v[74:75]
	v_fma_f64 v[36:37], -v[22:23], v[76:77], v[80:81]
	v_fmac_f64_e32 v[50:51], v[26:27], v[76:77]
	v_cvt_f64_f32_e32 v[22:23], v24
	v_cvt_f64_f32_e32 v[24:25], v25
	v_fmac_f64_e32 v[36:37], v[22:23], v[70:71]
	v_fmac_f64_e32 v[50:51], v[24:25], v[70:71]
	v_fma_f64 v[26:27], -v[24:25], v[72:73], v[36:37]
	v_fmac_f64_e32 v[50:51], v[22:23], v[72:73]
	;; [unrolled: 6-line block ×3, first 2 shown]
	v_cvt_f64_f32_e32 v[18:19], v20
	v_cvt_f64_f32_e32 v[20:21], v21
	v_fmac_f64_e32 v[50:51], v[20:21], v[28:29]
	v_fmac_f64_e32 v[24:25], v[18:19], v[28:29]
	;; [unrolled: 1-line block ×3, first 2 shown]
	v_cvt_f64_f32_e32 v[18:19], v14
	v_cvt_f64_f32_e32 v[14:15], v15
	v_fmac_f64_e32 v[64:65], v[18:19], v[74:75]
	v_fmac_f64_e32 v[46:47], v[14:15], v[74:75]
	v_fma_f64 v[66:67], -v[20:21], v[30:31], v[24:25]
	v_fma_f64 v[20:21], -v[14:15], v[76:77], v[64:65]
	v_fmac_f64_e32 v[46:47], v[18:19], v[76:77]
	v_cvt_f64_f32_e32 v[14:15], v16
	v_cvt_f64_f32_e32 v[16:17], v17
	v_fmac_f64_e32 v[20:21], v[14:15], v[70:71]
	v_fmac_f64_e32 v[46:47], v[16:17], v[70:71]
	v_fma_f64 v[18:19], -v[16:17], v[72:73], v[20:21]
	v_fmac_f64_e32 v[46:47], v[14:15], v[72:73]
	v_cvt_f64_f32_e32 v[14:15], v10
	v_cvt_f64_f32_e32 v[10:11], v11
	v_fmac_f64_e32 v[18:19], v[14:15], v[32:33]
	v_fmac_f64_e32 v[46:47], v[10:11], v[32:33]
	s_waitcnt vmcnt(0)
	v_subrev_u32_e32 v1, s12, v1
	v_fma_f64 v[16:17], -v[10:11], v[34:35], v[18:19]
	v_fmac_f64_e32 v[46:47], v[14:15], v[34:35]
	v_cvt_f64_f32_e32 v[10:11], v12
	v_cvt_f64_f32_e32 v[12:13], v13
	v_lshlrev_b32_e32 v22, 2, v1
	v_fmac_f64_e32 v[16:17], v[10:11], v[28:29]
	v_fmac_f64_e32 v[46:47], v[12:13], v[28:29]
	v_ashrrev_i32_e32 v23, 31, v22
	v_fma_f64 v[64:65], -v[12:13], v[30:31], v[16:17]
	v_fmac_f64_e32 v[46:47], v[10:11], v[30:31]
	global_load_dwordx4 v[10:13], v[56:57], off offset:1584
	global_load_dwordx4 v[14:17], v[56:57], off offset:1568
	;; [unrolled: 1-line block ×4, first 2 shown]
	v_lshl_add_u64 v[76:77], v[22:23], 4, s[4:5]
	global_load_dwordx4 v[22:25], v[76:77], off offset:48
	global_load_dwordx4 v[26:29], v[76:77], off offset:32
	;; [unrolled: 1-line block ×3, first 2 shown]
	global_load_dwordx4 v[34:37], v[76:77], off
	s_waitcnt vmcnt(4)
	v_cvt_f64_f32_e32 v[74:75], v70
	v_cvt_f64_f32_e32 v[70:71], v71
	s_waitcnt vmcnt(0)
	v_fmac_f64_e32 v[68:69], v[74:75], v[34:35]
	v_fmac_f64_e32 v[48:49], v[70:71], v[34:35]
	v_fma_f64 v[68:69], -v[70:71], v[36:37], v[68:69]
	v_fmac_f64_e32 v[48:49], v[74:75], v[36:37]
	v_cvt_f64_f32_e32 v[70:71], v72
	v_cvt_f64_f32_e32 v[72:73], v73
	v_fmac_f64_e32 v[68:69], v[70:71], v[30:31]
	v_fmac_f64_e32 v[48:49], v[72:73], v[30:31]
	v_fma_f64 v[68:69], -v[72:73], v[32:33], v[68:69]
	v_fmac_f64_e32 v[48:49], v[70:71], v[32:33]
	v_cvt_f64_f32_e32 v[70:71], v18
	v_cvt_f64_f32_e32 v[18:19], v19
	;; [unrolled: 6-line block ×3, first 2 shown]
	v_fmac_f64_e32 v[68:69], v[70:71], v[22:23]
	v_fma_f64 v[18:19], -v[20:21], v[24:25], v[68:69]
	v_fmac_f64_e32 v[48:49], v[20:21], v[22:23]
	v_cvt_f64_f32_e32 v[20:21], v14
	v_cvt_f64_f32_e32 v[14:15], v15
	v_fmac_f64_e32 v[62:63], v[20:21], v[34:35]
	v_fmac_f64_e32 v[52:53], v[14:15], v[34:35]
	v_fma_f64 v[62:63], -v[14:15], v[36:37], v[62:63]
	v_fmac_f64_e32 v[52:53], v[20:21], v[36:37]
	v_cvt_f64_f32_e32 v[14:15], v16
	v_cvt_f64_f32_e32 v[16:17], v17
	v_fmac_f64_e32 v[62:63], v[14:15], v[30:31]
	v_fmac_f64_e32 v[52:53], v[16:17], v[30:31]
	v_fma_f64 v[20:21], -v[16:17], v[32:33], v[62:63]
	v_fmac_f64_e32 v[52:53], v[14:15], v[32:33]
	v_cvt_f64_f32_e32 v[14:15], v10
	v_cvt_f64_f32_e32 v[10:11], v11
	v_fmac_f64_e32 v[20:21], v[14:15], v[26:27]
	v_fmac_f64_e32 v[52:53], v[10:11], v[26:27]
	v_fma_f64 v[16:17], -v[10:11], v[28:29], v[20:21]
	v_fmac_f64_e32 v[52:53], v[14:15], v[28:29]
	v_cvt_f64_f32_e32 v[10:11], v12
	v_cvt_f64_f32_e32 v[12:13], v13
	v_fmac_f64_e32 v[16:17], v[10:11], v[22:23]
	v_fmac_f64_e32 v[52:53], v[12:13], v[22:23]
	v_fmac_f64_e32 v[48:49], v[70:71], v[24:25]
	v_fma_f64 v[62:63], -v[12:13], v[24:25], v[16:17]
	v_fmac_f64_e32 v[52:53], v[10:11], v[24:25]
	global_load_dwordx4 v[10:13], v[56:57], off offset:1648
	global_load_dwordx4 v[14:17], v[56:57], off offset:1632
	;; [unrolled: 1-line block ×4, first 2 shown]
	v_lshl_add_u64 v[56:57], v[56:57], 0, s[16:17]
	s_waitcnt vmcnt(0)
	v_cvt_f64_f32_e32 v[20:21], v72
	v_cvt_f64_f32_e32 v[72:73], v73
	v_fmac_f64_e32 v[66:67], v[20:21], v[34:35]
	v_fmac_f64_e32 v[50:51], v[72:73], v[34:35]
	v_fma_f64 v[66:67], -v[72:73], v[36:37], v[66:67]
	v_fmac_f64_e32 v[50:51], v[20:21], v[36:37]
	v_cvt_f64_f32_e32 v[20:21], v74
	v_cvt_f64_f32_e32 v[72:73], v75
	v_fmac_f64_e32 v[66:67], v[20:21], v[30:31]
	v_fmac_f64_e32 v[50:51], v[72:73], v[30:31]
	v_fma_f64 v[66:67], -v[72:73], v[32:33], v[66:67]
	v_fmac_f64_e32 v[50:51], v[20:21], v[32:33]
	v_cvt_f64_f32_e32 v[20:21], v68
	v_cvt_f64_f32_e32 v[68:69], v69
	v_fmac_f64_e32 v[66:67], v[20:21], v[26:27]
	v_fma_f64 v[66:67], -v[68:69], v[28:29], v[66:67]
	v_fmac_f64_e32 v[50:51], v[68:69], v[26:27]
	v_cvt_f64_f32_e32 v[68:69], v70
	v_cvt_f64_f32_e32 v[70:71], v71
	v_fmac_f64_e32 v[66:67], v[68:69], v[22:23]
	v_fmac_f64_e32 v[50:51], v[20:21], v[28:29]
	v_fma_f64 v[20:21], -v[70:71], v[24:25], v[66:67]
	v_cvt_f64_f32_e32 v[66:67], v14
	v_cvt_f64_f32_e32 v[14:15], v15
	v_fmac_f64_e32 v[64:65], v[66:67], v[34:35]
	v_fmac_f64_e32 v[46:47], v[14:15], v[34:35]
	v_fma_f64 v[64:65], -v[14:15], v[36:37], v[64:65]
	v_fmac_f64_e32 v[46:47], v[66:67], v[36:37]
	v_cvt_f64_f32_e32 v[14:15], v16
	v_cvt_f64_f32_e32 v[16:17], v17
	v_fmac_f64_e32 v[64:65], v[14:15], v[30:31]
	v_fmac_f64_e32 v[46:47], v[16:17], v[30:31]
	v_fma_f64 v[34:35], -v[16:17], v[32:33], v[64:65]
	v_fmac_f64_e32 v[46:47], v[14:15], v[32:33]
	;; [unrolled: 6-line block ×3, first 2 shown]
	v_cvt_f64_f32_e32 v[10:11], v12
	v_cvt_f64_f32_e32 v[12:13], v13
	v_fmac_f64_e32 v[50:51], v[70:71], v[22:23]
	v_fmac_f64_e32 v[16:17], v[10:11], v[22:23]
	;; [unrolled: 1-line block ×4, first 2 shown]
	v_fma_f64 v[26:27], -v[12:13], v[24:25], v[16:17]
	v_fmac_f64_e32 v[46:47], v[10:11], v[24:25]
	s_andn2_b64 exec, exec, s[14:15]
	s_cbranch_execnz .LBB170_19
; %bb.20:
	s_or_b64 exec, exec, s[14:15]
.LBB170_21:
	s_or_b64 exec, exec, s[10:11]
.LBB170_22:
	s_or_b64 exec, exec, s[6:7]
	s_cbranch_execz .LBB170_24
	s_branch .LBB170_35
.LBB170_23:
                                        ; implicit-def: $vgpr48_vgpr49
                                        ; implicit-def: $vgpr18_vgpr19
                                        ; implicit-def: $vgpr52_vgpr53
                                        ; implicit-def: $vgpr62_vgpr63
                                        ; implicit-def: $vgpr50_vgpr51
                                        ; implicit-def: $vgpr20_vgpr21
                                        ; implicit-def: $vgpr46_vgpr47
                                        ; implicit-def: $vgpr26_vgpr27
.LBB170_24:
	v_mov_b64_e32 v[48:49], 0
	v_mov_b64_e32 v[18:19], 0
	;; [unrolled: 1-line block ×8, first 2 shown]
	s_and_saveexec_b64 s[6:7], s[2:3]
	s_cbranch_execz .LBB170_34
; %bb.25:
	v_or_b32_e32 v1, 4, v0
	v_subrev_co_u32_e32 v10, vcc, s12, v1
	v_not_b32_e32 v13, v55
	s_nop 0
	v_subb_co_u32_e64 v11, s[2:3], 0, 0, vcc
	v_lshl_add_u64 v[10:11], v[10:11], 0, v[54:55]
	v_cmp_gt_i64_e32 vcc, v[10:11], v[42:43]
	v_not_b32_e32 v12, v54
	v_mov_b64_e32 v[26:27], 0
	v_cndmask_b32_e32 v11, v43, v11, vcc
	v_cndmask_b32_e32 v10, v42, v10, vcc
	v_sub_co_u32_e32 v14, vcc, s12, v0
	v_mov_b64_e32 v[46:47], 0
	s_nop 0
	v_subb_co_u32_e64 v15, s[2:3], 0, 0, vcc
	v_lshl_add_u64 v[12:13], v[14:15], 0, v[12:13]
	v_lshl_add_u64 v[10:11], v[12:13], 0, v[10:11]
	v_and_b32_e32 v12, 12, v10
	v_mov_b32_e32 v13, 0
	v_cmp_ne_u64_e32 vcc, 12, v[12:13]
	v_mov_b64_e32 v[20:21], 0
	v_mov_b64_e32 v[50:51], 0
	;; [unrolled: 1-line block ×6, first 2 shown]
	s_and_saveexec_b64 s[2:3], vcc
	s_cbranch_execz .LBB170_29
; %bb.26:
	v_lshrrev_b32_e32 v1, 2, v10
	v_add_u32_e32 v1, 1, v1
	v_and_b32_e32 v1, 3, v1
	v_sub_co_u32_e32 v14, vcc, 0, v1
	v_lshl_add_u64 v[12:13], v[40:41], 2, s[8:9]
	s_nop 0
	v_subb_co_u32_e64 v15, s[14:15], 0, 0, vcc
	s_mov_b64 s[10:11], 0
	v_mov_b64_e32 v[48:49], 0
	s_mov_b64 s[14:15], 0x200
	v_mov_b64_e32 v[18:19], 0
	v_mov_b64_e32 v[52:53], 0
	;; [unrolled: 1-line block ×7, first 2 shown]
.LBB170_27:                             ; =>This Inner Loop Header: Depth=1
	global_load_dword v1, v[12:13], off
	global_load_dwordx4 v[22:25], v[44:45], off
	global_load_dwordx4 v[28:31], v[44:45], off offset:16
	global_load_dwordx4 v[32:35], v[44:45], off offset:32
	global_load_dwordx4 v[54:57], v[44:45], off offset:48
	global_load_dwordx4 v[58:61], v[44:45], off offset:64
	global_load_dwordx4 v[64:67], v[44:45], off offset:80
	global_load_dwordx4 v[68:71], v[44:45], off offset:96
	global_load_dwordx4 v[72:75], v[44:45], off offset:112
	v_lshl_add_u64 v[14:15], v[14:15], 0, 1
	v_cmp_eq_u64_e32 vcc, 0, v[14:15]
	v_lshl_add_u64 v[44:45], v[44:45], 0, s[14:15]
	v_lshl_add_u64 v[40:41], v[40:41], 0, 4
	;; [unrolled: 1-line block ×3, first 2 shown]
	s_or_b64 s[10:11], vcc, s[10:11]
	s_waitcnt vmcnt(8)
	v_subrev_u32_e32 v1, s12, v1
	s_waitcnt vmcnt(7)
	v_cvt_f64_f32_e32 v[16:17], v22
	v_lshlrev_b32_e32 v22, 2, v1
	v_cvt_f64_f32_e32 v[36:37], v23
	v_ashrrev_i32_e32 v23, 31, v22
	s_waitcnt lgkmcnt(0)
	v_lshl_add_u64 v[104:105], v[22:23], 4, s[4:5]
	v_cvt_f64_f32_e32 v[80:81], v24
	v_cvt_f64_f32_e32 v[82:83], v25
	s_waitcnt vmcnt(6)
	v_cvt_f64_f32_e32 v[84:85], v28
	v_cvt_f64_f32_e32 v[86:87], v29
	;; [unrolled: 1-line block ×4, first 2 shown]
	s_waitcnt vmcnt(5)
	v_cvt_f64_f32_e32 v[92:93], v32
	v_cvt_f64_f32_e32 v[94:95], v33
	;; [unrolled: 1-line block ×4, first 2 shown]
	global_load_dwordx4 v[22:25], v[104:105], off
	global_load_dwordx4 v[28:31], v[104:105], off offset:16
	global_load_dwordx4 v[32:35], v[104:105], off offset:32
	;; [unrolled: 1-line block ×3, first 2 shown]
	s_waitcnt vmcnt(8)
	v_cvt_f64_f32_e32 v[100:101], v54
	v_cvt_f64_f32_e32 v[54:55], v55
	v_cvt_f64_f32_e32 v[102:103], v56
	v_cvt_f64_f32_e32 v[56:57], v57
	s_waitcnt vmcnt(7)
	v_cvt_f64_f32_e32 v[104:105], v58
	v_cvt_f64_f32_e32 v[58:59], v59
	v_cvt_f64_f32_e32 v[106:107], v60
	v_cvt_f64_f32_e32 v[60:61], v61
	;; [unrolled: 5-line block ×5, first 2 shown]
	s_waitcnt vmcnt(3)
	v_fmac_f64_e32 v[18:19], v[16:17], v[22:23]
	v_fmac_f64_e32 v[48:49], v[36:37], v[22:23]
	v_fmac_f64_e32 v[62:63], v[80:81], v[22:23]
	v_fmac_f64_e32 v[52:53], v[82:83], v[22:23]
	v_fmac_f64_e32 v[20:21], v[84:85], v[22:23]
	v_fmac_f64_e32 v[50:51], v[86:87], v[22:23]
	v_fmac_f64_e32 v[26:27], v[88:89], v[22:23]
	v_fmac_f64_e32 v[46:47], v[90:91], v[22:23]
	v_fma_f64 v[18:19], -v[36:37], v[24:25], v[18:19]
	v_fmac_f64_e32 v[48:49], v[16:17], v[24:25]
	v_fma_f64 v[16:17], -v[82:83], v[24:25], v[62:63]
	v_fmac_f64_e32 v[52:53], v[80:81], v[24:25]
	v_fma_f64 v[20:21], -v[86:87], v[24:25], v[20:21]
	v_fmac_f64_e32 v[50:51], v[84:85], v[24:25]
	v_fma_f64 v[22:23], -v[90:91], v[24:25], v[26:27]
	v_fmac_f64_e32 v[46:47], v[88:89], v[24:25]
	s_waitcnt vmcnt(2)
	v_fmac_f64_e32 v[18:19], v[92:93], v[28:29]
	v_fmac_f64_e32 v[48:49], v[94:95], v[28:29]
	v_fmac_f64_e32 v[16:17], v[96:97], v[28:29]
	v_fmac_f64_e32 v[52:53], v[98:99], v[28:29]
	v_fmac_f64_e32 v[20:21], v[100:101], v[28:29]
	v_fmac_f64_e32 v[50:51], v[54:55], v[28:29]
	v_fmac_f64_e32 v[22:23], v[102:103], v[28:29]
	v_fmac_f64_e32 v[46:47], v[56:57], v[28:29]
	v_fma_f64 v[18:19], -v[94:95], v[30:31], v[18:19]
	v_fmac_f64_e32 v[48:49], v[92:93], v[30:31]
	v_fma_f64 v[16:17], -v[98:99], v[30:31], v[16:17]
	v_fmac_f64_e32 v[52:53], v[96:97], v[30:31]
	v_fma_f64 v[20:21], -v[54:55], v[30:31], v[20:21]
	v_fmac_f64_e32 v[50:51], v[100:101], v[30:31]
	v_fma_f64 v[22:23], -v[56:57], v[30:31], v[22:23]
	v_fmac_f64_e32 v[46:47], v[102:103], v[30:31]
	;; [unrolled: 17-line block ×4, first 2 shown]
	s_andn2_b64 exec, exec, s[10:11]
	s_cbranch_execnz .LBB170_27
; %bb.28:
	s_or_b64 exec, exec, s[10:11]
.LBB170_29:
	s_or_b64 exec, exec, s[2:3]
	v_cmp_lt_u64_e32 vcc, 11, v[10:11]
	s_and_saveexec_b64 s[2:3], vcc
	s_cbranch_execz .LBB170_33
; %bb.30:
	v_lshl_add_u64 v[10:11], v[40:41], 2, s[8:9]
	v_lshl_add_u64 v[30:31], v[10:11], 0, 32
	s_mov_b64 s[8:9], 0
	s_mov_b64 s[10:11], 0x800
.LBB170_31:                             ; =>This Inner Loop Header: Depth=1
	global_load_dword v1, v[30:31], off offset:-32
	global_load_dwordx4 v[14:17], v[44:45], off offset:48
	global_load_dwordx4 v[22:25], v[44:45], off offset:32
	;; [unrolled: 1-line block ×3, first 2 shown]
	global_load_dwordx4 v[54:57], v[44:45], off
	v_lshl_add_u64 v[40:41], v[40:41], 0, 16
	v_cmp_ge_i64_e32 vcc, v[40:41], v[42:43]
	s_or_b64 s[8:9], vcc, s[8:9]
	s_waitcnt vmcnt(4)
	v_subrev_u32_e32 v1, s12, v1
	v_lshlrev_b32_e32 v10, 2, v1
	v_ashrrev_i32_e32 v11, 31, v10
	s_waitcnt vmcnt(0)
	v_cvt_f64_f32_e32 v[28:29], v54
	v_cvt_f64_f32_e32 v[36:37], v55
	s_waitcnt lgkmcnt(0)
	v_lshl_add_u64 v[54:55], v[10:11], 4, s[4:5]
	global_load_dwordx4 v[10:13], v[54:55], off offset:48
	global_load_dwordx4 v[58:61], v[54:55], off offset:32
	global_load_dwordx4 v[64:67], v[54:55], off offset:16
	global_load_dwordx4 v[68:71], v[54:55], off
	s_waitcnt vmcnt(0)
	v_fmac_f64_e32 v[18:19], v[28:29], v[68:69]
	v_fma_f64 v[18:19], -v[36:37], v[70:71], v[18:19]
	v_fmac_f64_e32 v[48:49], v[36:37], v[68:69]
	v_cvt_f64_f32_e32 v[36:37], v57
	v_fmac_f64_e32 v[48:49], v[28:29], v[70:71]
	v_cvt_f64_f32_e32 v[28:29], v56
	v_fmac_f64_e32 v[52:53], v[36:37], v[68:69]
	v_fmac_f64_e32 v[62:63], v[28:29], v[68:69]
	;; [unrolled: 1-line block ×3, first 2 shown]
	v_cvt_f64_f32_e32 v[28:29], v32
	v_cvt_f64_f32_e32 v[32:33], v33
	v_fmac_f64_e32 v[20:21], v[28:29], v[68:69]
	v_fma_f64 v[20:21], -v[32:33], v[70:71], v[20:21]
	v_fmac_f64_e32 v[50:51], v[32:33], v[68:69]
	v_cvt_f64_f32_e32 v[32:33], v35
	v_fmac_f64_e32 v[50:51], v[28:29], v[70:71]
	v_cvt_f64_f32_e32 v[28:29], v34
	v_fmac_f64_e32 v[46:47], v[32:33], v[68:69]
	v_fmac_f64_e32 v[26:27], v[28:29], v[68:69]
	;; [unrolled: 1-line block ×3, first 2 shown]
	v_cvt_f64_f32_e32 v[28:29], v22
	v_cvt_f64_f32_e32 v[22:23], v23
	v_fmac_f64_e32 v[18:19], v[28:29], v[64:65]
	v_fma_f64 v[26:27], -v[32:33], v[70:71], v[26:27]
	v_fma_f64 v[32:33], -v[22:23], v[66:67], v[18:19]
	v_fmac_f64_e32 v[48:49], v[22:23], v[64:65]
	v_cvt_f64_f32_e32 v[22:23], v25
	v_fma_f64 v[54:55], -v[36:37], v[70:71], v[62:63]
	v_cvt_f64_f32_e32 v[18:19], v24
	v_fmac_f64_e32 v[52:53], v[22:23], v[64:65]
	v_fmac_f64_e32 v[54:55], v[18:19], v[64:65]
	;; [unrolled: 1-line block ×3, first 2 shown]
	v_cvt_f64_f32_e32 v[18:19], v14
	v_cvt_f64_f32_e32 v[14:15], v15
	v_fmac_f64_e32 v[20:21], v[18:19], v[64:65]
	v_fma_f64 v[36:37], -v[14:15], v[66:67], v[20:21]
	v_fmac_f64_e32 v[50:51], v[14:15], v[64:65]
	v_cvt_f64_f32_e32 v[14:15], v16
	v_cvt_f64_f32_e32 v[16:17], v17
	v_fmac_f64_e32 v[26:27], v[14:15], v[64:65]
	v_fmac_f64_e32 v[46:47], v[16:17], v[64:65]
	;; [unrolled: 1-line block ×3, first 2 shown]
	v_fma_f64 v[34:35], -v[22:23], v[66:67], v[54:55]
	v_fmac_f64_e32 v[50:51], v[18:19], v[66:67]
	v_fma_f64 v[54:55], -v[16:17], v[66:67], v[26:27]
	v_fmac_f64_e32 v[46:47], v[14:15], v[66:67]
	global_load_dwordx4 v[14:17], v[44:45], off offset:112
	global_load_dwordx4 v[18:21], v[44:45], off offset:96
	;; [unrolled: 1-line block ×4, first 2 shown]
	global_load_dword v1, v[30:31], off offset:-16
	s_waitcnt vmcnt(1)
	v_cvt_f64_f32_e32 v[56:57], v26
	v_cvt_f64_f32_e32 v[26:27], v27
	v_fmac_f64_e32 v[32:33], v[56:57], v[58:59]
	v_fma_f64 v[32:33], -v[26:27], v[60:61], v[32:33]
	v_fmac_f64_e32 v[48:49], v[26:27], v[58:59]
	v_cvt_f64_f32_e32 v[26:27], v28
	v_cvt_f64_f32_e32 v[28:29], v29
	v_fmac_f64_e32 v[52:53], v[28:29], v[58:59]
	v_fmac_f64_e32 v[34:35], v[26:27], v[58:59]
	;; [unrolled: 1-line block ×3, first 2 shown]
	v_cvt_f64_f32_e32 v[26:27], v22
	v_cvt_f64_f32_e32 v[22:23], v23
	v_fmac_f64_e32 v[36:37], v[26:27], v[58:59]
	v_fma_f64 v[34:35], -v[28:29], v[60:61], v[34:35]
	v_fma_f64 v[28:29], -v[22:23], v[60:61], v[36:37]
	v_fmac_f64_e32 v[50:51], v[22:23], v[58:59]
	v_cvt_f64_f32_e32 v[22:23], v24
	v_cvt_f64_f32_e32 v[24:25], v25
	v_fmac_f64_e32 v[46:47], v[24:25], v[58:59]
	v_fmac_f64_e32 v[54:55], v[22:23], v[58:59]
	;; [unrolled: 1-line block ×3, first 2 shown]
	v_cvt_f64_f32_e32 v[22:23], v18
	v_fmac_f64_e32 v[48:49], v[56:57], v[60:61]
	v_cvt_f64_f32_e32 v[18:19], v19
	v_fmac_f64_e32 v[32:33], v[22:23], v[10:11]
	v_fma_f64 v[70:71], -v[18:19], v[12:13], v[32:33]
	v_fmac_f64_e32 v[48:49], v[18:19], v[10:11]
	v_cvt_f64_f32_e32 v[18:19], v20
	v_cvt_f64_f32_e32 v[20:21], v21
	v_fmac_f64_e32 v[52:53], v[20:21], v[10:11]
	v_fmac_f64_e32 v[34:35], v[18:19], v[10:11]
	;; [unrolled: 1-line block ×3, first 2 shown]
	v_cvt_f64_f32_e32 v[18:19], v14
	v_fmac_f64_e32 v[50:51], v[26:27], v[60:61]
	v_cvt_f64_f32_e32 v[14:15], v15
	v_fmac_f64_e32 v[28:29], v[18:19], v[10:11]
	s_waitcnt vmcnt(0)
	v_subrev_u32_e32 v1, s12, v1
	v_fma_f64 v[36:37], -v[24:25], v[60:61], v[54:55]
	v_fma_f64 v[24:25], -v[14:15], v[12:13], v[28:29]
	v_fmac_f64_e32 v[50:51], v[14:15], v[10:11]
	v_cvt_f64_f32_e32 v[14:15], v16
	v_cvt_f64_f32_e32 v[16:17], v17
	v_lshlrev_b32_e32 v28, 2, v1
	v_fmac_f64_e32 v[36:37], v[14:15], v[10:11]
	v_fmac_f64_e32 v[46:47], v[16:17], v[10:11]
	v_ashrrev_i32_e32 v29, 31, v28
	v_fmac_f64_e32 v[48:49], v[22:23], v[12:13]
	v_fma_f64 v[26:27], -v[20:21], v[12:13], v[34:35]
	v_fmac_f64_e32 v[50:51], v[18:19], v[12:13]
	v_fma_f64 v[22:23], -v[16:17], v[12:13], v[36:37]
	v_fmac_f64_e32 v[46:47], v[14:15], v[12:13]
	global_load_dwordx4 v[10:13], v[44:45], off offset:560
	global_load_dwordx4 v[14:17], v[44:45], off offset:544
	;; [unrolled: 1-line block ×4, first 2 shown]
	v_lshl_add_u64 v[28:29], v[28:29], 4, s[4:5]
	global_load_dwordx4 v[54:57], v[28:29], off offset:48
	global_load_dwordx4 v[58:61], v[28:29], off offset:32
	;; [unrolled: 1-line block ×3, first 2 shown]
	global_load_dwordx4 v[66:69], v[28:29], off
	s_waitcnt vmcnt(4)
	v_cvt_f64_f32_e32 v[36:37], v32
	v_cvt_f64_f32_e32 v[32:33], v33
	s_waitcnt vmcnt(0)
	v_fmac_f64_e32 v[70:71], v[36:37], v[66:67]
	v_fma_f64 v[28:29], -v[32:33], v[68:69], v[70:71]
	v_fmac_f64_e32 v[48:49], v[32:33], v[66:67]
	v_cvt_f64_f32_e32 v[32:33], v34
	v_cvt_f64_f32_e32 v[34:35], v35
	v_fmac_f64_e32 v[52:53], v[34:35], v[66:67]
	v_fmac_f64_e32 v[26:27], v[32:33], v[66:67]
	v_fmac_f64_e32 v[52:53], v[32:33], v[68:69]
	v_cvt_f64_f32_e32 v[32:33], v18
	v_cvt_f64_f32_e32 v[18:19], v19
	v_fmac_f64_e32 v[24:25], v[32:33], v[66:67]
	v_fma_f64 v[24:25], -v[18:19], v[68:69], v[24:25]
	v_fmac_f64_e32 v[50:51], v[18:19], v[66:67]
	v_cvt_f64_f32_e32 v[18:19], v20
	v_cvt_f64_f32_e32 v[20:21], v21
	v_fmac_f64_e32 v[46:47], v[20:21], v[66:67]
	v_fmac_f64_e32 v[22:23], v[18:19], v[66:67]
	;; [unrolled: 1-line block ×3, first 2 shown]
	v_cvt_f64_f32_e32 v[18:19], v14
	v_fmac_f64_e32 v[48:49], v[36:37], v[68:69]
	v_cvt_f64_f32_e32 v[14:15], v15
	v_fmac_f64_e32 v[28:29], v[18:19], v[62:63]
	v_fma_f64 v[28:29], -v[14:15], v[64:65], v[28:29]
	v_fmac_f64_e32 v[48:49], v[14:15], v[62:63]
	v_cvt_f64_f32_e32 v[14:15], v16
	v_cvt_f64_f32_e32 v[16:17], v17
	v_fma_f64 v[26:27], -v[34:35], v[68:69], v[26:27]
	v_fmac_f64_e32 v[52:53], v[16:17], v[62:63]
	v_fmac_f64_e32 v[26:27], v[14:15], v[62:63]
	;; [unrolled: 1-line block ×3, first 2 shown]
	v_cvt_f64_f32_e32 v[14:15], v10
	v_fmac_f64_e32 v[50:51], v[32:33], v[68:69]
	v_cvt_f64_f32_e32 v[10:11], v11
	v_fmac_f64_e32 v[24:25], v[14:15], v[62:63]
	v_fma_f64 v[22:23], -v[20:21], v[68:69], v[22:23]
	v_fma_f64 v[32:33], -v[10:11], v[64:65], v[24:25]
	v_fmac_f64_e32 v[50:51], v[10:11], v[62:63]
	v_cvt_f64_f32_e32 v[10:11], v12
	v_cvt_f64_f32_e32 v[12:13], v13
	v_fmac_f64_e32 v[22:23], v[10:11], v[62:63]
	v_fmac_f64_e32 v[46:47], v[12:13], v[62:63]
	;; [unrolled: 1-line block ×3, first 2 shown]
	v_fma_f64 v[26:27], -v[16:17], v[64:65], v[26:27]
	v_fmac_f64_e32 v[50:51], v[14:15], v[64:65]
	v_fma_f64 v[34:35], -v[12:13], v[64:65], v[22:23]
	v_fmac_f64_e32 v[46:47], v[10:11], v[64:65]
	global_load_dwordx4 v[10:13], v[44:45], off offset:624
	global_load_dwordx4 v[14:17], v[44:45], off offset:608
	;; [unrolled: 1-line block ×4, first 2 shown]
	global_load_dword v1, v[30:31], off
	s_waitcnt vmcnt(1)
	v_cvt_f64_f32_e32 v[36:37], v22
	v_cvt_f64_f32_e32 v[22:23], v23
	v_fmac_f64_e32 v[28:29], v[36:37], v[58:59]
	v_fma_f64 v[28:29], -v[22:23], v[60:61], v[28:29]
	v_fmac_f64_e32 v[48:49], v[22:23], v[58:59]
	v_cvt_f64_f32_e32 v[22:23], v24
	v_cvt_f64_f32_e32 v[24:25], v25
	v_fmac_f64_e32 v[52:53], v[24:25], v[58:59]
	v_fmac_f64_e32 v[26:27], v[22:23], v[58:59]
	;; [unrolled: 1-line block ×3, first 2 shown]
	v_cvt_f64_f32_e32 v[22:23], v18
	v_cvt_f64_f32_e32 v[18:19], v19
	v_fmac_f64_e32 v[32:33], v[22:23], v[58:59]
	v_fma_f64 v[26:27], -v[24:25], v[60:61], v[26:27]
	v_fma_f64 v[24:25], -v[18:19], v[60:61], v[32:33]
	v_fmac_f64_e32 v[50:51], v[18:19], v[58:59]
	v_cvt_f64_f32_e32 v[18:19], v20
	v_cvt_f64_f32_e32 v[20:21], v21
	v_fmac_f64_e32 v[46:47], v[20:21], v[58:59]
	v_fmac_f64_e32 v[34:35], v[18:19], v[58:59]
	;; [unrolled: 1-line block ×3, first 2 shown]
	v_cvt_f64_f32_e32 v[18:19], v14
	v_fmac_f64_e32 v[48:49], v[36:37], v[60:61]
	v_cvt_f64_f32_e32 v[14:15], v15
	v_fmac_f64_e32 v[28:29], v[18:19], v[54:55]
	v_fma_f64 v[36:37], -v[14:15], v[56:57], v[28:29]
	v_fmac_f64_e32 v[48:49], v[14:15], v[54:55]
	v_cvt_f64_f32_e32 v[14:15], v16
	v_cvt_f64_f32_e32 v[16:17], v17
	v_fmac_f64_e32 v[52:53], v[16:17], v[54:55]
	v_fmac_f64_e32 v[26:27], v[14:15], v[54:55]
	;; [unrolled: 1-line block ×3, first 2 shown]
	v_cvt_f64_f32_e32 v[14:15], v10
	v_fmac_f64_e32 v[50:51], v[22:23], v[60:61]
	v_cvt_f64_f32_e32 v[10:11], v11
	v_fmac_f64_e32 v[24:25], v[14:15], v[54:55]
	s_waitcnt vmcnt(0)
	v_subrev_u32_e32 v1, s12, v1
	v_fma_f64 v[22:23], -v[20:21], v[60:61], v[34:35]
	v_fma_f64 v[62:63], -v[16:17], v[56:57], v[26:27]
	;; [unrolled: 1-line block ×3, first 2 shown]
	v_fmac_f64_e32 v[50:51], v[10:11], v[54:55]
	v_cvt_f64_f32_e32 v[10:11], v12
	v_cvt_f64_f32_e32 v[12:13], v13
	v_lshlrev_b32_e32 v26, 2, v1
	v_fmac_f64_e32 v[22:23], v[10:11], v[54:55]
	v_fmac_f64_e32 v[46:47], v[12:13], v[54:55]
	v_ashrrev_i32_e32 v27, 31, v26
	v_fmac_f64_e32 v[48:49], v[18:19], v[56:57]
	v_fmac_f64_e32 v[50:51], v[14:15], v[56:57]
	v_fma_f64 v[66:67], -v[12:13], v[56:57], v[22:23]
	v_fmac_f64_e32 v[46:47], v[10:11], v[56:57]
	global_load_dwordx4 v[10:13], v[44:45], off offset:1072
	global_load_dwordx4 v[14:17], v[44:45], off offset:1056
	;; [unrolled: 1-line block ×4, first 2 shown]
	v_lshl_add_u64 v[70:71], v[26:27], 4, s[4:5]
	global_load_dwordx4 v[26:29], v[70:71], off offset:48
	global_load_dwordx4 v[32:35], v[70:71], off offset:32
	;; [unrolled: 1-line block ×3, first 2 shown]
	global_load_dwordx4 v[58:61], v[70:71], off
	s_waitcnt vmcnt(4)
	v_cvt_f64_f32_e32 v[68:69], v22
	v_cvt_f64_f32_e32 v[22:23], v23
	s_waitcnt vmcnt(0)
	v_fmac_f64_e32 v[36:37], v[68:69], v[58:59]
	v_fma_f64 v[36:37], -v[22:23], v[60:61], v[36:37]
	v_fmac_f64_e32 v[48:49], v[22:23], v[58:59]
	v_cvt_f64_f32_e32 v[22:23], v24
	v_cvt_f64_f32_e32 v[24:25], v25
	v_fmac_f64_e32 v[52:53], v[24:25], v[58:59]
	v_fmac_f64_e32 v[62:63], v[22:23], v[58:59]
	;; [unrolled: 1-line block ×3, first 2 shown]
	v_cvt_f64_f32_e32 v[22:23], v18
	v_cvt_f64_f32_e32 v[18:19], v19
	v_fmac_f64_e32 v[64:65], v[22:23], v[58:59]
	v_fma_f64 v[62:63], -v[24:25], v[60:61], v[62:63]
	v_fma_f64 v[24:25], -v[18:19], v[60:61], v[64:65]
	v_fmac_f64_e32 v[50:51], v[18:19], v[58:59]
	v_cvt_f64_f32_e32 v[18:19], v20
	v_cvt_f64_f32_e32 v[20:21], v21
	v_fmac_f64_e32 v[46:47], v[20:21], v[58:59]
	v_fmac_f64_e32 v[66:67], v[18:19], v[58:59]
	;; [unrolled: 1-line block ×3, first 2 shown]
	v_cvt_f64_f32_e32 v[18:19], v14
	v_fmac_f64_e32 v[48:49], v[68:69], v[60:61]
	v_cvt_f64_f32_e32 v[14:15], v15
	v_fmac_f64_e32 v[36:37], v[18:19], v[54:55]
	v_fma_f64 v[36:37], -v[14:15], v[56:57], v[36:37]
	v_fmac_f64_e32 v[48:49], v[14:15], v[54:55]
	v_cvt_f64_f32_e32 v[14:15], v16
	v_cvt_f64_f32_e32 v[16:17], v17
	v_fmac_f64_e32 v[52:53], v[16:17], v[54:55]
	v_fmac_f64_e32 v[62:63], v[14:15], v[54:55]
	;; [unrolled: 1-line block ×3, first 2 shown]
	v_cvt_f64_f32_e32 v[14:15], v10
	v_fmac_f64_e32 v[50:51], v[22:23], v[60:61]
	v_cvt_f64_f32_e32 v[10:11], v11
	v_fmac_f64_e32 v[24:25], v[14:15], v[54:55]
	v_fma_f64 v[22:23], -v[20:21], v[60:61], v[66:67]
	v_fma_f64 v[60:61], -v[10:11], v[56:57], v[24:25]
	v_fmac_f64_e32 v[50:51], v[10:11], v[54:55]
	v_cvt_f64_f32_e32 v[10:11], v12
	v_cvt_f64_f32_e32 v[12:13], v13
	v_fmac_f64_e32 v[22:23], v[10:11], v[54:55]
	v_fmac_f64_e32 v[46:47], v[12:13], v[54:55]
	;; [unrolled: 1-line block ×3, first 2 shown]
	v_fma_f64 v[58:59], -v[16:17], v[56:57], v[62:63]
	v_fmac_f64_e32 v[50:51], v[14:15], v[56:57]
	v_fma_f64 v[62:63], -v[12:13], v[56:57], v[22:23]
	v_fmac_f64_e32 v[46:47], v[10:11], v[56:57]
	global_load_dwordx4 v[10:13], v[44:45], off offset:1136
	global_load_dwordx4 v[14:17], v[44:45], off offset:1120
	;; [unrolled: 1-line block ×4, first 2 shown]
	global_load_dword v1, v[30:31], off offset:16
	v_lshl_add_u64 v[30:31], v[30:31], 0, 64
	s_waitcnt vmcnt(1)
	v_cvt_f64_f32_e32 v[54:55], v22
	v_cvt_f64_f32_e32 v[22:23], v23
	v_fmac_f64_e32 v[36:37], v[54:55], v[32:33]
	v_fma_f64 v[36:37], -v[22:23], v[34:35], v[36:37]
	v_fmac_f64_e32 v[48:49], v[22:23], v[32:33]
	v_cvt_f64_f32_e32 v[22:23], v24
	v_cvt_f64_f32_e32 v[24:25], v25
	v_fmac_f64_e32 v[52:53], v[24:25], v[32:33]
	v_fmac_f64_e32 v[58:59], v[22:23], v[32:33]
	;; [unrolled: 1-line block ×3, first 2 shown]
	v_cvt_f64_f32_e32 v[22:23], v18
	v_cvt_f64_f32_e32 v[18:19], v19
	v_fmac_f64_e32 v[60:61], v[22:23], v[32:33]
	v_fma_f64 v[56:57], -v[24:25], v[34:35], v[58:59]
	v_fma_f64 v[24:25], -v[18:19], v[34:35], v[60:61]
	v_fmac_f64_e32 v[50:51], v[18:19], v[32:33]
	v_cvt_f64_f32_e32 v[18:19], v20
	v_cvt_f64_f32_e32 v[20:21], v21
	v_fmac_f64_e32 v[46:47], v[20:21], v[32:33]
	v_fmac_f64_e32 v[62:63], v[18:19], v[32:33]
	v_fmac_f64_e32 v[46:47], v[18:19], v[34:35]
	v_cvt_f64_f32_e32 v[18:19], v14
	v_fmac_f64_e32 v[48:49], v[54:55], v[34:35]
	v_cvt_f64_f32_e32 v[14:15], v15
	v_fmac_f64_e32 v[36:37], v[18:19], v[26:27]
	v_fma_f64 v[54:55], -v[14:15], v[28:29], v[36:37]
	v_fmac_f64_e32 v[48:49], v[14:15], v[26:27]
	v_cvt_f64_f32_e32 v[14:15], v16
	v_cvt_f64_f32_e32 v[16:17], v17
	v_fmac_f64_e32 v[52:53], v[16:17], v[26:27]
	v_fmac_f64_e32 v[56:57], v[14:15], v[26:27]
	;; [unrolled: 1-line block ×3, first 2 shown]
	v_cvt_f64_f32_e32 v[14:15], v10
	v_fmac_f64_e32 v[50:51], v[22:23], v[34:35]
	v_cvt_f64_f32_e32 v[10:11], v11
	v_fmac_f64_e32 v[24:25], v[14:15], v[26:27]
	v_fma_f64 v[22:23], -v[20:21], v[34:35], v[62:63]
	v_fma_f64 v[34:35], -v[10:11], v[28:29], v[24:25]
	v_fmac_f64_e32 v[50:51], v[10:11], v[26:27]
	v_cvt_f64_f32_e32 v[10:11], v12
	v_cvt_f64_f32_e32 v[12:13], v13
	v_fmac_f64_e32 v[22:23], v[10:11], v[26:27]
	s_waitcnt vmcnt(0)
	v_subrev_u32_e32 v1, s12, v1
	v_fma_f64 v[32:33], -v[12:13], v[28:29], v[22:23]
	v_lshlrev_b32_e32 v22, 2, v1
	v_fmac_f64_e32 v[46:47], v[12:13], v[26:27]
	v_ashrrev_i32_e32 v23, 31, v22
	v_fmac_f64_e32 v[48:49], v[18:19], v[28:29]
	v_fma_f64 v[36:37], -v[16:17], v[28:29], v[56:57]
	v_fmac_f64_e32 v[50:51], v[14:15], v[28:29]
	v_fmac_f64_e32 v[46:47], v[10:11], v[28:29]
	global_load_dwordx4 v[10:13], v[44:45], off offset:1584
	global_load_dwordx4 v[14:17], v[44:45], off offset:1568
	;; [unrolled: 1-line block ×4, first 2 shown]
	v_lshl_add_u64 v[70:71], v[22:23], 4, s[4:5]
	global_load_dwordx4 v[22:25], v[70:71], off offset:48
	global_load_dwordx4 v[26:29], v[70:71], off offset:32
	global_load_dwordx4 v[60:63], v[70:71], off offset:16
	global_load_dwordx4 v[64:67], v[70:71], off
	s_waitcnt vmcnt(4)
	v_cvt_f64_f32_e32 v[68:69], v56
	v_cvt_f64_f32_e32 v[56:57], v57
	s_waitcnt vmcnt(0)
	v_fmac_f64_e32 v[54:55], v[68:69], v[64:65]
	v_fma_f64 v[54:55], -v[56:57], v[66:67], v[54:55]
	v_fmac_f64_e32 v[48:49], v[56:57], v[64:65]
	v_cvt_f64_f32_e32 v[56:57], v58
	v_cvt_f64_f32_e32 v[58:59], v59
	v_fmac_f64_e32 v[52:53], v[58:59], v[64:65]
	v_fmac_f64_e32 v[36:37], v[56:57], v[64:65]
	;; [unrolled: 1-line block ×3, first 2 shown]
	v_cvt_f64_f32_e32 v[56:57], v18
	v_cvt_f64_f32_e32 v[18:19], v19
	v_fmac_f64_e32 v[34:35], v[56:57], v[64:65]
	v_fma_f64 v[34:35], -v[18:19], v[66:67], v[34:35]
	v_fmac_f64_e32 v[50:51], v[18:19], v[64:65]
	v_cvt_f64_f32_e32 v[18:19], v20
	v_cvt_f64_f32_e32 v[20:21], v21
	v_fmac_f64_e32 v[46:47], v[20:21], v[64:65]
	v_fmac_f64_e32 v[32:33], v[18:19], v[64:65]
	v_fmac_f64_e32 v[46:47], v[18:19], v[66:67]
	v_cvt_f64_f32_e32 v[18:19], v14
	v_fmac_f64_e32 v[48:49], v[68:69], v[66:67]
	v_cvt_f64_f32_e32 v[14:15], v15
	v_fmac_f64_e32 v[54:55], v[18:19], v[60:61]
	v_fma_f64 v[54:55], -v[14:15], v[62:63], v[54:55]
	v_fmac_f64_e32 v[48:49], v[14:15], v[60:61]
	v_cvt_f64_f32_e32 v[14:15], v16
	v_cvt_f64_f32_e32 v[16:17], v17
	v_fma_f64 v[36:37], -v[58:59], v[66:67], v[36:37]
	v_fmac_f64_e32 v[52:53], v[16:17], v[60:61]
	v_fmac_f64_e32 v[36:37], v[14:15], v[60:61]
	;; [unrolled: 1-line block ×3, first 2 shown]
	v_cvt_f64_f32_e32 v[14:15], v10
	v_fmac_f64_e32 v[50:51], v[56:57], v[66:67]
	v_cvt_f64_f32_e32 v[10:11], v11
	v_fmac_f64_e32 v[34:35], v[14:15], v[60:61]
	v_fma_f64 v[32:33], -v[20:21], v[66:67], v[32:33]
	v_fma_f64 v[56:57], -v[10:11], v[62:63], v[34:35]
	v_fmac_f64_e32 v[50:51], v[10:11], v[60:61]
	v_cvt_f64_f32_e32 v[10:11], v12
	v_cvt_f64_f32_e32 v[12:13], v13
	v_fmac_f64_e32 v[32:33], v[10:11], v[60:61]
	v_fmac_f64_e32 v[46:47], v[12:13], v[60:61]
	;; [unrolled: 1-line block ×3, first 2 shown]
	v_fma_f64 v[36:37], -v[16:17], v[62:63], v[36:37]
	v_fmac_f64_e32 v[50:51], v[14:15], v[62:63]
	v_fma_f64 v[58:59], -v[12:13], v[62:63], v[32:33]
	v_fmac_f64_e32 v[46:47], v[10:11], v[62:63]
	global_load_dwordx4 v[10:13], v[44:45], off offset:1648
	global_load_dwordx4 v[14:17], v[44:45], off offset:1632
	;; [unrolled: 1-line block ×4, first 2 shown]
	v_lshl_add_u64 v[44:45], v[44:45], 0, s[10:11]
	s_waitcnt vmcnt(0)
	v_cvt_f64_f32_e32 v[60:61], v32
	v_cvt_f64_f32_e32 v[32:33], v33
	v_fmac_f64_e32 v[54:55], v[60:61], v[26:27]
	v_fma_f64 v[54:55], -v[32:33], v[28:29], v[54:55]
	v_fmac_f64_e32 v[48:49], v[32:33], v[26:27]
	v_cvt_f64_f32_e32 v[32:33], v34
	v_cvt_f64_f32_e32 v[34:35], v35
	v_fmac_f64_e32 v[52:53], v[34:35], v[26:27]
	v_fmac_f64_e32 v[36:37], v[32:33], v[26:27]
	;; [unrolled: 1-line block ×3, first 2 shown]
	v_cvt_f64_f32_e32 v[32:33], v18
	v_cvt_f64_f32_e32 v[18:19], v19
	v_fmac_f64_e32 v[56:57], v[32:33], v[26:27]
	v_fma_f64 v[36:37], -v[34:35], v[28:29], v[36:37]
	v_fma_f64 v[34:35], -v[18:19], v[28:29], v[56:57]
	v_fmac_f64_e32 v[50:51], v[18:19], v[26:27]
	v_cvt_f64_f32_e32 v[18:19], v20
	v_cvt_f64_f32_e32 v[20:21], v21
	v_fmac_f64_e32 v[58:59], v[18:19], v[26:27]
	v_fmac_f64_e32 v[50:51], v[32:33], v[28:29]
	v_fma_f64 v[32:33], -v[20:21], v[28:29], v[58:59]
	v_fmac_f64_e32 v[46:47], v[20:21], v[26:27]
	v_cvt_f64_f32_e32 v[20:21], v14
	v_fmac_f64_e32 v[48:49], v[60:61], v[28:29]
	v_cvt_f64_f32_e32 v[14:15], v15
	v_fmac_f64_e32 v[54:55], v[20:21], v[22:23]
	v_fmac_f64_e32 v[46:47], v[18:19], v[28:29]
	v_fma_f64 v[18:19], -v[14:15], v[24:25], v[54:55]
	v_fmac_f64_e32 v[48:49], v[14:15], v[22:23]
	v_cvt_f64_f32_e32 v[14:15], v16
	v_cvt_f64_f32_e32 v[16:17], v17
	v_fmac_f64_e32 v[52:53], v[16:17], v[22:23]
	v_fmac_f64_e32 v[36:37], v[14:15], v[22:23]
	;; [unrolled: 1-line block ×3, first 2 shown]
	v_cvt_f64_f32_e32 v[14:15], v10
	v_cvt_f64_f32_e32 v[10:11], v11
	v_fmac_f64_e32 v[34:35], v[14:15], v[22:23]
	v_fmac_f64_e32 v[48:49], v[20:21], v[24:25]
	v_fma_f64 v[20:21], -v[10:11], v[24:25], v[34:35]
	v_fmac_f64_e32 v[50:51], v[10:11], v[22:23]
	v_cvt_f64_f32_e32 v[10:11], v12
	v_cvt_f64_f32_e32 v[12:13], v13
	v_fmac_f64_e32 v[32:33], v[10:11], v[22:23]
	v_fmac_f64_e32 v[46:47], v[12:13], v[22:23]
	v_fma_f64 v[62:63], -v[16:17], v[24:25], v[36:37]
	v_fmac_f64_e32 v[50:51], v[14:15], v[24:25]
	v_fma_f64 v[26:27], -v[12:13], v[24:25], v[32:33]
	v_fmac_f64_e32 v[46:47], v[10:11], v[24:25]
	s_andn2_b64 exec, exec, s[8:9]
	s_cbranch_execnz .LBB170_31
; %bb.32:
	s_or_b64 exec, exec, s[8:9]
.LBB170_33:
	s_or_b64 exec, exec, s[2:3]
.LBB170_34:
	s_or_b64 exec, exec, s[6:7]
.LBB170_35:
	v_mov_b32_dpp v10, v18 row_shr:1 row_mask:0xf bank_mask:0xf
	v_mov_b32_dpp v11, v19 row_shr:1 row_mask:0xf bank_mask:0xf
	v_add_f64 v[10:11], v[18:19], v[10:11]
	v_mov_b32_dpp v14, v48 row_shr:1 row_mask:0xf bank_mask:0xf
	v_mov_b32_dpp v15, v49 row_shr:1 row_mask:0xf bank_mask:0xf
	;; [unrolled: 1-line block ×14, first 2 shown]
	v_add_f64 v[14:15], v[48:49], v[14:15]
	v_add_f64 v[18:19], v[62:63], v[18:19]
	;; [unrolled: 1-line block ×7, first 2 shown]
	v_mov_b32_dpp v12, v10 row_shr:2 row_mask:0xf bank_mask:0xf
	v_mov_b32_dpp v13, v11 row_shr:2 row_mask:0xf bank_mask:0xf
	;; [unrolled: 1-line block ×16, first 2 shown]
	v_cmp_eq_u32_e32 vcc, 3, v0
	s_and_b64 exec, exec, vcc
	s_cbranch_execz .LBB170_8
; %bb.36:
	s_load_dwordx2 s[2:3], s[0:1], 0x60
	v_add_f64 v[0:1], v[10:11], v[12:13]
	v_add_f64 v[10:11], v[14:15], v[16:17]
	;; [unrolled: 1-line block ×8, first 2 shown]
	v_cmp_eq_f64_e32 vcc, 0, v[2:3]
	v_cmp_eq_f64_e64 s[0:1], 0, v[4:5]
	v_mul_f64 v[22:23], v[10:11], -v[8:9]
	v_mul_f64 v[24:25], v[6:7], v[10:11]
	v_mul_f64 v[18:19], v[12:13], -v[8:9]
	v_mul_f64 v[20:21], v[6:7], v[12:13]
	;; [unrolled: 2-line block ×4, first 2 shown]
	s_and_b64 s[0:1], vcc, s[0:1]
	v_fmac_f64_e32 v[22:23], v[6:7], v[0:1]
	v_fmac_f64_e32 v[24:25], v[8:9], v[0:1]
	v_lshlrev_b32_e32 v0, 2, v38
	v_fmac_f64_e32 v[18:19], v[6:7], v[44:45]
	v_fmac_f64_e32 v[20:21], v[8:9], v[44:45]
	;; [unrolled: 1-line block ×6, first 2 shown]
	s_waitcnt lgkmcnt(0)
	s_and_saveexec_b64 s[4:5], s[0:1]
	s_xor_b64 s[0:1], exec, s[4:5]
	s_cbranch_execz .LBB170_38
; %bb.37:
	v_ashrrev_i32_e32 v1, 31, v0
	v_lshl_add_u64 v[0:1], v[0:1], 4, s[2:3]
	global_store_dwordx4 v[0:1], v[22:25], off
	global_store_dwordx4 v[0:1], v[18:21], off offset:16
	global_store_dwordx4 v[0:1], v[14:17], off offset:32
	;; [unrolled: 1-line block ×3, first 2 shown]
                                        ; implicit-def: $vgpr4_vgpr5
                                        ; implicit-def: $vgpr22_vgpr23
                                        ; implicit-def: $vgpr0
                                        ; implicit-def: $vgpr18_vgpr19
                                        ; implicit-def: $vgpr14_vgpr15
                                        ; implicit-def: $vgpr10_vgpr11
.LBB170_38:
	s_andn2_saveexec_b64 s[0:1], s[0:1]
	s_cbranch_execz .LBB170_8
; %bb.39:
	v_ashrrev_i32_e32 v1, 31, v0
	v_lshl_add_u64 v[0:1], v[0:1], 4, s[2:3]
	global_load_dwordx4 v[6:9], v[0:1], off
	global_load_dwordx4 v[26:29], v[0:1], off offset:16
	global_load_dwordx4 v[30:33], v[0:1], off offset:32
	;; [unrolled: 1-line block ×3, first 2 shown]
	s_waitcnt vmcnt(3)
	v_fmac_f64_e32 v[22:23], v[2:3], v[6:7]
	v_fmac_f64_e32 v[24:25], v[4:5], v[6:7]
	s_waitcnt vmcnt(2)
	v_fmac_f64_e32 v[18:19], v[2:3], v[26:27]
	v_fmac_f64_e32 v[20:21], v[4:5], v[26:27]
	;; [unrolled: 3-line block ×4, first 2 shown]
	v_fma_f64 v[22:23], -v[4:5], v[8:9], v[22:23]
	v_fmac_f64_e32 v[24:25], v[2:3], v[8:9]
	v_fma_f64 v[18:19], -v[4:5], v[28:29], v[18:19]
	v_fmac_f64_e32 v[20:21], v[2:3], v[28:29]
	;; [unrolled: 2-line block ×4, first 2 shown]
	global_store_dwordx4 v[0:1], v[22:25], off
	global_store_dwordx4 v[0:1], v[18:21], off offset:16
	global_store_dwordx4 v[0:1], v[14:17], off offset:32
	;; [unrolled: 1-line block ×3, first 2 shown]
	s_endpgm
	.section	.rodata,"a",@progbits
	.p2align	6, 0x0
	.amdhsa_kernel _ZN9rocsparseL18bsrxmvn_4x4_kernelILj128ELj4E21rocsparse_complex_numIdEliS1_IfES2_S2_EEvT3_20rocsparse_direction_NS_24const_host_device_scalarIT1_EES4_PKS4_PKT2_SD_SA_PKT4_PKT5_S8_PT6_21rocsparse_index_base_b
		.amdhsa_group_segment_fixed_size 0
		.amdhsa_private_segment_fixed_size 0
		.amdhsa_kernarg_size 112
		.amdhsa_user_sgpr_count 2
		.amdhsa_user_sgpr_dispatch_ptr 0
		.amdhsa_user_sgpr_queue_ptr 0
		.amdhsa_user_sgpr_kernarg_segment_ptr 1
		.amdhsa_user_sgpr_dispatch_id 0
		.amdhsa_user_sgpr_kernarg_preload_length 0
		.amdhsa_user_sgpr_kernarg_preload_offset 0
		.amdhsa_user_sgpr_private_segment_size 0
		.amdhsa_uses_dynamic_stack 0
		.amdhsa_enable_private_segment 0
		.amdhsa_system_sgpr_workgroup_id_x 1
		.amdhsa_system_sgpr_workgroup_id_y 0
		.amdhsa_system_sgpr_workgroup_id_z 0
		.amdhsa_system_sgpr_workgroup_info 0
		.amdhsa_system_vgpr_workitem_id 0
		.amdhsa_next_free_vgpr 126
		.amdhsa_next_free_sgpr 18
		.amdhsa_accum_offset 128
		.amdhsa_reserve_vcc 1
		.amdhsa_float_round_mode_32 0
		.amdhsa_float_round_mode_16_64 0
		.amdhsa_float_denorm_mode_32 3
		.amdhsa_float_denorm_mode_16_64 3
		.amdhsa_dx10_clamp 1
		.amdhsa_ieee_mode 1
		.amdhsa_fp16_overflow 0
		.amdhsa_tg_split 0
		.amdhsa_exception_fp_ieee_invalid_op 0
		.amdhsa_exception_fp_denorm_src 0
		.amdhsa_exception_fp_ieee_div_zero 0
		.amdhsa_exception_fp_ieee_overflow 0
		.amdhsa_exception_fp_ieee_underflow 0
		.amdhsa_exception_fp_ieee_inexact 0
		.amdhsa_exception_int_div_zero 0
	.end_amdhsa_kernel
	.section	.text._ZN9rocsparseL18bsrxmvn_4x4_kernelILj128ELj4E21rocsparse_complex_numIdEliS1_IfES2_S2_EEvT3_20rocsparse_direction_NS_24const_host_device_scalarIT1_EES4_PKS4_PKT2_SD_SA_PKT4_PKT5_S8_PT6_21rocsparse_index_base_b,"axG",@progbits,_ZN9rocsparseL18bsrxmvn_4x4_kernelILj128ELj4E21rocsparse_complex_numIdEliS1_IfES2_S2_EEvT3_20rocsparse_direction_NS_24const_host_device_scalarIT1_EES4_PKS4_PKT2_SD_SA_PKT4_PKT5_S8_PT6_21rocsparse_index_base_b,comdat
.Lfunc_end170:
	.size	_ZN9rocsparseL18bsrxmvn_4x4_kernelILj128ELj4E21rocsparse_complex_numIdEliS1_IfES2_S2_EEvT3_20rocsparse_direction_NS_24const_host_device_scalarIT1_EES4_PKS4_PKT2_SD_SA_PKT4_PKT5_S8_PT6_21rocsparse_index_base_b, .Lfunc_end170-_ZN9rocsparseL18bsrxmvn_4x4_kernelILj128ELj4E21rocsparse_complex_numIdEliS1_IfES2_S2_EEvT3_20rocsparse_direction_NS_24const_host_device_scalarIT1_EES4_PKS4_PKT2_SD_SA_PKT4_PKT5_S8_PT6_21rocsparse_index_base_b
                                        ; -- End function
	.set _ZN9rocsparseL18bsrxmvn_4x4_kernelILj128ELj4E21rocsparse_complex_numIdEliS1_IfES2_S2_EEvT3_20rocsparse_direction_NS_24const_host_device_scalarIT1_EES4_PKS4_PKT2_SD_SA_PKT4_PKT5_S8_PT6_21rocsparse_index_base_b.num_vgpr, 126
	.set _ZN9rocsparseL18bsrxmvn_4x4_kernelILj128ELj4E21rocsparse_complex_numIdEliS1_IfES2_S2_EEvT3_20rocsparse_direction_NS_24const_host_device_scalarIT1_EES4_PKS4_PKT2_SD_SA_PKT4_PKT5_S8_PT6_21rocsparse_index_base_b.num_agpr, 0
	.set _ZN9rocsparseL18bsrxmvn_4x4_kernelILj128ELj4E21rocsparse_complex_numIdEliS1_IfES2_S2_EEvT3_20rocsparse_direction_NS_24const_host_device_scalarIT1_EES4_PKS4_PKT2_SD_SA_PKT4_PKT5_S8_PT6_21rocsparse_index_base_b.numbered_sgpr, 18
	.set _ZN9rocsparseL18bsrxmvn_4x4_kernelILj128ELj4E21rocsparse_complex_numIdEliS1_IfES2_S2_EEvT3_20rocsparse_direction_NS_24const_host_device_scalarIT1_EES4_PKS4_PKT2_SD_SA_PKT4_PKT5_S8_PT6_21rocsparse_index_base_b.num_named_barrier, 0
	.set _ZN9rocsparseL18bsrxmvn_4x4_kernelILj128ELj4E21rocsparse_complex_numIdEliS1_IfES2_S2_EEvT3_20rocsparse_direction_NS_24const_host_device_scalarIT1_EES4_PKS4_PKT2_SD_SA_PKT4_PKT5_S8_PT6_21rocsparse_index_base_b.private_seg_size, 0
	.set _ZN9rocsparseL18bsrxmvn_4x4_kernelILj128ELj4E21rocsparse_complex_numIdEliS1_IfES2_S2_EEvT3_20rocsparse_direction_NS_24const_host_device_scalarIT1_EES4_PKS4_PKT2_SD_SA_PKT4_PKT5_S8_PT6_21rocsparse_index_base_b.uses_vcc, 1
	.set _ZN9rocsparseL18bsrxmvn_4x4_kernelILj128ELj4E21rocsparse_complex_numIdEliS1_IfES2_S2_EEvT3_20rocsparse_direction_NS_24const_host_device_scalarIT1_EES4_PKS4_PKT2_SD_SA_PKT4_PKT5_S8_PT6_21rocsparse_index_base_b.uses_flat_scratch, 0
	.set _ZN9rocsparseL18bsrxmvn_4x4_kernelILj128ELj4E21rocsparse_complex_numIdEliS1_IfES2_S2_EEvT3_20rocsparse_direction_NS_24const_host_device_scalarIT1_EES4_PKS4_PKT2_SD_SA_PKT4_PKT5_S8_PT6_21rocsparse_index_base_b.has_dyn_sized_stack, 0
	.set _ZN9rocsparseL18bsrxmvn_4x4_kernelILj128ELj4E21rocsparse_complex_numIdEliS1_IfES2_S2_EEvT3_20rocsparse_direction_NS_24const_host_device_scalarIT1_EES4_PKS4_PKT2_SD_SA_PKT4_PKT5_S8_PT6_21rocsparse_index_base_b.has_recursion, 0
	.set _ZN9rocsparseL18bsrxmvn_4x4_kernelILj128ELj4E21rocsparse_complex_numIdEliS1_IfES2_S2_EEvT3_20rocsparse_direction_NS_24const_host_device_scalarIT1_EES4_PKS4_PKT2_SD_SA_PKT4_PKT5_S8_PT6_21rocsparse_index_base_b.has_indirect_call, 0
	.section	.AMDGPU.csdata,"",@progbits
; Kernel info:
; codeLenInByte = 8036
; TotalNumSgprs: 24
; NumVgprs: 126
; NumAgprs: 0
; TotalNumVgprs: 126
; ScratchSize: 0
; MemoryBound: 0
; FloatMode: 240
; IeeeMode: 1
; LDSByteSize: 0 bytes/workgroup (compile time only)
; SGPRBlocks: 2
; VGPRBlocks: 15
; NumSGPRsForWavesPerEU: 24
; NumVGPRsForWavesPerEU: 126
; AccumOffset: 128
; Occupancy: 4
; WaveLimiterHint : 1
; COMPUTE_PGM_RSRC2:SCRATCH_EN: 0
; COMPUTE_PGM_RSRC2:USER_SGPR: 2
; COMPUTE_PGM_RSRC2:TRAP_HANDLER: 0
; COMPUTE_PGM_RSRC2:TGID_X_EN: 1
; COMPUTE_PGM_RSRC2:TGID_Y_EN: 0
; COMPUTE_PGM_RSRC2:TGID_Z_EN: 0
; COMPUTE_PGM_RSRC2:TIDIG_COMP_CNT: 0
; COMPUTE_PGM_RSRC3_GFX90A:ACCUM_OFFSET: 31
; COMPUTE_PGM_RSRC3_GFX90A:TG_SPLIT: 0
	.section	.text._ZN9rocsparseL18bsrxmvn_4x4_kernelILj128ELj8E21rocsparse_complex_numIdEliS1_IfES2_S2_EEvT3_20rocsparse_direction_NS_24const_host_device_scalarIT1_EES4_PKS4_PKT2_SD_SA_PKT4_PKT5_S8_PT6_21rocsparse_index_base_b,"axG",@progbits,_ZN9rocsparseL18bsrxmvn_4x4_kernelILj128ELj8E21rocsparse_complex_numIdEliS1_IfES2_S2_EEvT3_20rocsparse_direction_NS_24const_host_device_scalarIT1_EES4_PKS4_PKT2_SD_SA_PKT4_PKT5_S8_PT6_21rocsparse_index_base_b,comdat
	.globl	_ZN9rocsparseL18bsrxmvn_4x4_kernelILj128ELj8E21rocsparse_complex_numIdEliS1_IfES2_S2_EEvT3_20rocsparse_direction_NS_24const_host_device_scalarIT1_EES4_PKS4_PKT2_SD_SA_PKT4_PKT5_S8_PT6_21rocsparse_index_base_b ; -- Begin function _ZN9rocsparseL18bsrxmvn_4x4_kernelILj128ELj8E21rocsparse_complex_numIdEliS1_IfES2_S2_EEvT3_20rocsparse_direction_NS_24const_host_device_scalarIT1_EES4_PKS4_PKT2_SD_SA_PKT4_PKT5_S8_PT6_21rocsparse_index_base_b
	.p2align	8
	.type	_ZN9rocsparseL18bsrxmvn_4x4_kernelILj128ELj8E21rocsparse_complex_numIdEliS1_IfES2_S2_EEvT3_20rocsparse_direction_NS_24const_host_device_scalarIT1_EES4_PKS4_PKT2_SD_SA_PKT4_PKT5_S8_PT6_21rocsparse_index_base_b,@function
_ZN9rocsparseL18bsrxmvn_4x4_kernelILj128ELj8E21rocsparse_complex_numIdEliS1_IfES2_S2_EEvT3_20rocsparse_direction_NS_24const_host_device_scalarIT1_EES4_PKS4_PKT2_SD_SA_PKT4_PKT5_S8_PT6_21rocsparse_index_base_b: ; @_ZN9rocsparseL18bsrxmvn_4x4_kernelILj128ELj8E21rocsparse_complex_numIdEliS1_IfES2_S2_EEvT3_20rocsparse_direction_NS_24const_host_device_scalarIT1_EES4_PKS4_PKT2_SD_SA_PKT4_PKT5_S8_PT6_21rocsparse_index_base_b
; %bb.0:
	s_load_dwordx2 s[4:5], s[0:1], 0x8
	s_load_dwordx2 s[12:13], s[0:1], 0x68
	s_add_u32 s3, s0, 8
	s_addc_u32 s8, s1, 0
	s_add_u32 s9, s0, 0x50
	s_load_dwordx2 s[6:7], s[0:1], 0x50
	s_addc_u32 s10, s1, 0
	s_waitcnt lgkmcnt(0)
	s_bitcmp1_b32 s13, 0
	s_cselect_b32 s5, s8, s5
	s_cselect_b32 s3, s3, s4
	v_mov_b32_e32 v2, s3
	v_mov_b32_e32 v3, s5
	flat_load_dwordx4 v[6:9], v[2:3]
	s_cselect_b32 s3, s10, s7
	s_cselect_b32 s4, s9, s6
	v_mov_b32_e32 v2, s4
	v_mov_b32_e32 v3, s3
	flat_load_dwordx4 v[2:5], v[2:3]
	s_waitcnt vmcnt(0) lgkmcnt(0)
	v_cmp_eq_f64_e32 vcc, 0, v[6:7]
	v_cmp_eq_f64_e64 s[4:5], 0, v[8:9]
	s_and_b64 s[8:9], vcc, s[4:5]
	s_mov_b64 s[4:5], -1
	s_and_saveexec_b64 s[6:7], s[8:9]
; %bb.1:
	v_cmp_neq_f64_e32 vcc, 1.0, v[2:3]
	v_cmp_neq_f64_e64 s[4:5], 0, v[4:5]
	s_or_b64 s[4:5], vcc, s[4:5]
	s_orn2_b64 s[4:5], s[4:5], exec
; %bb.2:
	s_or_b64 exec, exec, s[6:7]
	s_and_saveexec_b64 s[6:7], s[4:5]
	s_cbranch_execz .LBB171_8
; %bb.3:
	s_load_dwordx2 s[4:5], s[0:1], 0x20
	s_load_dwordx2 s[14:15], s[0:1], 0x0
	v_lshrrev_b32_e32 v1, 3, v0
	v_lshl_or_b32 v38, s2, 4, v1
	s_mov_b64 s[2:3], 0
	s_waitcnt lgkmcnt(0)
	s_cmp_lg_u64 s[4:5], 0
	s_cbranch_scc0 .LBB171_9
; %bb.4:
	s_load_dword s6, s[0:1], 0x18
                                        ; implicit-def: $vgpr1
	s_waitcnt lgkmcnt(0)
	v_cmp_gt_i32_e32 vcc, s6, v38
	s_and_saveexec_b64 s[6:7], vcc
	s_xor_b64 s[6:7], exec, s[6:7]
	s_cbranch_execz .LBB171_6
; %bb.5:
	v_ashrrev_i32_e32 v39, 31, v38
	v_lshl_add_u64 v[10:11], v[38:39], 2, s[4:5]
	global_load_dword v1, v[10:11], off
	s_mov_b64 s[2:3], exec
	s_waitcnt vmcnt(0)
	v_subrev_u32_e32 v1, s12, v1
.LBB171_6:
	s_or_b64 exec, exec, s[6:7]
	s_branch .LBB171_10
.LBB171_7:
	v_cmp_gt_i32_e32 vcc, s14, v38
	s_andn2_b64 s[2:3], s[2:3], exec
	s_and_b64 s[4:5], vcc, exec
	s_or_b64 s[2:3], s[2:3], s[4:5]
	s_and_b64 exec, exec, s[2:3]
	s_cbranch_execnz .LBB171_11
.LBB171_8:
	s_endpgm
.LBB171_9:
                                        ; implicit-def: $vgpr1
	s_cbranch_execnz .LBB171_7
.LBB171_10:
	v_mov_b32_e32 v38, v1
	s_and_b64 exec, exec, s[2:3]
	s_cbranch_execz .LBB171_8
.LBB171_11:
	s_load_dwordx8 s[4:11], s[0:1], 0x28
	v_ashrrev_i32_e32 v39, 31, v38
	v_lshlrev_b64 v[10:11], 3, v[38:39]
	v_and_b32_e32 v0, 7, v0
	v_mov_b32_e32 v1, 0
	s_waitcnt lgkmcnt(0)
	v_lshl_add_u64 v[12:13], s[4:5], 0, v[10:11]
	s_cmp_eq_u64 s[6:7], 0
	v_lshl_add_u64 v[10:11], s[6:7], 0, v[10:11]
	global_load_dwordx2 v[54:55], v[12:13], off
	v_lshl_add_u64 v[12:13], v[12:13], 0, 8
	s_cselect_b64 vcc, -1, 0
	v_cndmask_b32_e32 v11, v11, v13, vcc
	v_cndmask_b32_e32 v10, v10, v12, vcc
	global_load_dwordx2 v[10:11], v[10:11], off
	s_load_dwordx2 s[4:5], s[0:1], 0x48
	s_cmp_eq_u32 s15, 1
	s_waitcnt vmcnt(1)
	v_subrev_co_u32_e32 v12, vcc, s12, v54
	s_nop 1
	v_subbrev_co_u32_e32 v13, vcc, 0, v55, vcc
	v_lshl_add_u64 v[40:41], v[12:13], 0, v[0:1]
	s_waitcnt vmcnt(0)
	v_subrev_co_u32_e32 v42, vcc, s12, v10
	s_nop 1
	v_subbrev_co_u32_e32 v43, vcc, 0, v11, vcc
	v_lshlrev_b64 v[10:11], 7, v[40:41]
	v_lshl_add_u64 v[44:45], s[10:11], 0, v[10:11]
	v_cmp_lt_i64_e64 s[2:3], v[40:41], v[42:43]
	s_cbranch_scc1 .LBB171_23
; %bb.12:
	v_mov_b64_e32 v[52:53], 0
	v_mov_b64_e32 v[20:21], 0
	;; [unrolled: 1-line block ×8, first 2 shown]
	s_and_saveexec_b64 s[6:7], s[2:3]
	s_cbranch_execz .LBB171_22
; %bb.13:
	v_or_b32_e32 v1, 8, v0
	v_subrev_co_u32_e32 v10, vcc, s12, v1
	v_not_b32_e32 v13, v55
	s_nop 0
	v_subb_co_u32_e64 v11, s[10:11], 0, 0, vcc
	v_lshl_add_u64 v[10:11], v[10:11], 0, v[54:55]
	v_cmp_gt_i64_e32 vcc, v[10:11], v[42:43]
	v_not_b32_e32 v12, v54
	v_mov_b64_e32 v[26:27], 0
	v_cndmask_b32_e32 v11, v43, v11, vcc
	v_cndmask_b32_e32 v10, v42, v10, vcc
	v_sub_co_u32_e32 v14, vcc, s12, v0
	v_mov_b64_e32 v[46:47], 0
	s_nop 0
	v_subb_co_u32_e64 v15, s[10:11], 0, 0, vcc
	v_lshl_add_u64 v[12:13], v[14:15], 0, v[12:13]
	v_lshl_add_u64 v[14:15], v[12:13], 0, v[10:11]
	v_and_b32_e32 v10, 24, v14
	v_mov_b32_e32 v11, 0
	v_cmp_ne_u64_e32 vcc, 24, v[10:11]
	v_mov_b64_e32 v[18:19], 0
	v_mov_b64_e32 v[48:49], 0
	;; [unrolled: 1-line block ×8, first 2 shown]
	s_and_saveexec_b64 s[10:11], vcc
	s_cbranch_execz .LBB171_17
; %bb.14:
	v_lshrrev_b32_e32 v1, 3, v14
	v_add_u32_e32 v1, 1, v1
	v_and_b32_e32 v1, 3, v1
	v_sub_co_u32_e32 v22, vcc, 0, v1
	v_lshl_add_u64 v[16:17], v[40:41], 2, s[8:9]
	s_nop 0
	v_subb_co_u32_e64 v23, s[16:17], 0, 0, vcc
	s_mov_b64 s[14:15], 0
	v_mov_b64_e32 v[52:53], 0
	s_mov_b64 s[16:17], 0x400
	v_mov_b64_e32 v[58:59], v[40:41]
	v_mov_b64_e32 v[56:57], v[44:45]
	;; [unrolled: 1-line block ×9, first 2 shown]
.LBB171_15:                             ; =>This Inner Loop Header: Depth=1
	global_load_dword v1, v[16:17], off
	global_load_dwordx4 v[28:31], v[56:57], off
	global_load_dwordx4 v[32:35], v[56:57], off offset:16
	global_load_dwordx4 v[10:13], v[56:57], off offset:32
	;; [unrolled: 1-line block ×7, first 2 shown]
	v_lshl_add_u64 v[22:23], v[22:23], 0, 1
	v_cmp_eq_u64_e32 vcc, 0, v[22:23]
	v_lshl_add_u64 v[56:57], v[56:57], 0, s[16:17]
	v_lshl_add_u64 v[58:59], v[58:59], 0, 8
	;; [unrolled: 1-line block ×3, first 2 shown]
	s_or_b64 s[14:15], vcc, s[14:15]
	s_waitcnt vmcnt(8)
	v_subrev_u32_e32 v1, s12, v1
	s_waitcnt vmcnt(7)
	v_cvt_f64_f32_e32 v[24:25], v28
	v_cvt_f64_f32_e32 v[36:37], v29
	s_waitcnt vmcnt(5)
	v_cvt_f64_f32_e32 v[98:99], v10
	v_lshlrev_b32_e32 v10, 2, v1
	v_cvt_f64_f32_e32 v[100:101], v11
	v_ashrrev_i32_e32 v11, 31, v10
	s_waitcnt lgkmcnt(0)
	v_lshl_add_u64 v[110:111], v[10:11], 4, s[4:5]
	v_cvt_f64_f32_e32 v[60:61], v30
	v_cvt_f64_f32_e32 v[88:89], v31
	;; [unrolled: 1-line block ×8, first 2 shown]
	global_load_dwordx4 v[10:13], v[110:111], off
	global_load_dwordx4 v[28:31], v[110:111], off offset:16
	global_load_dwordx4 v[32:35], v[110:111], off offset:32
	;; [unrolled: 1-line block ×3, first 2 shown]
	s_waitcnt vmcnt(8)
	v_cvt_f64_f32_e32 v[106:107], v64
	v_cvt_f64_f32_e32 v[64:65], v65
	s_waitcnt vmcnt(7)
	v_cvt_f64_f32_e32 v[108:109], v68
	v_cvt_f64_f32_e32 v[68:69], v69
	;; [unrolled: 1-line block ×6, first 2 shown]
	s_waitcnt vmcnt(6)
	v_cvt_f64_f32_e32 v[110:111], v72
	v_cvt_f64_f32_e32 v[72:73], v73
	s_waitcnt vmcnt(5)
	v_cvt_f64_f32_e32 v[116:117], v76
	v_cvt_f64_f32_e32 v[76:77], v77
	;; [unrolled: 3-line block ×3, first 2 shown]
	v_cvt_f64_f32_e32 v[112:113], v74
	v_cvt_f64_f32_e32 v[74:75], v75
	;; [unrolled: 1-line block ×6, first 2 shown]
	s_waitcnt vmcnt(3)
	v_fmac_f64_e32 v[20:21], v[24:25], v[10:11]
	v_fmac_f64_e32 v[52:53], v[36:37], v[10:11]
	v_fmac_f64_e32 v[62:63], v[98:99], v[10:11]
	v_fmac_f64_e32 v[50:51], v[100:101], v[10:11]
	v_fmac_f64_e32 v[18:19], v[106:107], v[10:11]
	v_fmac_f64_e32 v[48:49], v[64:65], v[10:11]
	v_fmac_f64_e32 v[26:27], v[108:109], v[10:11]
	v_fmac_f64_e32 v[46:47], v[68:69], v[10:11]
	v_fma_f64 v[10:11], -v[36:37], v[12:13], v[20:21]
	v_fmac_f64_e32 v[52:53], v[24:25], v[12:13]
	v_fma_f64 v[20:21], -v[100:101], v[12:13], v[62:63]
	v_fmac_f64_e32 v[50:51], v[98:99], v[12:13]
	v_fma_f64 v[18:19], -v[64:65], v[12:13], v[18:19]
	v_fmac_f64_e32 v[48:49], v[106:107], v[12:13]
	v_fma_f64 v[24:25], -v[68:69], v[12:13], v[26:27]
	v_fmac_f64_e32 v[46:47], v[108:109], v[12:13]
	s_waitcnt vmcnt(2)
	v_fmac_f64_e32 v[10:11], v[60:61], v[28:29]
	v_fmac_f64_e32 v[52:53], v[88:89], v[28:29]
	v_fmac_f64_e32 v[20:21], v[102:103], v[28:29]
	v_fmac_f64_e32 v[50:51], v[104:105], v[28:29]
	v_fmac_f64_e32 v[18:19], v[114:115], v[28:29]
	v_fmac_f64_e32 v[48:49], v[66:67], v[28:29]
	v_fmac_f64_e32 v[24:25], v[120:121], v[28:29]
	v_fmac_f64_e32 v[46:47], v[70:71], v[28:29]
	v_fma_f64 v[10:11], -v[88:89], v[30:31], v[10:11]
	v_fmac_f64_e32 v[52:53], v[60:61], v[30:31]
	v_fma_f64 v[12:13], -v[104:105], v[30:31], v[20:21]
	v_fmac_f64_e32 v[50:51], v[102:103], v[30:31]
	v_fma_f64 v[18:19], -v[66:67], v[30:31], v[18:19]
	v_fmac_f64_e32 v[48:49], v[114:115], v[30:31]
	v_fma_f64 v[20:21], -v[70:71], v[30:31], v[24:25]
	v_fmac_f64_e32 v[46:47], v[120:121], v[30:31]
	;; [unrolled: 17-line block ×4, first 2 shown]
	s_andn2_b64 exec, exec, s[14:15]
	s_cbranch_execnz .LBB171_15
; %bb.16:
	s_or_b64 exec, exec, s[14:15]
.LBB171_17:
	s_or_b64 exec, exec, s[10:11]
	v_cmp_lt_u64_e32 vcc, 23, v[14:15]
	s_and_saveexec_b64 s[10:11], vcc
	s_cbranch_execz .LBB171_21
; %bb.18:
	v_lshl_add_u64 v[10:11], v[58:59], 2, s[8:9]
	v_lshl_add_u64 v[60:61], v[10:11], 0, 64
	s_mov_b64 s[14:15], 0
	s_mov_b64 s[16:17], 0x1000
	;; [unrolled: 1-line block ×3, first 2 shown]
.LBB171_19:                             ; =>This Inner Loop Header: Depth=1
	global_load_dword v1, v[60:61], off offset:-64
	global_load_dwordx4 v[28:31], v[56:57], off offset:48
	global_load_dwordx4 v[32:35], v[56:57], off offset:32
	;; [unrolled: 1-line block ×3, first 2 shown]
	global_load_dwordx4 v[64:67], v[56:57], off
	v_lshl_add_u64 v[58:59], v[58:59], 0, 32
	v_cmp_ge_i64_e32 vcc, v[58:59], v[42:43]
	s_or_b64 s[14:15], vcc, s[14:15]
	s_waitcnt vmcnt(4)
	v_subrev_u32_e32 v1, s12, v1
	v_lshlrev_b32_e32 v10, 2, v1
	v_ashrrev_i32_e32 v11, 31, v10
	s_waitcnt lgkmcnt(0)
	v_lshl_add_u64 v[76:77], v[10:11], 4, s[4:5]
	global_load_dwordx4 v[10:13], v[76:77], off offset:48
	global_load_dwordx4 v[14:17], v[76:77], off offset:32
	;; [unrolled: 1-line block ×3, first 2 shown]
	global_load_dwordx4 v[72:75], v[76:77], off
	s_waitcnt vmcnt(4)
	v_cvt_f64_f32_e32 v[36:37], v64
	v_cvt_f64_f32_e32 v[64:65], v65
	s_waitcnt vmcnt(0)
	v_fmac_f64_e32 v[20:21], v[36:37], v[72:73]
	v_fmac_f64_e32 v[52:53], v[64:65], v[72:73]
	v_fma_f64 v[20:21], -v[64:65], v[74:75], v[20:21]
	v_fmac_f64_e32 v[52:53], v[36:37], v[74:75]
	v_cvt_f64_f32_e32 v[36:37], v66
	v_cvt_f64_f32_e32 v[64:65], v67
	v_fmac_f64_e32 v[20:21], v[36:37], v[68:69]
	v_fmac_f64_e32 v[52:53], v[64:65], v[68:69]
	v_fma_f64 v[20:21], -v[64:65], v[70:71], v[20:21]
	v_fmac_f64_e32 v[52:53], v[36:37], v[70:71]
	v_cvt_f64_f32_e32 v[36:37], v22
	v_cvt_f64_f32_e32 v[22:23], v23
	v_fmac_f64_e32 v[20:21], v[36:37], v[14:15]
	v_fmac_f64_e32 v[52:53], v[22:23], v[14:15]
	v_fma_f64 v[20:21], -v[22:23], v[16:17], v[20:21]
	v_fmac_f64_e32 v[52:53], v[36:37], v[16:17]
	v_cvt_f64_f32_e32 v[22:23], v24
	v_cvt_f64_f32_e32 v[36:37], v25
	v_fmac_f64_e32 v[20:21], v[22:23], v[10:11]
	v_fmac_f64_e32 v[52:53], v[36:37], v[10:11]
	v_fma_f64 v[24:25], -v[36:37], v[12:13], v[20:21]
	v_fmac_f64_e32 v[52:53], v[22:23], v[12:13]
	v_cvt_f64_f32_e32 v[20:21], v32
	v_cvt_f64_f32_e32 v[22:23], v33
	v_fmac_f64_e32 v[62:63], v[20:21], v[72:73]
	v_fmac_f64_e32 v[50:51], v[22:23], v[72:73]
	v_fma_f64 v[32:33], -v[22:23], v[74:75], v[62:63]
	v_fmac_f64_e32 v[50:51], v[20:21], v[74:75]
	v_cvt_f64_f32_e32 v[20:21], v34
	v_cvt_f64_f32_e32 v[22:23], v35
	v_fmac_f64_e32 v[32:33], v[20:21], v[68:69]
	v_fmac_f64_e32 v[50:51], v[22:23], v[68:69]
	v_fma_f64 v[32:33], -v[22:23], v[70:71], v[32:33]
	v_fmac_f64_e32 v[50:51], v[20:21], v[70:71]
	v_cvt_f64_f32_e32 v[20:21], v28
	v_cvt_f64_f32_e32 v[22:23], v29
	v_fmac_f64_e32 v[32:33], v[20:21], v[14:15]
	v_fmac_f64_e32 v[50:51], v[22:23], v[14:15]
	v_fma_f64 v[28:29], -v[22:23], v[16:17], v[32:33]
	v_fmac_f64_e32 v[50:51], v[20:21], v[16:17]
	v_cvt_f64_f32_e32 v[20:21], v30
	v_cvt_f64_f32_e32 v[30:31], v31
	v_fmac_f64_e32 v[28:29], v[20:21], v[10:11]
	v_fma_f64 v[22:23], -v[30:31], v[12:13], v[28:29]
	v_fmac_f64_e32 v[50:51], v[30:31], v[10:11]
	global_load_dwordx4 v[30:33], v[56:57], off offset:112
	global_load_dwordx4 v[34:37], v[56:57], off offset:96
	;; [unrolled: 1-line block ×4, first 2 shown]
	global_load_dword v1, v[60:61], off offset:-32
	v_fmac_f64_e32 v[50:51], v[20:21], v[12:13]
	s_waitcnt vmcnt(1)
	v_cvt_f64_f32_e32 v[20:21], v76
	v_cvt_f64_f32_e32 v[28:29], v77
	v_fmac_f64_e32 v[18:19], v[20:21], v[72:73]
	v_fmac_f64_e32 v[48:49], v[28:29], v[72:73]
	v_fma_f64 v[18:19], -v[28:29], v[74:75], v[18:19]
	v_fmac_f64_e32 v[48:49], v[20:21], v[74:75]
	v_cvt_f64_f32_e32 v[20:21], v78
	v_cvt_f64_f32_e32 v[28:29], v79
	v_fmac_f64_e32 v[18:19], v[20:21], v[68:69]
	v_fmac_f64_e32 v[48:49], v[28:29], v[68:69]
	v_fma_f64 v[18:19], -v[28:29], v[70:71], v[18:19]
	v_fmac_f64_e32 v[48:49], v[20:21], v[70:71]
	;; [unrolled: 6-line block ×6, first 2 shown]
	v_cvt_f64_f32_e32 v[18:19], v30
	v_cvt_f64_f32_e32 v[20:21], v31
	v_fmac_f64_e32 v[26:27], v[18:19], v[14:15]
	v_fmac_f64_e32 v[46:47], v[20:21], v[14:15]
	s_waitcnt vmcnt(0)
	v_subrev_u32_e32 v1, s12, v1
	v_fma_f64 v[26:27], -v[20:21], v[16:17], v[26:27]
	v_fmac_f64_e32 v[46:47], v[18:19], v[16:17]
	v_cvt_f64_f32_e32 v[14:15], v32
	v_cvt_f64_f32_e32 v[16:17], v33
	v_lshlrev_b32_e32 v34, 2, v1
	v_fmac_f64_e32 v[26:27], v[14:15], v[10:11]
	v_fmac_f64_e32 v[46:47], v[16:17], v[10:11]
	v_ashrrev_i32_e32 v35, 31, v34
	v_fma_f64 v[26:27], -v[16:17], v[12:13], v[26:27]
	v_fmac_f64_e32 v[46:47], v[14:15], v[12:13]
	global_load_dwordx4 v[10:13], v[56:57], off offset:1072
	global_load_dwordx4 v[14:17], v[56:57], off offset:1056
	;; [unrolled: 1-line block ×4, first 2 shown]
	v_lshl_add_u64 v[76:77], v[34:35], 4, s[4:5]
	global_load_dwordx4 v[34:37], v[76:77], off offset:48
	global_load_dwordx4 v[62:65], v[76:77], off offset:32
	;; [unrolled: 1-line block ×3, first 2 shown]
	global_load_dwordx4 v[70:73], v[76:77], off
	s_waitcnt vmcnt(4)
	v_cvt_f64_f32_e32 v[74:75], v30
	v_cvt_f64_f32_e32 v[30:31], v31
	s_waitcnt vmcnt(0)
	v_fmac_f64_e32 v[24:25], v[74:75], v[70:71]
	v_fmac_f64_e32 v[52:53], v[30:31], v[70:71]
	v_fma_f64 v[24:25], -v[30:31], v[72:73], v[24:25]
	v_fmac_f64_e32 v[52:53], v[74:75], v[72:73]
	v_cvt_f64_f32_e32 v[30:31], v32
	v_cvt_f64_f32_e32 v[32:33], v33
	v_fmac_f64_e32 v[24:25], v[30:31], v[66:67]
	v_fmac_f64_e32 v[52:53], v[32:33], v[66:67]
	v_fma_f64 v[24:25], -v[32:33], v[68:69], v[24:25]
	v_fmac_f64_e32 v[52:53], v[30:31], v[68:69]
	v_cvt_f64_f32_e32 v[30:31], v18
	v_cvt_f64_f32_e32 v[18:19], v19
	;; [unrolled: 6-line block ×3, first 2 shown]
	v_fmac_f64_e32 v[24:25], v[30:31], v[34:35]
	v_fma_f64 v[18:19], -v[20:21], v[36:37], v[24:25]
	v_fmac_f64_e32 v[52:53], v[20:21], v[34:35]
	v_cvt_f64_f32_e32 v[20:21], v14
	v_cvt_f64_f32_e32 v[14:15], v15
	v_fmac_f64_e32 v[22:23], v[20:21], v[70:71]
	v_fmac_f64_e32 v[50:51], v[14:15], v[70:71]
	v_fma_f64 v[22:23], -v[14:15], v[72:73], v[22:23]
	v_fmac_f64_e32 v[50:51], v[20:21], v[72:73]
	v_cvt_f64_f32_e32 v[14:15], v16
	v_cvt_f64_f32_e32 v[16:17], v17
	v_fmac_f64_e32 v[22:23], v[14:15], v[66:67]
	;; [unrolled: 6-line block ×4, first 2 shown]
	v_fmac_f64_e32 v[50:51], v[12:13], v[34:35]
	v_fmac_f64_e32 v[52:53], v[30:31], v[36:37]
	v_fma_f64 v[78:79], -v[12:13], v[36:37], v[16:17]
	v_fmac_f64_e32 v[50:51], v[10:11], v[36:37]
	global_load_dwordx4 v[10:13], v[56:57], off offset:1136
	global_load_dwordx4 v[14:17], v[56:57], off offset:1120
	global_load_dwordx4 v[20:23], v[56:57], off offset:1104
	global_load_dwordx4 v[30:33], v[56:57], off offset:1088
	global_load_dword v1, v[60:61], off
	s_waitcnt vmcnt(1)
	v_cvt_f64_f32_e32 v[24:25], v30
	v_cvt_f64_f32_e32 v[30:31], v31
	v_fmac_f64_e32 v[28:29], v[24:25], v[70:71]
	v_fmac_f64_e32 v[48:49], v[30:31], v[70:71]
	v_fma_f64 v[28:29], -v[30:31], v[72:73], v[28:29]
	v_fmac_f64_e32 v[48:49], v[24:25], v[72:73]
	v_cvt_f64_f32_e32 v[24:25], v32
	v_cvt_f64_f32_e32 v[30:31], v33
	v_fmac_f64_e32 v[28:29], v[24:25], v[66:67]
	v_fmac_f64_e32 v[48:49], v[30:31], v[66:67]
	v_fma_f64 v[28:29], -v[30:31], v[68:69], v[28:29]
	v_fmac_f64_e32 v[48:49], v[24:25], v[68:69]
	;; [unrolled: 6-line block ×3, first 2 shown]
	v_cvt_f64_f32_e32 v[20:21], v22
	v_cvt_f64_f32_e32 v[22:23], v23
	v_fmac_f64_e32 v[48:49], v[22:23], v[34:35]
	v_fmac_f64_e32 v[28:29], v[20:21], v[34:35]
	;; [unrolled: 1-line block ×3, first 2 shown]
	v_cvt_f64_f32_e32 v[20:21], v14
	v_cvt_f64_f32_e32 v[14:15], v15
	v_fmac_f64_e32 v[26:27], v[20:21], v[70:71]
	v_fmac_f64_e32 v[46:47], v[14:15], v[70:71]
	v_fma_f64 v[80:81], -v[22:23], v[36:37], v[28:29]
	v_fma_f64 v[22:23], -v[14:15], v[72:73], v[26:27]
	v_fmac_f64_e32 v[46:47], v[20:21], v[72:73]
	v_cvt_f64_f32_e32 v[14:15], v16
	v_cvt_f64_f32_e32 v[16:17], v17
	v_fmac_f64_e32 v[22:23], v[14:15], v[66:67]
	v_fmac_f64_e32 v[46:47], v[16:17], v[66:67]
	v_fma_f64 v[20:21], -v[16:17], v[68:69], v[22:23]
	v_fmac_f64_e32 v[46:47], v[14:15], v[68:69]
	v_cvt_f64_f32_e32 v[14:15], v10
	v_cvt_f64_f32_e32 v[10:11], v11
	v_fmac_f64_e32 v[20:21], v[14:15], v[62:63]
	v_fmac_f64_e32 v[46:47], v[10:11], v[62:63]
	s_waitcnt vmcnt(0)
	v_subrev_u32_e32 v1, s12, v1
	v_fma_f64 v[16:17], -v[10:11], v[64:65], v[20:21]
	v_fmac_f64_e32 v[46:47], v[14:15], v[64:65]
	v_cvt_f64_f32_e32 v[10:11], v12
	v_cvt_f64_f32_e32 v[12:13], v13
	v_lshlrev_b32_e32 v28, 2, v1
	v_fmac_f64_e32 v[16:17], v[10:11], v[34:35]
	v_fmac_f64_e32 v[46:47], v[12:13], v[34:35]
	v_ashrrev_i32_e32 v29, 31, v28
	v_fma_f64 v[64:65], -v[12:13], v[36:37], v[16:17]
	v_fmac_f64_e32 v[46:47], v[10:11], v[36:37]
	global_load_dwordx4 v[10:13], v[56:57], off offset:2096
	global_load_dwordx4 v[14:17], v[56:57], off offset:2080
	;; [unrolled: 1-line block ×4, first 2 shown]
	v_lshl_add_u64 v[62:63], v[28:29], 4, s[4:5]
	global_load_dwordx4 v[28:31], v[62:63], off offset:48
	global_load_dwordx4 v[32:35], v[62:63], off offset:32
	;; [unrolled: 1-line block ×3, first 2 shown]
	global_load_dwordx4 v[74:77], v[62:63], off
	s_waitcnt vmcnt(4)
	v_cvt_f64_f32_e32 v[36:37], v24
	v_cvt_f64_f32_e32 v[24:25], v25
	s_waitcnt vmcnt(0)
	v_fmac_f64_e32 v[18:19], v[36:37], v[74:75]
	v_fmac_f64_e32 v[52:53], v[24:25], v[74:75]
	v_fma_f64 v[18:19], -v[24:25], v[76:77], v[18:19]
	v_fmac_f64_e32 v[52:53], v[36:37], v[76:77]
	v_cvt_f64_f32_e32 v[24:25], v26
	v_cvt_f64_f32_e32 v[26:27], v27
	v_fmac_f64_e32 v[18:19], v[24:25], v[70:71]
	v_fmac_f64_e32 v[52:53], v[26:27], v[70:71]
	v_fma_f64 v[18:19], -v[26:27], v[72:73], v[18:19]
	v_fmac_f64_e32 v[52:53], v[24:25], v[72:73]
	v_cvt_f64_f32_e32 v[24:25], v20
	v_cvt_f64_f32_e32 v[20:21], v21
	v_fmac_f64_e32 v[18:19], v[24:25], v[32:33]
	v_fma_f64 v[18:19], -v[20:21], v[34:35], v[18:19]
	v_fmac_f64_e32 v[52:53], v[20:21], v[32:33]
	v_cvt_f64_f32_e32 v[20:21], v22
	v_cvt_f64_f32_e32 v[22:23], v23
	v_fmac_f64_e32 v[18:19], v[20:21], v[28:29]
	v_fmac_f64_e32 v[52:53], v[24:25], v[34:35]
	v_fma_f64 v[68:69], -v[22:23], v[30:31], v[18:19]
	v_cvt_f64_f32_e32 v[18:19], v14
	v_cvt_f64_f32_e32 v[14:15], v15
	v_fmac_f64_e32 v[52:53], v[22:23], v[28:29]
	v_fmac_f64_e32 v[78:79], v[18:19], v[74:75]
	;; [unrolled: 1-line block ×4, first 2 shown]
	v_fma_f64 v[20:21], -v[14:15], v[76:77], v[78:79]
	v_fmac_f64_e32 v[50:51], v[18:19], v[76:77]
	v_cvt_f64_f32_e32 v[14:15], v16
	v_cvt_f64_f32_e32 v[16:17], v17
	v_fmac_f64_e32 v[20:21], v[14:15], v[70:71]
	v_fmac_f64_e32 v[50:51], v[16:17], v[70:71]
	v_fma_f64 v[18:19], -v[16:17], v[72:73], v[20:21]
	v_fmac_f64_e32 v[50:51], v[14:15], v[72:73]
	v_cvt_f64_f32_e32 v[14:15], v10
	v_cvt_f64_f32_e32 v[10:11], v11
	v_fmac_f64_e32 v[18:19], v[14:15], v[32:33]
	v_fmac_f64_e32 v[50:51], v[10:11], v[32:33]
	;; [unrolled: 6-line block ×3, first 2 shown]
	v_fma_f64 v[62:63], -v[12:13], v[30:31], v[16:17]
	v_fmac_f64_e32 v[50:51], v[10:11], v[30:31]
	global_load_dwordx4 v[10:13], v[56:57], off offset:2160
	global_load_dwordx4 v[14:17], v[56:57], off offset:2144
	;; [unrolled: 1-line block ×4, first 2 shown]
	global_load_dword v1, v[60:61], off offset:32
	v_lshl_add_u64 v[60:61], v[60:61], 0, s[18:19]
	s_waitcnt vmcnt(1)
	v_cvt_f64_f32_e32 v[26:27], v22
	v_cvt_f64_f32_e32 v[22:23], v23
	v_fmac_f64_e32 v[80:81], v[26:27], v[74:75]
	v_fmac_f64_e32 v[48:49], v[22:23], v[74:75]
	v_fma_f64 v[36:37], -v[22:23], v[76:77], v[80:81]
	v_fmac_f64_e32 v[48:49], v[26:27], v[76:77]
	v_cvt_f64_f32_e32 v[22:23], v24
	v_cvt_f64_f32_e32 v[24:25], v25
	v_fmac_f64_e32 v[36:37], v[22:23], v[70:71]
	v_fmac_f64_e32 v[48:49], v[24:25], v[70:71]
	v_fma_f64 v[26:27], -v[24:25], v[72:73], v[36:37]
	v_fmac_f64_e32 v[48:49], v[22:23], v[72:73]
	;; [unrolled: 6-line block ×3, first 2 shown]
	v_cvt_f64_f32_e32 v[18:19], v20
	v_cvt_f64_f32_e32 v[20:21], v21
	v_fmac_f64_e32 v[48:49], v[20:21], v[28:29]
	v_fmac_f64_e32 v[24:25], v[18:19], v[28:29]
	;; [unrolled: 1-line block ×3, first 2 shown]
	v_cvt_f64_f32_e32 v[18:19], v14
	v_cvt_f64_f32_e32 v[14:15], v15
	v_fmac_f64_e32 v[64:65], v[18:19], v[74:75]
	v_fmac_f64_e32 v[46:47], v[14:15], v[74:75]
	v_fma_f64 v[66:67], -v[20:21], v[30:31], v[24:25]
	v_fma_f64 v[20:21], -v[14:15], v[76:77], v[64:65]
	v_fmac_f64_e32 v[46:47], v[18:19], v[76:77]
	v_cvt_f64_f32_e32 v[14:15], v16
	v_cvt_f64_f32_e32 v[16:17], v17
	v_fmac_f64_e32 v[20:21], v[14:15], v[70:71]
	v_fmac_f64_e32 v[46:47], v[16:17], v[70:71]
	v_fma_f64 v[18:19], -v[16:17], v[72:73], v[20:21]
	v_fmac_f64_e32 v[46:47], v[14:15], v[72:73]
	v_cvt_f64_f32_e32 v[14:15], v10
	v_cvt_f64_f32_e32 v[10:11], v11
	v_fmac_f64_e32 v[18:19], v[14:15], v[32:33]
	v_fmac_f64_e32 v[46:47], v[10:11], v[32:33]
	s_waitcnt vmcnt(0)
	v_subrev_u32_e32 v1, s12, v1
	v_fma_f64 v[16:17], -v[10:11], v[34:35], v[18:19]
	v_fmac_f64_e32 v[46:47], v[14:15], v[34:35]
	v_cvt_f64_f32_e32 v[10:11], v12
	v_cvt_f64_f32_e32 v[12:13], v13
	v_lshlrev_b32_e32 v22, 2, v1
	v_fmac_f64_e32 v[16:17], v[10:11], v[28:29]
	v_fmac_f64_e32 v[46:47], v[12:13], v[28:29]
	v_ashrrev_i32_e32 v23, 31, v22
	v_fma_f64 v[64:65], -v[12:13], v[30:31], v[16:17]
	v_fmac_f64_e32 v[46:47], v[10:11], v[30:31]
	global_load_dwordx4 v[10:13], v[56:57], off offset:3120
	global_load_dwordx4 v[14:17], v[56:57], off offset:3104
	;; [unrolled: 1-line block ×4, first 2 shown]
	v_lshl_add_u64 v[76:77], v[22:23], 4, s[4:5]
	global_load_dwordx4 v[22:25], v[76:77], off offset:48
	global_load_dwordx4 v[26:29], v[76:77], off offset:32
	;; [unrolled: 1-line block ×3, first 2 shown]
	global_load_dwordx4 v[34:37], v[76:77], off
	s_waitcnt vmcnt(4)
	v_cvt_f64_f32_e32 v[74:75], v70
	v_cvt_f64_f32_e32 v[70:71], v71
	s_waitcnt vmcnt(0)
	v_fmac_f64_e32 v[68:69], v[74:75], v[34:35]
	v_fmac_f64_e32 v[52:53], v[70:71], v[34:35]
	v_fma_f64 v[68:69], -v[70:71], v[36:37], v[68:69]
	v_fmac_f64_e32 v[52:53], v[74:75], v[36:37]
	v_cvt_f64_f32_e32 v[70:71], v72
	v_cvt_f64_f32_e32 v[72:73], v73
	v_fmac_f64_e32 v[52:53], v[72:73], v[30:31]
	v_fmac_f64_e32 v[68:69], v[70:71], v[30:31]
	;; [unrolled: 1-line block ×3, first 2 shown]
	v_cvt_f64_f32_e32 v[70:71], v18
	v_cvt_f64_f32_e32 v[18:19], v19
	v_fma_f64 v[68:69], -v[72:73], v[32:33], v[68:69]
	v_fmac_f64_e32 v[52:53], v[18:19], v[26:27]
	v_fmac_f64_e32 v[68:69], v[70:71], v[26:27]
	;; [unrolled: 1-line block ×3, first 2 shown]
	v_cvt_f64_f32_e32 v[70:71], v21
	v_fma_f64 v[68:69], -v[18:19], v[28:29], v[68:69]
	v_cvt_f64_f32_e32 v[18:19], v20
	v_fmac_f64_e32 v[52:53], v[70:71], v[22:23]
	v_fmac_f64_e32 v[68:69], v[18:19], v[22:23]
	;; [unrolled: 1-line block ×3, first 2 shown]
	v_cvt_f64_f32_e32 v[18:19], v14
	v_cvt_f64_f32_e32 v[14:15], v15
	v_fmac_f64_e32 v[62:63], v[18:19], v[34:35]
	v_fmac_f64_e32 v[50:51], v[14:15], v[34:35]
	v_fma_f64 v[62:63], -v[14:15], v[36:37], v[62:63]
	v_fmac_f64_e32 v[50:51], v[18:19], v[36:37]
	v_cvt_f64_f32_e32 v[14:15], v16
	v_cvt_f64_f32_e32 v[16:17], v17
	v_fmac_f64_e32 v[62:63], v[14:15], v[30:31]
	v_fmac_f64_e32 v[50:51], v[16:17], v[30:31]
	v_fma_f64 v[18:19], -v[16:17], v[32:33], v[62:63]
	v_fmac_f64_e32 v[50:51], v[14:15], v[32:33]
	;; [unrolled: 6-line block ×3, first 2 shown]
	v_cvt_f64_f32_e32 v[10:11], v12
	v_cvt_f64_f32_e32 v[12:13], v13
	v_fmac_f64_e32 v[16:17], v[10:11], v[22:23]
	v_fmac_f64_e32 v[50:51], v[12:13], v[22:23]
	v_fma_f64 v[20:21], -v[70:71], v[24:25], v[68:69]
	v_fma_f64 v[62:63], -v[12:13], v[24:25], v[16:17]
	v_fmac_f64_e32 v[50:51], v[10:11], v[24:25]
	global_load_dwordx4 v[10:13], v[56:57], off offset:3184
	global_load_dwordx4 v[14:17], v[56:57], off offset:3168
	;; [unrolled: 1-line block ×4, first 2 shown]
	v_lshl_add_u64 v[56:57], v[56:57], 0, s[16:17]
	s_waitcnt vmcnt(0)
	v_cvt_f64_f32_e32 v[18:19], v72
	v_cvt_f64_f32_e32 v[72:73], v73
	v_fmac_f64_e32 v[66:67], v[18:19], v[34:35]
	v_fmac_f64_e32 v[48:49], v[72:73], v[34:35]
	v_fma_f64 v[66:67], -v[72:73], v[36:37], v[66:67]
	v_fmac_f64_e32 v[48:49], v[18:19], v[36:37]
	v_cvt_f64_f32_e32 v[18:19], v74
	v_cvt_f64_f32_e32 v[72:73], v75
	v_fmac_f64_e32 v[66:67], v[18:19], v[30:31]
	v_fmac_f64_e32 v[48:49], v[72:73], v[30:31]
	v_fma_f64 v[66:67], -v[72:73], v[32:33], v[66:67]
	v_fmac_f64_e32 v[48:49], v[18:19], v[32:33]
	v_cvt_f64_f32_e32 v[18:19], v68
	v_cvt_f64_f32_e32 v[68:69], v69
	v_fmac_f64_e32 v[66:67], v[18:19], v[26:27]
	v_fma_f64 v[66:67], -v[68:69], v[28:29], v[66:67]
	v_fmac_f64_e32 v[48:49], v[68:69], v[26:27]
	v_cvt_f64_f32_e32 v[68:69], v70
	v_cvt_f64_f32_e32 v[70:71], v71
	v_fmac_f64_e32 v[66:67], v[68:69], v[22:23]
	v_fmac_f64_e32 v[48:49], v[18:19], v[28:29]
	v_fma_f64 v[18:19], -v[70:71], v[24:25], v[66:67]
	v_cvt_f64_f32_e32 v[66:67], v14
	v_cvt_f64_f32_e32 v[14:15], v15
	v_fmac_f64_e32 v[64:65], v[66:67], v[34:35]
	v_fmac_f64_e32 v[46:47], v[14:15], v[34:35]
	v_fma_f64 v[64:65], -v[14:15], v[36:37], v[64:65]
	v_fmac_f64_e32 v[46:47], v[66:67], v[36:37]
	v_cvt_f64_f32_e32 v[14:15], v16
	v_cvt_f64_f32_e32 v[16:17], v17
	v_fmac_f64_e32 v[64:65], v[14:15], v[30:31]
	v_fmac_f64_e32 v[46:47], v[16:17], v[30:31]
	v_fma_f64 v[34:35], -v[16:17], v[32:33], v[64:65]
	v_fmac_f64_e32 v[46:47], v[14:15], v[32:33]
	;; [unrolled: 6-line block ×3, first 2 shown]
	v_cvt_f64_f32_e32 v[10:11], v12
	v_cvt_f64_f32_e32 v[12:13], v13
	v_fmac_f64_e32 v[48:49], v[70:71], v[22:23]
	v_fmac_f64_e32 v[16:17], v[10:11], v[22:23]
	;; [unrolled: 1-line block ×4, first 2 shown]
	v_fma_f64 v[26:27], -v[12:13], v[24:25], v[16:17]
	v_fmac_f64_e32 v[46:47], v[10:11], v[24:25]
	s_andn2_b64 exec, exec, s[14:15]
	s_cbranch_execnz .LBB171_19
; %bb.20:
	s_or_b64 exec, exec, s[14:15]
.LBB171_21:
	s_or_b64 exec, exec, s[10:11]
.LBB171_22:
	s_or_b64 exec, exec, s[6:7]
	s_cbranch_execz .LBB171_24
	s_branch .LBB171_35
.LBB171_23:
                                        ; implicit-def: $vgpr52_vgpr53
                                        ; implicit-def: $vgpr20_vgpr21
                                        ; implicit-def: $vgpr50_vgpr51
                                        ; implicit-def: $vgpr62_vgpr63
                                        ; implicit-def: $vgpr48_vgpr49
                                        ; implicit-def: $vgpr18_vgpr19
                                        ; implicit-def: $vgpr46_vgpr47
                                        ; implicit-def: $vgpr26_vgpr27
.LBB171_24:
	v_mov_b64_e32 v[52:53], 0
	v_mov_b64_e32 v[20:21], 0
	;; [unrolled: 1-line block ×8, first 2 shown]
	s_and_saveexec_b64 s[6:7], s[2:3]
	s_cbranch_execz .LBB171_34
; %bb.25:
	v_or_b32_e32 v1, 8, v0
	v_subrev_co_u32_e32 v10, vcc, s12, v1
	v_not_b32_e32 v13, v55
	s_nop 0
	v_subb_co_u32_e64 v11, s[2:3], 0, 0, vcc
	v_lshl_add_u64 v[10:11], v[10:11], 0, v[54:55]
	v_cmp_gt_i64_e32 vcc, v[10:11], v[42:43]
	v_not_b32_e32 v12, v54
	v_mov_b64_e32 v[26:27], 0
	v_cndmask_b32_e32 v11, v43, v11, vcc
	v_cndmask_b32_e32 v10, v42, v10, vcc
	v_sub_co_u32_e32 v14, vcc, s12, v0
	v_mov_b64_e32 v[46:47], 0
	s_nop 0
	v_subb_co_u32_e64 v15, s[2:3], 0, 0, vcc
	v_lshl_add_u64 v[12:13], v[14:15], 0, v[12:13]
	v_lshl_add_u64 v[10:11], v[12:13], 0, v[10:11]
	v_and_b32_e32 v12, 24, v10
	v_mov_b32_e32 v13, 0
	v_cmp_ne_u64_e32 vcc, 24, v[12:13]
	v_mov_b64_e32 v[18:19], 0
	v_mov_b64_e32 v[48:49], 0
	;; [unrolled: 1-line block ×6, first 2 shown]
	s_and_saveexec_b64 s[2:3], vcc
	s_cbranch_execz .LBB171_29
; %bb.26:
	v_lshrrev_b32_e32 v1, 3, v10
	v_add_u32_e32 v1, 1, v1
	v_and_b32_e32 v1, 3, v1
	v_sub_co_u32_e32 v14, vcc, 0, v1
	v_lshl_add_u64 v[12:13], v[40:41], 2, s[8:9]
	s_nop 0
	v_subb_co_u32_e64 v15, s[14:15], 0, 0, vcc
	s_mov_b64 s[10:11], 0
	v_mov_b64_e32 v[52:53], 0
	s_mov_b64 s[14:15], 0x400
	v_mov_b64_e32 v[20:21], 0
	v_mov_b64_e32 v[50:51], 0
	;; [unrolled: 1-line block ×7, first 2 shown]
.LBB171_27:                             ; =>This Inner Loop Header: Depth=1
	global_load_dword v1, v[12:13], off
	global_load_dwordx4 v[22:25], v[44:45], off
	global_load_dwordx4 v[28:31], v[44:45], off offset:16
	global_load_dwordx4 v[32:35], v[44:45], off offset:32
	;; [unrolled: 1-line block ×7, first 2 shown]
	v_lshl_add_u64 v[14:15], v[14:15], 0, 1
	v_cmp_eq_u64_e32 vcc, 0, v[14:15]
	v_lshl_add_u64 v[44:45], v[44:45], 0, s[14:15]
	v_lshl_add_u64 v[40:41], v[40:41], 0, 8
	;; [unrolled: 1-line block ×3, first 2 shown]
	s_or_b64 s[10:11], vcc, s[10:11]
	s_waitcnt vmcnt(8)
	v_subrev_u32_e32 v1, s12, v1
	s_waitcnt vmcnt(7)
	v_cvt_f64_f32_e32 v[16:17], v22
	v_lshlrev_b32_e32 v22, 2, v1
	v_cvt_f64_f32_e32 v[36:37], v23
	v_ashrrev_i32_e32 v23, 31, v22
	s_waitcnt lgkmcnt(0)
	v_lshl_add_u64 v[104:105], v[22:23], 4, s[4:5]
	v_cvt_f64_f32_e32 v[80:81], v24
	v_cvt_f64_f32_e32 v[82:83], v25
	s_waitcnt vmcnt(6)
	v_cvt_f64_f32_e32 v[84:85], v28
	v_cvt_f64_f32_e32 v[86:87], v29
	;; [unrolled: 1-line block ×4, first 2 shown]
	s_waitcnt vmcnt(5)
	v_cvt_f64_f32_e32 v[92:93], v32
	v_cvt_f64_f32_e32 v[94:95], v33
	;; [unrolled: 1-line block ×4, first 2 shown]
	global_load_dwordx4 v[22:25], v[104:105], off
	global_load_dwordx4 v[28:31], v[104:105], off offset:16
	global_load_dwordx4 v[32:35], v[104:105], off offset:32
	global_load_dwordx4 v[76:79], v[104:105], off offset:48
	s_waitcnt vmcnt(8)
	v_cvt_f64_f32_e32 v[100:101], v54
	v_cvt_f64_f32_e32 v[54:55], v55
	v_cvt_f64_f32_e32 v[102:103], v56
	v_cvt_f64_f32_e32 v[56:57], v57
	s_waitcnt vmcnt(7)
	v_cvt_f64_f32_e32 v[104:105], v58
	v_cvt_f64_f32_e32 v[58:59], v59
	v_cvt_f64_f32_e32 v[106:107], v60
	v_cvt_f64_f32_e32 v[60:61], v61
	;; [unrolled: 5-line block ×5, first 2 shown]
	s_waitcnt vmcnt(3)
	v_fmac_f64_e32 v[20:21], v[16:17], v[22:23]
	v_fmac_f64_e32 v[52:53], v[36:37], v[22:23]
	v_fmac_f64_e32 v[62:63], v[80:81], v[22:23]
	v_fmac_f64_e32 v[50:51], v[82:83], v[22:23]
	v_fmac_f64_e32 v[18:19], v[84:85], v[22:23]
	v_fmac_f64_e32 v[48:49], v[86:87], v[22:23]
	v_fmac_f64_e32 v[26:27], v[88:89], v[22:23]
	v_fmac_f64_e32 v[46:47], v[90:91], v[22:23]
	v_fma_f64 v[20:21], -v[36:37], v[24:25], v[20:21]
	v_fmac_f64_e32 v[52:53], v[16:17], v[24:25]
	v_fma_f64 v[16:17], -v[82:83], v[24:25], v[62:63]
	v_fmac_f64_e32 v[50:51], v[80:81], v[24:25]
	v_fma_f64 v[18:19], -v[86:87], v[24:25], v[18:19]
	v_fmac_f64_e32 v[48:49], v[84:85], v[24:25]
	v_fma_f64 v[22:23], -v[90:91], v[24:25], v[26:27]
	v_fmac_f64_e32 v[46:47], v[88:89], v[24:25]
	s_waitcnt vmcnt(2)
	v_fmac_f64_e32 v[20:21], v[92:93], v[28:29]
	v_fmac_f64_e32 v[52:53], v[94:95], v[28:29]
	v_fmac_f64_e32 v[16:17], v[96:97], v[28:29]
	v_fmac_f64_e32 v[50:51], v[98:99], v[28:29]
	v_fmac_f64_e32 v[18:19], v[100:101], v[28:29]
	v_fmac_f64_e32 v[48:49], v[54:55], v[28:29]
	v_fmac_f64_e32 v[22:23], v[102:103], v[28:29]
	v_fmac_f64_e32 v[46:47], v[56:57], v[28:29]
	v_fma_f64 v[20:21], -v[94:95], v[30:31], v[20:21]
	v_fmac_f64_e32 v[52:53], v[92:93], v[30:31]
	v_fma_f64 v[16:17], -v[98:99], v[30:31], v[16:17]
	v_fmac_f64_e32 v[50:51], v[96:97], v[30:31]
	v_fma_f64 v[18:19], -v[54:55], v[30:31], v[18:19]
	v_fmac_f64_e32 v[48:49], v[100:101], v[30:31]
	v_fma_f64 v[22:23], -v[56:57], v[30:31], v[22:23]
	v_fmac_f64_e32 v[46:47], v[102:103], v[30:31]
	;; [unrolled: 17-line block ×4, first 2 shown]
	s_andn2_b64 exec, exec, s[10:11]
	s_cbranch_execnz .LBB171_27
; %bb.28:
	s_or_b64 exec, exec, s[10:11]
.LBB171_29:
	s_or_b64 exec, exec, s[2:3]
	v_cmp_lt_u64_e32 vcc, 23, v[10:11]
	s_and_saveexec_b64 s[2:3], vcc
	s_cbranch_execz .LBB171_33
; %bb.30:
	v_lshl_add_u64 v[10:11], v[40:41], 2, s[8:9]
	v_lshl_add_u64 v[30:31], v[10:11], 0, 64
	s_mov_b64 s[8:9], 0
	s_mov_b64 s[10:11], 0x1000
	;; [unrolled: 1-line block ×3, first 2 shown]
.LBB171_31:                             ; =>This Inner Loop Header: Depth=1
	global_load_dword v1, v[30:31], off offset:-64
	global_load_dwordx4 v[14:17], v[44:45], off offset:48
	global_load_dwordx4 v[22:25], v[44:45], off offset:32
	global_load_dwordx4 v[32:35], v[44:45], off offset:16
	global_load_dwordx4 v[54:57], v[44:45], off
	v_lshl_add_u64 v[40:41], v[40:41], 0, 32
	v_cmp_ge_i64_e32 vcc, v[40:41], v[42:43]
	s_or_b64 s[8:9], vcc, s[8:9]
	s_waitcnt vmcnt(4)
	v_subrev_u32_e32 v1, s12, v1
	v_lshlrev_b32_e32 v10, 2, v1
	v_ashrrev_i32_e32 v11, 31, v10
	s_waitcnt vmcnt(0)
	v_cvt_f64_f32_e32 v[28:29], v54
	v_cvt_f64_f32_e32 v[36:37], v55
	s_waitcnt lgkmcnt(0)
	v_lshl_add_u64 v[54:55], v[10:11], 4, s[4:5]
	global_load_dwordx4 v[10:13], v[54:55], off offset:48
	global_load_dwordx4 v[58:61], v[54:55], off offset:32
	;; [unrolled: 1-line block ×3, first 2 shown]
	global_load_dwordx4 v[68:71], v[54:55], off
	s_waitcnt vmcnt(0)
	v_fmac_f64_e32 v[20:21], v[28:29], v[68:69]
	v_fma_f64 v[20:21], -v[36:37], v[70:71], v[20:21]
	v_fmac_f64_e32 v[52:53], v[36:37], v[68:69]
	v_cvt_f64_f32_e32 v[36:37], v57
	v_fmac_f64_e32 v[52:53], v[28:29], v[70:71]
	v_cvt_f64_f32_e32 v[28:29], v56
	v_fmac_f64_e32 v[50:51], v[36:37], v[68:69]
	v_fmac_f64_e32 v[62:63], v[28:29], v[68:69]
	;; [unrolled: 1-line block ×3, first 2 shown]
	v_cvt_f64_f32_e32 v[28:29], v32
	v_cvt_f64_f32_e32 v[32:33], v33
	v_fmac_f64_e32 v[18:19], v[28:29], v[68:69]
	v_fma_f64 v[18:19], -v[32:33], v[70:71], v[18:19]
	v_fmac_f64_e32 v[48:49], v[32:33], v[68:69]
	v_cvt_f64_f32_e32 v[32:33], v35
	v_fmac_f64_e32 v[48:49], v[28:29], v[70:71]
	v_cvt_f64_f32_e32 v[28:29], v34
	v_fmac_f64_e32 v[46:47], v[32:33], v[68:69]
	v_fmac_f64_e32 v[26:27], v[28:29], v[68:69]
	;; [unrolled: 1-line block ×3, first 2 shown]
	v_cvt_f64_f32_e32 v[28:29], v22
	v_cvt_f64_f32_e32 v[22:23], v23
	v_fmac_f64_e32 v[20:21], v[28:29], v[64:65]
	v_fma_f64 v[26:27], -v[32:33], v[70:71], v[26:27]
	v_fma_f64 v[32:33], -v[22:23], v[66:67], v[20:21]
	v_fmac_f64_e32 v[52:53], v[22:23], v[64:65]
	v_cvt_f64_f32_e32 v[22:23], v25
	v_fma_f64 v[54:55], -v[36:37], v[70:71], v[62:63]
	v_cvt_f64_f32_e32 v[20:21], v24
	v_fmac_f64_e32 v[50:51], v[22:23], v[64:65]
	v_fmac_f64_e32 v[54:55], v[20:21], v[64:65]
	;; [unrolled: 1-line block ×3, first 2 shown]
	v_cvt_f64_f32_e32 v[20:21], v14
	v_cvt_f64_f32_e32 v[14:15], v15
	v_fmac_f64_e32 v[18:19], v[20:21], v[64:65]
	v_fma_f64 v[36:37], -v[14:15], v[66:67], v[18:19]
	v_fmac_f64_e32 v[48:49], v[14:15], v[64:65]
	v_cvt_f64_f32_e32 v[14:15], v16
	v_cvt_f64_f32_e32 v[16:17], v17
	v_fmac_f64_e32 v[26:27], v[14:15], v[64:65]
	v_fmac_f64_e32 v[46:47], v[16:17], v[64:65]
	;; [unrolled: 1-line block ×3, first 2 shown]
	v_fma_f64 v[34:35], -v[22:23], v[66:67], v[54:55]
	v_fmac_f64_e32 v[48:49], v[20:21], v[66:67]
	v_fma_f64 v[54:55], -v[16:17], v[66:67], v[26:27]
	v_fmac_f64_e32 v[46:47], v[14:15], v[66:67]
	global_load_dwordx4 v[14:17], v[44:45], off offset:112
	global_load_dwordx4 v[18:21], v[44:45], off offset:96
	;; [unrolled: 1-line block ×4, first 2 shown]
	global_load_dword v1, v[30:31], off offset:-32
	s_waitcnt vmcnt(1)
	v_cvt_f64_f32_e32 v[56:57], v26
	v_cvt_f64_f32_e32 v[26:27], v27
	v_fmac_f64_e32 v[32:33], v[56:57], v[58:59]
	v_fma_f64 v[32:33], -v[26:27], v[60:61], v[32:33]
	v_fmac_f64_e32 v[52:53], v[26:27], v[58:59]
	v_cvt_f64_f32_e32 v[26:27], v28
	v_cvt_f64_f32_e32 v[28:29], v29
	v_fmac_f64_e32 v[50:51], v[28:29], v[58:59]
	v_fmac_f64_e32 v[34:35], v[26:27], v[58:59]
	;; [unrolled: 1-line block ×3, first 2 shown]
	v_cvt_f64_f32_e32 v[26:27], v22
	v_cvt_f64_f32_e32 v[22:23], v23
	v_fmac_f64_e32 v[36:37], v[26:27], v[58:59]
	v_fma_f64 v[34:35], -v[28:29], v[60:61], v[34:35]
	v_fma_f64 v[28:29], -v[22:23], v[60:61], v[36:37]
	v_fmac_f64_e32 v[48:49], v[22:23], v[58:59]
	v_cvt_f64_f32_e32 v[22:23], v24
	v_cvt_f64_f32_e32 v[24:25], v25
	v_fmac_f64_e32 v[46:47], v[24:25], v[58:59]
	v_fmac_f64_e32 v[54:55], v[22:23], v[58:59]
	;; [unrolled: 1-line block ×3, first 2 shown]
	v_cvt_f64_f32_e32 v[22:23], v18
	v_fmac_f64_e32 v[52:53], v[56:57], v[60:61]
	v_cvt_f64_f32_e32 v[18:19], v19
	v_fmac_f64_e32 v[32:33], v[22:23], v[10:11]
	v_fma_f64 v[70:71], -v[18:19], v[12:13], v[32:33]
	v_fmac_f64_e32 v[52:53], v[18:19], v[10:11]
	v_cvt_f64_f32_e32 v[18:19], v20
	v_cvt_f64_f32_e32 v[20:21], v21
	v_fmac_f64_e32 v[50:51], v[20:21], v[10:11]
	v_fmac_f64_e32 v[34:35], v[18:19], v[10:11]
	v_fmac_f64_e32 v[50:51], v[18:19], v[12:13]
	v_cvt_f64_f32_e32 v[18:19], v14
	v_fmac_f64_e32 v[48:49], v[26:27], v[60:61]
	v_cvt_f64_f32_e32 v[14:15], v15
	v_fmac_f64_e32 v[28:29], v[18:19], v[10:11]
	s_waitcnt vmcnt(0)
	v_subrev_u32_e32 v1, s12, v1
	v_fma_f64 v[36:37], -v[24:25], v[60:61], v[54:55]
	v_fma_f64 v[24:25], -v[14:15], v[12:13], v[28:29]
	v_fmac_f64_e32 v[48:49], v[14:15], v[10:11]
	v_cvt_f64_f32_e32 v[14:15], v16
	v_cvt_f64_f32_e32 v[16:17], v17
	v_lshlrev_b32_e32 v28, 2, v1
	v_fmac_f64_e32 v[36:37], v[14:15], v[10:11]
	v_fmac_f64_e32 v[46:47], v[16:17], v[10:11]
	v_ashrrev_i32_e32 v29, 31, v28
	v_fmac_f64_e32 v[52:53], v[22:23], v[12:13]
	v_fma_f64 v[26:27], -v[20:21], v[12:13], v[34:35]
	v_fmac_f64_e32 v[48:49], v[18:19], v[12:13]
	v_fma_f64 v[22:23], -v[16:17], v[12:13], v[36:37]
	v_fmac_f64_e32 v[46:47], v[14:15], v[12:13]
	global_load_dwordx4 v[10:13], v[44:45], off offset:1072
	global_load_dwordx4 v[14:17], v[44:45], off offset:1056
	global_load_dwordx4 v[18:21], v[44:45], off offset:1040
	global_load_dwordx4 v[32:35], v[44:45], off offset:1024
	v_lshl_add_u64 v[28:29], v[28:29], 4, s[4:5]
	global_load_dwordx4 v[54:57], v[28:29], off offset:48
	global_load_dwordx4 v[58:61], v[28:29], off offset:32
	;; [unrolled: 1-line block ×3, first 2 shown]
	global_load_dwordx4 v[66:69], v[28:29], off
	s_waitcnt vmcnt(4)
	v_cvt_f64_f32_e32 v[36:37], v32
	v_cvt_f64_f32_e32 v[32:33], v33
	s_waitcnt vmcnt(0)
	v_fmac_f64_e32 v[70:71], v[36:37], v[66:67]
	v_fma_f64 v[28:29], -v[32:33], v[68:69], v[70:71]
	v_fmac_f64_e32 v[52:53], v[32:33], v[66:67]
	v_cvt_f64_f32_e32 v[32:33], v34
	v_cvt_f64_f32_e32 v[34:35], v35
	v_fmac_f64_e32 v[50:51], v[34:35], v[66:67]
	v_fmac_f64_e32 v[26:27], v[32:33], v[66:67]
	;; [unrolled: 1-line block ×3, first 2 shown]
	v_cvt_f64_f32_e32 v[32:33], v18
	v_cvt_f64_f32_e32 v[18:19], v19
	v_fmac_f64_e32 v[24:25], v[32:33], v[66:67]
	v_fma_f64 v[24:25], -v[18:19], v[68:69], v[24:25]
	v_fmac_f64_e32 v[48:49], v[18:19], v[66:67]
	v_cvt_f64_f32_e32 v[18:19], v20
	v_cvt_f64_f32_e32 v[20:21], v21
	v_fmac_f64_e32 v[46:47], v[20:21], v[66:67]
	v_fmac_f64_e32 v[22:23], v[18:19], v[66:67]
	;; [unrolled: 1-line block ×3, first 2 shown]
	v_cvt_f64_f32_e32 v[18:19], v14
	v_fmac_f64_e32 v[52:53], v[36:37], v[68:69]
	v_cvt_f64_f32_e32 v[14:15], v15
	v_fmac_f64_e32 v[28:29], v[18:19], v[62:63]
	v_fma_f64 v[28:29], -v[14:15], v[64:65], v[28:29]
	v_fmac_f64_e32 v[52:53], v[14:15], v[62:63]
	v_cvt_f64_f32_e32 v[14:15], v16
	v_cvt_f64_f32_e32 v[16:17], v17
	v_fma_f64 v[26:27], -v[34:35], v[68:69], v[26:27]
	v_fmac_f64_e32 v[50:51], v[16:17], v[62:63]
	v_fmac_f64_e32 v[26:27], v[14:15], v[62:63]
	;; [unrolled: 1-line block ×3, first 2 shown]
	v_cvt_f64_f32_e32 v[14:15], v10
	v_fmac_f64_e32 v[48:49], v[32:33], v[68:69]
	v_cvt_f64_f32_e32 v[10:11], v11
	v_fmac_f64_e32 v[24:25], v[14:15], v[62:63]
	v_fma_f64 v[22:23], -v[20:21], v[68:69], v[22:23]
	v_fma_f64 v[32:33], -v[10:11], v[64:65], v[24:25]
	v_fmac_f64_e32 v[48:49], v[10:11], v[62:63]
	v_cvt_f64_f32_e32 v[10:11], v12
	v_cvt_f64_f32_e32 v[12:13], v13
	v_fmac_f64_e32 v[22:23], v[10:11], v[62:63]
	v_fmac_f64_e32 v[46:47], v[12:13], v[62:63]
	;; [unrolled: 1-line block ×3, first 2 shown]
	v_fma_f64 v[26:27], -v[16:17], v[64:65], v[26:27]
	v_fmac_f64_e32 v[48:49], v[14:15], v[64:65]
	v_fma_f64 v[34:35], -v[12:13], v[64:65], v[22:23]
	v_fmac_f64_e32 v[46:47], v[10:11], v[64:65]
	global_load_dwordx4 v[10:13], v[44:45], off offset:1136
	global_load_dwordx4 v[14:17], v[44:45], off offset:1120
	;; [unrolled: 1-line block ×4, first 2 shown]
	global_load_dword v1, v[30:31], off
	s_waitcnt vmcnt(1)
	v_cvt_f64_f32_e32 v[36:37], v22
	v_cvt_f64_f32_e32 v[22:23], v23
	v_fmac_f64_e32 v[28:29], v[36:37], v[58:59]
	v_fma_f64 v[28:29], -v[22:23], v[60:61], v[28:29]
	v_fmac_f64_e32 v[52:53], v[22:23], v[58:59]
	v_cvt_f64_f32_e32 v[22:23], v24
	v_cvt_f64_f32_e32 v[24:25], v25
	v_fmac_f64_e32 v[50:51], v[24:25], v[58:59]
	v_fmac_f64_e32 v[26:27], v[22:23], v[58:59]
	;; [unrolled: 1-line block ×3, first 2 shown]
	v_cvt_f64_f32_e32 v[22:23], v18
	v_cvt_f64_f32_e32 v[18:19], v19
	v_fmac_f64_e32 v[32:33], v[22:23], v[58:59]
	v_fma_f64 v[26:27], -v[24:25], v[60:61], v[26:27]
	v_fma_f64 v[24:25], -v[18:19], v[60:61], v[32:33]
	v_fmac_f64_e32 v[48:49], v[18:19], v[58:59]
	v_cvt_f64_f32_e32 v[18:19], v20
	v_cvt_f64_f32_e32 v[20:21], v21
	v_fmac_f64_e32 v[46:47], v[20:21], v[58:59]
	v_fmac_f64_e32 v[34:35], v[18:19], v[58:59]
	;; [unrolled: 1-line block ×3, first 2 shown]
	v_cvt_f64_f32_e32 v[18:19], v14
	v_fmac_f64_e32 v[52:53], v[36:37], v[60:61]
	v_cvt_f64_f32_e32 v[14:15], v15
	v_fmac_f64_e32 v[28:29], v[18:19], v[54:55]
	v_fma_f64 v[36:37], -v[14:15], v[56:57], v[28:29]
	v_fmac_f64_e32 v[52:53], v[14:15], v[54:55]
	v_cvt_f64_f32_e32 v[14:15], v16
	v_cvt_f64_f32_e32 v[16:17], v17
	v_fmac_f64_e32 v[50:51], v[16:17], v[54:55]
	v_fmac_f64_e32 v[26:27], v[14:15], v[54:55]
	;; [unrolled: 1-line block ×3, first 2 shown]
	v_cvt_f64_f32_e32 v[14:15], v10
	v_fmac_f64_e32 v[48:49], v[22:23], v[60:61]
	v_cvt_f64_f32_e32 v[10:11], v11
	v_fmac_f64_e32 v[24:25], v[14:15], v[54:55]
	s_waitcnt vmcnt(0)
	v_subrev_u32_e32 v1, s12, v1
	v_fma_f64 v[22:23], -v[20:21], v[60:61], v[34:35]
	v_fma_f64 v[62:63], -v[16:17], v[56:57], v[26:27]
	;; [unrolled: 1-line block ×3, first 2 shown]
	v_fmac_f64_e32 v[48:49], v[10:11], v[54:55]
	v_cvt_f64_f32_e32 v[10:11], v12
	v_cvt_f64_f32_e32 v[12:13], v13
	v_lshlrev_b32_e32 v26, 2, v1
	v_fmac_f64_e32 v[22:23], v[10:11], v[54:55]
	v_fmac_f64_e32 v[46:47], v[12:13], v[54:55]
	v_ashrrev_i32_e32 v27, 31, v26
	v_fmac_f64_e32 v[52:53], v[18:19], v[56:57]
	v_fmac_f64_e32 v[48:49], v[14:15], v[56:57]
	v_fma_f64 v[66:67], -v[12:13], v[56:57], v[22:23]
	v_fmac_f64_e32 v[46:47], v[10:11], v[56:57]
	global_load_dwordx4 v[10:13], v[44:45], off offset:2096
	global_load_dwordx4 v[14:17], v[44:45], off offset:2080
	;; [unrolled: 1-line block ×4, first 2 shown]
	v_lshl_add_u64 v[70:71], v[26:27], 4, s[4:5]
	global_load_dwordx4 v[26:29], v[70:71], off offset:48
	global_load_dwordx4 v[32:35], v[70:71], off offset:32
	;; [unrolled: 1-line block ×3, first 2 shown]
	global_load_dwordx4 v[58:61], v[70:71], off
	s_waitcnt vmcnt(4)
	v_cvt_f64_f32_e32 v[68:69], v22
	v_cvt_f64_f32_e32 v[22:23], v23
	s_waitcnt vmcnt(0)
	v_fmac_f64_e32 v[36:37], v[68:69], v[58:59]
	v_fma_f64 v[36:37], -v[22:23], v[60:61], v[36:37]
	v_fmac_f64_e32 v[52:53], v[22:23], v[58:59]
	v_cvt_f64_f32_e32 v[22:23], v24
	v_cvt_f64_f32_e32 v[24:25], v25
	v_fmac_f64_e32 v[50:51], v[24:25], v[58:59]
	v_fmac_f64_e32 v[62:63], v[22:23], v[58:59]
	v_fmac_f64_e32 v[50:51], v[22:23], v[60:61]
	v_cvt_f64_f32_e32 v[22:23], v18
	v_cvt_f64_f32_e32 v[18:19], v19
	v_fmac_f64_e32 v[64:65], v[22:23], v[58:59]
	v_fma_f64 v[62:63], -v[24:25], v[60:61], v[62:63]
	v_fma_f64 v[24:25], -v[18:19], v[60:61], v[64:65]
	v_fmac_f64_e32 v[48:49], v[18:19], v[58:59]
	v_cvt_f64_f32_e32 v[18:19], v20
	v_cvt_f64_f32_e32 v[20:21], v21
	v_fmac_f64_e32 v[46:47], v[20:21], v[58:59]
	v_fmac_f64_e32 v[66:67], v[18:19], v[58:59]
	;; [unrolled: 1-line block ×3, first 2 shown]
	v_cvt_f64_f32_e32 v[18:19], v14
	v_fmac_f64_e32 v[52:53], v[68:69], v[60:61]
	v_cvt_f64_f32_e32 v[14:15], v15
	v_fmac_f64_e32 v[36:37], v[18:19], v[54:55]
	v_fma_f64 v[36:37], -v[14:15], v[56:57], v[36:37]
	v_fmac_f64_e32 v[52:53], v[14:15], v[54:55]
	v_cvt_f64_f32_e32 v[14:15], v16
	v_cvt_f64_f32_e32 v[16:17], v17
	v_fmac_f64_e32 v[50:51], v[16:17], v[54:55]
	v_fmac_f64_e32 v[62:63], v[14:15], v[54:55]
	;; [unrolled: 1-line block ×3, first 2 shown]
	v_cvt_f64_f32_e32 v[14:15], v10
	v_fmac_f64_e32 v[48:49], v[22:23], v[60:61]
	v_cvt_f64_f32_e32 v[10:11], v11
	v_fmac_f64_e32 v[24:25], v[14:15], v[54:55]
	v_fma_f64 v[22:23], -v[20:21], v[60:61], v[66:67]
	v_fma_f64 v[60:61], -v[10:11], v[56:57], v[24:25]
	v_fmac_f64_e32 v[48:49], v[10:11], v[54:55]
	v_cvt_f64_f32_e32 v[10:11], v12
	v_cvt_f64_f32_e32 v[12:13], v13
	v_fmac_f64_e32 v[22:23], v[10:11], v[54:55]
	v_fmac_f64_e32 v[46:47], v[12:13], v[54:55]
	;; [unrolled: 1-line block ×3, first 2 shown]
	v_fma_f64 v[58:59], -v[16:17], v[56:57], v[62:63]
	v_fmac_f64_e32 v[48:49], v[14:15], v[56:57]
	v_fma_f64 v[62:63], -v[12:13], v[56:57], v[22:23]
	v_fmac_f64_e32 v[46:47], v[10:11], v[56:57]
	global_load_dwordx4 v[10:13], v[44:45], off offset:2160
	global_load_dwordx4 v[14:17], v[44:45], off offset:2144
	;; [unrolled: 1-line block ×4, first 2 shown]
	global_load_dword v1, v[30:31], off offset:32
	v_lshl_add_u64 v[30:31], v[30:31], 0, s[14:15]
	s_waitcnt vmcnt(1)
	v_cvt_f64_f32_e32 v[54:55], v22
	v_cvt_f64_f32_e32 v[22:23], v23
	v_fmac_f64_e32 v[36:37], v[54:55], v[32:33]
	v_fma_f64 v[36:37], -v[22:23], v[34:35], v[36:37]
	v_fmac_f64_e32 v[52:53], v[22:23], v[32:33]
	v_cvt_f64_f32_e32 v[22:23], v24
	v_cvt_f64_f32_e32 v[24:25], v25
	v_fmac_f64_e32 v[50:51], v[24:25], v[32:33]
	v_fmac_f64_e32 v[58:59], v[22:23], v[32:33]
	;; [unrolled: 1-line block ×3, first 2 shown]
	v_cvt_f64_f32_e32 v[22:23], v18
	v_cvt_f64_f32_e32 v[18:19], v19
	v_fmac_f64_e32 v[60:61], v[22:23], v[32:33]
	v_fma_f64 v[56:57], -v[24:25], v[34:35], v[58:59]
	v_fma_f64 v[24:25], -v[18:19], v[34:35], v[60:61]
	v_fmac_f64_e32 v[48:49], v[18:19], v[32:33]
	v_cvt_f64_f32_e32 v[18:19], v20
	v_cvt_f64_f32_e32 v[20:21], v21
	v_fmac_f64_e32 v[46:47], v[20:21], v[32:33]
	v_fmac_f64_e32 v[62:63], v[18:19], v[32:33]
	;; [unrolled: 1-line block ×3, first 2 shown]
	v_cvt_f64_f32_e32 v[18:19], v14
	v_fmac_f64_e32 v[52:53], v[54:55], v[34:35]
	v_cvt_f64_f32_e32 v[14:15], v15
	v_fmac_f64_e32 v[36:37], v[18:19], v[26:27]
	v_fma_f64 v[54:55], -v[14:15], v[28:29], v[36:37]
	v_fmac_f64_e32 v[52:53], v[14:15], v[26:27]
	v_cvt_f64_f32_e32 v[14:15], v16
	v_cvt_f64_f32_e32 v[16:17], v17
	v_fmac_f64_e32 v[50:51], v[16:17], v[26:27]
	v_fmac_f64_e32 v[56:57], v[14:15], v[26:27]
	;; [unrolled: 1-line block ×3, first 2 shown]
	v_cvt_f64_f32_e32 v[14:15], v10
	v_fmac_f64_e32 v[48:49], v[22:23], v[34:35]
	v_cvt_f64_f32_e32 v[10:11], v11
	v_fmac_f64_e32 v[24:25], v[14:15], v[26:27]
	v_fma_f64 v[22:23], -v[20:21], v[34:35], v[62:63]
	v_fma_f64 v[34:35], -v[10:11], v[28:29], v[24:25]
	v_fmac_f64_e32 v[48:49], v[10:11], v[26:27]
	v_cvt_f64_f32_e32 v[10:11], v12
	v_cvt_f64_f32_e32 v[12:13], v13
	v_fmac_f64_e32 v[22:23], v[10:11], v[26:27]
	s_waitcnt vmcnt(0)
	v_subrev_u32_e32 v1, s12, v1
	v_fma_f64 v[32:33], -v[12:13], v[28:29], v[22:23]
	v_lshlrev_b32_e32 v22, 2, v1
	v_fmac_f64_e32 v[46:47], v[12:13], v[26:27]
	v_ashrrev_i32_e32 v23, 31, v22
	v_fmac_f64_e32 v[52:53], v[18:19], v[28:29]
	v_fma_f64 v[36:37], -v[16:17], v[28:29], v[56:57]
	v_fmac_f64_e32 v[48:49], v[14:15], v[28:29]
	v_fmac_f64_e32 v[46:47], v[10:11], v[28:29]
	global_load_dwordx4 v[10:13], v[44:45], off offset:3120
	global_load_dwordx4 v[14:17], v[44:45], off offset:3104
	;; [unrolled: 1-line block ×4, first 2 shown]
	v_lshl_add_u64 v[70:71], v[22:23], 4, s[4:5]
	global_load_dwordx4 v[22:25], v[70:71], off offset:48
	global_load_dwordx4 v[26:29], v[70:71], off offset:32
	;; [unrolled: 1-line block ×3, first 2 shown]
	global_load_dwordx4 v[64:67], v[70:71], off
	s_waitcnt vmcnt(4)
	v_cvt_f64_f32_e32 v[68:69], v56
	v_cvt_f64_f32_e32 v[56:57], v57
	s_waitcnt vmcnt(0)
	v_fmac_f64_e32 v[54:55], v[68:69], v[64:65]
	v_fma_f64 v[54:55], -v[56:57], v[66:67], v[54:55]
	v_fmac_f64_e32 v[52:53], v[56:57], v[64:65]
	v_cvt_f64_f32_e32 v[56:57], v58
	v_cvt_f64_f32_e32 v[58:59], v59
	v_fmac_f64_e32 v[50:51], v[58:59], v[64:65]
	v_fmac_f64_e32 v[36:37], v[56:57], v[64:65]
	;; [unrolled: 1-line block ×3, first 2 shown]
	v_cvt_f64_f32_e32 v[56:57], v18
	v_cvt_f64_f32_e32 v[18:19], v19
	v_fmac_f64_e32 v[34:35], v[56:57], v[64:65]
	v_fma_f64 v[34:35], -v[18:19], v[66:67], v[34:35]
	v_fmac_f64_e32 v[48:49], v[18:19], v[64:65]
	v_cvt_f64_f32_e32 v[18:19], v20
	v_cvt_f64_f32_e32 v[20:21], v21
	v_fmac_f64_e32 v[46:47], v[20:21], v[64:65]
	v_fmac_f64_e32 v[32:33], v[18:19], v[64:65]
	;; [unrolled: 1-line block ×3, first 2 shown]
	v_cvt_f64_f32_e32 v[18:19], v14
	v_fmac_f64_e32 v[52:53], v[68:69], v[66:67]
	v_cvt_f64_f32_e32 v[14:15], v15
	v_fmac_f64_e32 v[54:55], v[18:19], v[60:61]
	v_fma_f64 v[54:55], -v[14:15], v[62:63], v[54:55]
	v_fmac_f64_e32 v[52:53], v[14:15], v[60:61]
	v_cvt_f64_f32_e32 v[14:15], v16
	v_cvt_f64_f32_e32 v[16:17], v17
	v_fma_f64 v[36:37], -v[58:59], v[66:67], v[36:37]
	v_fmac_f64_e32 v[50:51], v[16:17], v[60:61]
	v_fmac_f64_e32 v[36:37], v[14:15], v[60:61]
	;; [unrolled: 1-line block ×3, first 2 shown]
	v_cvt_f64_f32_e32 v[14:15], v10
	v_fmac_f64_e32 v[48:49], v[56:57], v[66:67]
	v_cvt_f64_f32_e32 v[10:11], v11
	v_fmac_f64_e32 v[34:35], v[14:15], v[60:61]
	v_fma_f64 v[32:33], -v[20:21], v[66:67], v[32:33]
	v_fma_f64 v[56:57], -v[10:11], v[62:63], v[34:35]
	v_fmac_f64_e32 v[48:49], v[10:11], v[60:61]
	v_cvt_f64_f32_e32 v[10:11], v12
	v_cvt_f64_f32_e32 v[12:13], v13
	v_fmac_f64_e32 v[32:33], v[10:11], v[60:61]
	v_fmac_f64_e32 v[46:47], v[12:13], v[60:61]
	;; [unrolled: 1-line block ×3, first 2 shown]
	v_fma_f64 v[36:37], -v[16:17], v[62:63], v[36:37]
	v_fmac_f64_e32 v[48:49], v[14:15], v[62:63]
	v_fma_f64 v[58:59], -v[12:13], v[62:63], v[32:33]
	v_fmac_f64_e32 v[46:47], v[10:11], v[62:63]
	global_load_dwordx4 v[10:13], v[44:45], off offset:3184
	global_load_dwordx4 v[14:17], v[44:45], off offset:3168
	;; [unrolled: 1-line block ×4, first 2 shown]
	v_lshl_add_u64 v[44:45], v[44:45], 0, s[10:11]
	s_waitcnt vmcnt(0)
	v_cvt_f64_f32_e32 v[60:61], v32
	v_cvt_f64_f32_e32 v[32:33], v33
	v_fmac_f64_e32 v[54:55], v[60:61], v[26:27]
	v_fma_f64 v[54:55], -v[32:33], v[28:29], v[54:55]
	v_fmac_f64_e32 v[52:53], v[32:33], v[26:27]
	v_cvt_f64_f32_e32 v[32:33], v34
	v_cvt_f64_f32_e32 v[34:35], v35
	v_fmac_f64_e32 v[50:51], v[34:35], v[26:27]
	v_fmac_f64_e32 v[36:37], v[32:33], v[26:27]
	;; [unrolled: 1-line block ×3, first 2 shown]
	v_cvt_f64_f32_e32 v[32:33], v18
	v_cvt_f64_f32_e32 v[18:19], v19
	v_fmac_f64_e32 v[56:57], v[32:33], v[26:27]
	v_fma_f64 v[36:37], -v[34:35], v[28:29], v[36:37]
	v_fma_f64 v[34:35], -v[18:19], v[28:29], v[56:57]
	v_fmac_f64_e32 v[48:49], v[18:19], v[26:27]
	v_cvt_f64_f32_e32 v[18:19], v20
	v_cvt_f64_f32_e32 v[20:21], v21
	v_fmac_f64_e32 v[46:47], v[20:21], v[26:27]
	v_fmac_f64_e32 v[58:59], v[18:19], v[26:27]
	;; [unrolled: 1-line block ×3, first 2 shown]
	v_cvt_f64_f32_e32 v[18:19], v14
	v_fmac_f64_e32 v[52:53], v[60:61], v[28:29]
	v_cvt_f64_f32_e32 v[14:15], v15
	v_fmac_f64_e32 v[54:55], v[18:19], v[22:23]
	v_fmac_f64_e32 v[48:49], v[32:33], v[28:29]
	v_fma_f64 v[32:33], -v[20:21], v[28:29], v[58:59]
	v_fma_f64 v[20:21], -v[14:15], v[24:25], v[54:55]
	v_fmac_f64_e32 v[52:53], v[14:15], v[22:23]
	v_cvt_f64_f32_e32 v[14:15], v16
	v_cvt_f64_f32_e32 v[16:17], v17
	v_fmac_f64_e32 v[50:51], v[16:17], v[22:23]
	v_fmac_f64_e32 v[36:37], v[14:15], v[22:23]
	;; [unrolled: 1-line block ×3, first 2 shown]
	v_cvt_f64_f32_e32 v[14:15], v10
	v_cvt_f64_f32_e32 v[10:11], v11
	v_fmac_f64_e32 v[34:35], v[14:15], v[22:23]
	v_fmac_f64_e32 v[52:53], v[18:19], v[24:25]
	v_fma_f64 v[18:19], -v[10:11], v[24:25], v[34:35]
	v_fmac_f64_e32 v[48:49], v[10:11], v[22:23]
	v_cvt_f64_f32_e32 v[10:11], v12
	v_cvt_f64_f32_e32 v[12:13], v13
	v_fmac_f64_e32 v[32:33], v[10:11], v[22:23]
	v_fmac_f64_e32 v[46:47], v[12:13], v[22:23]
	v_fma_f64 v[62:63], -v[16:17], v[24:25], v[36:37]
	v_fmac_f64_e32 v[48:49], v[14:15], v[24:25]
	v_fma_f64 v[26:27], -v[12:13], v[24:25], v[32:33]
	v_fmac_f64_e32 v[46:47], v[10:11], v[24:25]
	s_andn2_b64 exec, exec, s[8:9]
	s_cbranch_execnz .LBB171_31
; %bb.32:
	s_or_b64 exec, exec, s[8:9]
.LBB171_33:
	s_or_b64 exec, exec, s[2:3]
.LBB171_34:
	s_or_b64 exec, exec, s[6:7]
.LBB171_35:
	v_mov_b32_dpp v10, v20 row_shr:1 row_mask:0xf bank_mask:0xf
	v_mov_b32_dpp v11, v21 row_shr:1 row_mask:0xf bank_mask:0xf
	v_add_f64 v[10:11], v[20:21], v[10:11]
	v_mov_b32_dpp v14, v52 row_shr:1 row_mask:0xf bank_mask:0xf
	v_mov_b32_dpp v15, v53 row_shr:1 row_mask:0xf bank_mask:0xf
	;; [unrolled: 1-line block ×14, first 2 shown]
	v_add_f64 v[14:15], v[52:53], v[14:15]
	v_add_f64 v[20:21], v[62:63], v[20:21]
	;; [unrolled: 1-line block ×7, first 2 shown]
	v_mov_b32_dpp v12, v10 row_shr:2 row_mask:0xf bank_mask:0xf
	v_mov_b32_dpp v13, v11 row_shr:2 row_mask:0xf bank_mask:0xf
	;; [unrolled: 1-line block ×16, first 2 shown]
	v_add_f64 v[10:11], v[10:11], v[12:13]
	v_add_f64 v[14:15], v[14:15], v[16:17]
	;; [unrolled: 1-line block ×8, first 2 shown]
	v_mov_b32_dpp v12, v10 row_shr:4 row_mask:0xf bank_mask:0xe
	v_mov_b32_dpp v13, v11 row_shr:4 row_mask:0xf bank_mask:0xe
	;; [unrolled: 1-line block ×16, first 2 shown]
	v_cmp_eq_u32_e32 vcc, 7, v0
	s_and_b64 exec, exec, vcc
	s_cbranch_execz .LBB171_8
; %bb.36:
	s_load_dwordx2 s[2:3], s[0:1], 0x60
	v_add_f64 v[0:1], v[10:11], v[12:13]
	v_add_f64 v[10:11], v[14:15], v[16:17]
	;; [unrolled: 1-line block ×8, first 2 shown]
	v_cmp_eq_f64_e32 vcc, 0, v[2:3]
	v_cmp_eq_f64_e64 s[0:1], 0, v[4:5]
	v_mul_f64 v[22:23], v[10:11], -v[8:9]
	v_mul_f64 v[24:25], v[6:7], v[10:11]
	v_mul_f64 v[18:19], v[12:13], -v[8:9]
	v_mul_f64 v[20:21], v[6:7], v[12:13]
	;; [unrolled: 2-line block ×4, first 2 shown]
	s_and_b64 s[0:1], vcc, s[0:1]
	v_fmac_f64_e32 v[22:23], v[6:7], v[0:1]
	v_fmac_f64_e32 v[24:25], v[8:9], v[0:1]
	v_lshlrev_b32_e32 v0, 2, v38
	v_fmac_f64_e32 v[18:19], v[6:7], v[44:45]
	v_fmac_f64_e32 v[20:21], v[8:9], v[44:45]
	;; [unrolled: 1-line block ×6, first 2 shown]
	s_waitcnt lgkmcnt(0)
	s_and_saveexec_b64 s[4:5], s[0:1]
	s_xor_b64 s[0:1], exec, s[4:5]
	s_cbranch_execz .LBB171_38
; %bb.37:
	v_ashrrev_i32_e32 v1, 31, v0
	v_lshl_add_u64 v[0:1], v[0:1], 4, s[2:3]
	global_store_dwordx4 v[0:1], v[22:25], off
	global_store_dwordx4 v[0:1], v[18:21], off offset:16
	global_store_dwordx4 v[0:1], v[14:17], off offset:32
	;; [unrolled: 1-line block ×3, first 2 shown]
                                        ; implicit-def: $vgpr4_vgpr5
                                        ; implicit-def: $vgpr22_vgpr23
                                        ; implicit-def: $vgpr0
                                        ; implicit-def: $vgpr18_vgpr19
                                        ; implicit-def: $vgpr14_vgpr15
                                        ; implicit-def: $vgpr10_vgpr11
.LBB171_38:
	s_andn2_saveexec_b64 s[0:1], s[0:1]
	s_cbranch_execz .LBB171_8
; %bb.39:
	v_ashrrev_i32_e32 v1, 31, v0
	v_lshl_add_u64 v[0:1], v[0:1], 4, s[2:3]
	global_load_dwordx4 v[6:9], v[0:1], off
	global_load_dwordx4 v[26:29], v[0:1], off offset:16
	global_load_dwordx4 v[30:33], v[0:1], off offset:32
	;; [unrolled: 1-line block ×3, first 2 shown]
	s_waitcnt vmcnt(3)
	v_fmac_f64_e32 v[22:23], v[2:3], v[6:7]
	v_fmac_f64_e32 v[24:25], v[4:5], v[6:7]
	s_waitcnt vmcnt(2)
	v_fmac_f64_e32 v[18:19], v[2:3], v[26:27]
	v_fmac_f64_e32 v[20:21], v[4:5], v[26:27]
	;; [unrolled: 3-line block ×4, first 2 shown]
	v_fma_f64 v[22:23], -v[4:5], v[8:9], v[22:23]
	v_fmac_f64_e32 v[24:25], v[2:3], v[8:9]
	v_fma_f64 v[18:19], -v[4:5], v[28:29], v[18:19]
	v_fmac_f64_e32 v[20:21], v[2:3], v[28:29]
	;; [unrolled: 2-line block ×4, first 2 shown]
	global_store_dwordx4 v[0:1], v[22:25], off
	global_store_dwordx4 v[0:1], v[18:21], off offset:16
	global_store_dwordx4 v[0:1], v[14:17], off offset:32
	;; [unrolled: 1-line block ×3, first 2 shown]
	s_endpgm
	.section	.rodata,"a",@progbits
	.p2align	6, 0x0
	.amdhsa_kernel _ZN9rocsparseL18bsrxmvn_4x4_kernelILj128ELj8E21rocsparse_complex_numIdEliS1_IfES2_S2_EEvT3_20rocsparse_direction_NS_24const_host_device_scalarIT1_EES4_PKS4_PKT2_SD_SA_PKT4_PKT5_S8_PT6_21rocsparse_index_base_b
		.amdhsa_group_segment_fixed_size 0
		.amdhsa_private_segment_fixed_size 0
		.amdhsa_kernarg_size 112
		.amdhsa_user_sgpr_count 2
		.amdhsa_user_sgpr_dispatch_ptr 0
		.amdhsa_user_sgpr_queue_ptr 0
		.amdhsa_user_sgpr_kernarg_segment_ptr 1
		.amdhsa_user_sgpr_dispatch_id 0
		.amdhsa_user_sgpr_kernarg_preload_length 0
		.amdhsa_user_sgpr_kernarg_preload_offset 0
		.amdhsa_user_sgpr_private_segment_size 0
		.amdhsa_uses_dynamic_stack 0
		.amdhsa_enable_private_segment 0
		.amdhsa_system_sgpr_workgroup_id_x 1
		.amdhsa_system_sgpr_workgroup_id_y 0
		.amdhsa_system_sgpr_workgroup_id_z 0
		.amdhsa_system_sgpr_workgroup_info 0
		.amdhsa_system_vgpr_workitem_id 0
		.amdhsa_next_free_vgpr 126
		.amdhsa_next_free_sgpr 20
		.amdhsa_accum_offset 128
		.amdhsa_reserve_vcc 1
		.amdhsa_float_round_mode_32 0
		.amdhsa_float_round_mode_16_64 0
		.amdhsa_float_denorm_mode_32 3
		.amdhsa_float_denorm_mode_16_64 3
		.amdhsa_dx10_clamp 1
		.amdhsa_ieee_mode 1
		.amdhsa_fp16_overflow 0
		.amdhsa_tg_split 0
		.amdhsa_exception_fp_ieee_invalid_op 0
		.amdhsa_exception_fp_denorm_src 0
		.amdhsa_exception_fp_ieee_div_zero 0
		.amdhsa_exception_fp_ieee_overflow 0
		.amdhsa_exception_fp_ieee_underflow 0
		.amdhsa_exception_fp_ieee_inexact 0
		.amdhsa_exception_int_div_zero 0
	.end_amdhsa_kernel
	.section	.text._ZN9rocsparseL18bsrxmvn_4x4_kernelILj128ELj8E21rocsparse_complex_numIdEliS1_IfES2_S2_EEvT3_20rocsparse_direction_NS_24const_host_device_scalarIT1_EES4_PKS4_PKT2_SD_SA_PKT4_PKT5_S8_PT6_21rocsparse_index_base_b,"axG",@progbits,_ZN9rocsparseL18bsrxmvn_4x4_kernelILj128ELj8E21rocsparse_complex_numIdEliS1_IfES2_S2_EEvT3_20rocsparse_direction_NS_24const_host_device_scalarIT1_EES4_PKS4_PKT2_SD_SA_PKT4_PKT5_S8_PT6_21rocsparse_index_base_b,comdat
.Lfunc_end171:
	.size	_ZN9rocsparseL18bsrxmvn_4x4_kernelILj128ELj8E21rocsparse_complex_numIdEliS1_IfES2_S2_EEvT3_20rocsparse_direction_NS_24const_host_device_scalarIT1_EES4_PKS4_PKT2_SD_SA_PKT4_PKT5_S8_PT6_21rocsparse_index_base_b, .Lfunc_end171-_ZN9rocsparseL18bsrxmvn_4x4_kernelILj128ELj8E21rocsparse_complex_numIdEliS1_IfES2_S2_EEvT3_20rocsparse_direction_NS_24const_host_device_scalarIT1_EES4_PKS4_PKT2_SD_SA_PKT4_PKT5_S8_PT6_21rocsparse_index_base_b
                                        ; -- End function
	.set _ZN9rocsparseL18bsrxmvn_4x4_kernelILj128ELj8E21rocsparse_complex_numIdEliS1_IfES2_S2_EEvT3_20rocsparse_direction_NS_24const_host_device_scalarIT1_EES4_PKS4_PKT2_SD_SA_PKT4_PKT5_S8_PT6_21rocsparse_index_base_b.num_vgpr, 126
	.set _ZN9rocsparseL18bsrxmvn_4x4_kernelILj128ELj8E21rocsparse_complex_numIdEliS1_IfES2_S2_EEvT3_20rocsparse_direction_NS_24const_host_device_scalarIT1_EES4_PKS4_PKT2_SD_SA_PKT4_PKT5_S8_PT6_21rocsparse_index_base_b.num_agpr, 0
	.set _ZN9rocsparseL18bsrxmvn_4x4_kernelILj128ELj8E21rocsparse_complex_numIdEliS1_IfES2_S2_EEvT3_20rocsparse_direction_NS_24const_host_device_scalarIT1_EES4_PKS4_PKT2_SD_SA_PKT4_PKT5_S8_PT6_21rocsparse_index_base_b.numbered_sgpr, 20
	.set _ZN9rocsparseL18bsrxmvn_4x4_kernelILj128ELj8E21rocsparse_complex_numIdEliS1_IfES2_S2_EEvT3_20rocsparse_direction_NS_24const_host_device_scalarIT1_EES4_PKS4_PKT2_SD_SA_PKT4_PKT5_S8_PT6_21rocsparse_index_base_b.num_named_barrier, 0
	.set _ZN9rocsparseL18bsrxmvn_4x4_kernelILj128ELj8E21rocsparse_complex_numIdEliS1_IfES2_S2_EEvT3_20rocsparse_direction_NS_24const_host_device_scalarIT1_EES4_PKS4_PKT2_SD_SA_PKT4_PKT5_S8_PT6_21rocsparse_index_base_b.private_seg_size, 0
	.set _ZN9rocsparseL18bsrxmvn_4x4_kernelILj128ELj8E21rocsparse_complex_numIdEliS1_IfES2_S2_EEvT3_20rocsparse_direction_NS_24const_host_device_scalarIT1_EES4_PKS4_PKT2_SD_SA_PKT4_PKT5_S8_PT6_21rocsparse_index_base_b.uses_vcc, 1
	.set _ZN9rocsparseL18bsrxmvn_4x4_kernelILj128ELj8E21rocsparse_complex_numIdEliS1_IfES2_S2_EEvT3_20rocsparse_direction_NS_24const_host_device_scalarIT1_EES4_PKS4_PKT2_SD_SA_PKT4_PKT5_S8_PT6_21rocsparse_index_base_b.uses_flat_scratch, 0
	.set _ZN9rocsparseL18bsrxmvn_4x4_kernelILj128ELj8E21rocsparse_complex_numIdEliS1_IfES2_S2_EEvT3_20rocsparse_direction_NS_24const_host_device_scalarIT1_EES4_PKS4_PKT2_SD_SA_PKT4_PKT5_S8_PT6_21rocsparse_index_base_b.has_dyn_sized_stack, 0
	.set _ZN9rocsparseL18bsrxmvn_4x4_kernelILj128ELj8E21rocsparse_complex_numIdEliS1_IfES2_S2_EEvT3_20rocsparse_direction_NS_24const_host_device_scalarIT1_EES4_PKS4_PKT2_SD_SA_PKT4_PKT5_S8_PT6_21rocsparse_index_base_b.has_recursion, 0
	.set _ZN9rocsparseL18bsrxmvn_4x4_kernelILj128ELj8E21rocsparse_complex_numIdEliS1_IfES2_S2_EEvT3_20rocsparse_direction_NS_24const_host_device_scalarIT1_EES4_PKS4_PKT2_SD_SA_PKT4_PKT5_S8_PT6_21rocsparse_index_base_b.has_indirect_call, 0
	.section	.AMDGPU.csdata,"",@progbits
; Kernel info:
; codeLenInByte = 8244
; TotalNumSgprs: 26
; NumVgprs: 126
; NumAgprs: 0
; TotalNumVgprs: 126
; ScratchSize: 0
; MemoryBound: 0
; FloatMode: 240
; IeeeMode: 1
; LDSByteSize: 0 bytes/workgroup (compile time only)
; SGPRBlocks: 3
; VGPRBlocks: 15
; NumSGPRsForWavesPerEU: 26
; NumVGPRsForWavesPerEU: 126
; AccumOffset: 128
; Occupancy: 4
; WaveLimiterHint : 1
; COMPUTE_PGM_RSRC2:SCRATCH_EN: 0
; COMPUTE_PGM_RSRC2:USER_SGPR: 2
; COMPUTE_PGM_RSRC2:TRAP_HANDLER: 0
; COMPUTE_PGM_RSRC2:TGID_X_EN: 1
; COMPUTE_PGM_RSRC2:TGID_Y_EN: 0
; COMPUTE_PGM_RSRC2:TGID_Z_EN: 0
; COMPUTE_PGM_RSRC2:TIDIG_COMP_CNT: 0
; COMPUTE_PGM_RSRC3_GFX90A:ACCUM_OFFSET: 31
; COMPUTE_PGM_RSRC3_GFX90A:TG_SPLIT: 0
	.section	.text._ZN9rocsparseL18bsrxmvn_4x4_kernelILj128ELj16E21rocsparse_complex_numIdEliS1_IfES2_S2_EEvT3_20rocsparse_direction_NS_24const_host_device_scalarIT1_EES4_PKS4_PKT2_SD_SA_PKT4_PKT5_S8_PT6_21rocsparse_index_base_b,"axG",@progbits,_ZN9rocsparseL18bsrxmvn_4x4_kernelILj128ELj16E21rocsparse_complex_numIdEliS1_IfES2_S2_EEvT3_20rocsparse_direction_NS_24const_host_device_scalarIT1_EES4_PKS4_PKT2_SD_SA_PKT4_PKT5_S8_PT6_21rocsparse_index_base_b,comdat
	.globl	_ZN9rocsparseL18bsrxmvn_4x4_kernelILj128ELj16E21rocsparse_complex_numIdEliS1_IfES2_S2_EEvT3_20rocsparse_direction_NS_24const_host_device_scalarIT1_EES4_PKS4_PKT2_SD_SA_PKT4_PKT5_S8_PT6_21rocsparse_index_base_b ; -- Begin function _ZN9rocsparseL18bsrxmvn_4x4_kernelILj128ELj16E21rocsparse_complex_numIdEliS1_IfES2_S2_EEvT3_20rocsparse_direction_NS_24const_host_device_scalarIT1_EES4_PKS4_PKT2_SD_SA_PKT4_PKT5_S8_PT6_21rocsparse_index_base_b
	.p2align	8
	.type	_ZN9rocsparseL18bsrxmvn_4x4_kernelILj128ELj16E21rocsparse_complex_numIdEliS1_IfES2_S2_EEvT3_20rocsparse_direction_NS_24const_host_device_scalarIT1_EES4_PKS4_PKT2_SD_SA_PKT4_PKT5_S8_PT6_21rocsparse_index_base_b,@function
_ZN9rocsparseL18bsrxmvn_4x4_kernelILj128ELj16E21rocsparse_complex_numIdEliS1_IfES2_S2_EEvT3_20rocsparse_direction_NS_24const_host_device_scalarIT1_EES4_PKS4_PKT2_SD_SA_PKT4_PKT5_S8_PT6_21rocsparse_index_base_b: ; @_ZN9rocsparseL18bsrxmvn_4x4_kernelILj128ELj16E21rocsparse_complex_numIdEliS1_IfES2_S2_EEvT3_20rocsparse_direction_NS_24const_host_device_scalarIT1_EES4_PKS4_PKT2_SD_SA_PKT4_PKT5_S8_PT6_21rocsparse_index_base_b
; %bb.0:
	s_load_dwordx2 s[4:5], s[0:1], 0x8
	s_load_dwordx2 s[12:13], s[0:1], 0x68
	s_add_u32 s3, s0, 8
	s_addc_u32 s8, s1, 0
	s_add_u32 s9, s0, 0x50
	s_load_dwordx2 s[6:7], s[0:1], 0x50
	s_addc_u32 s10, s1, 0
	s_waitcnt lgkmcnt(0)
	s_bitcmp1_b32 s13, 0
	s_cselect_b32 s5, s8, s5
	s_cselect_b32 s3, s3, s4
	v_mov_b32_e32 v2, s3
	v_mov_b32_e32 v3, s5
	flat_load_dwordx4 v[6:9], v[2:3]
	s_cselect_b32 s3, s10, s7
	s_cselect_b32 s4, s9, s6
	v_mov_b32_e32 v2, s4
	v_mov_b32_e32 v3, s3
	flat_load_dwordx4 v[2:5], v[2:3]
	s_waitcnt vmcnt(0) lgkmcnt(0)
	v_cmp_eq_f64_e32 vcc, 0, v[6:7]
	v_cmp_eq_f64_e64 s[4:5], 0, v[8:9]
	s_and_b64 s[8:9], vcc, s[4:5]
	s_mov_b64 s[4:5], -1
	s_and_saveexec_b64 s[6:7], s[8:9]
; %bb.1:
	v_cmp_neq_f64_e32 vcc, 1.0, v[2:3]
	v_cmp_neq_f64_e64 s[4:5], 0, v[4:5]
	s_or_b64 s[4:5], vcc, s[4:5]
	s_orn2_b64 s[4:5], s[4:5], exec
; %bb.2:
	s_or_b64 exec, exec, s[6:7]
	s_and_saveexec_b64 s[6:7], s[4:5]
	s_cbranch_execz .LBB172_8
; %bb.3:
	s_load_dwordx2 s[4:5], s[0:1], 0x20
	s_load_dwordx2 s[14:15], s[0:1], 0x0
	v_lshrrev_b32_e32 v1, 4, v0
	v_lshl_or_b32 v38, s2, 3, v1
	s_mov_b64 s[2:3], 0
	s_waitcnt lgkmcnt(0)
	s_cmp_lg_u64 s[4:5], 0
	s_cbranch_scc0 .LBB172_9
; %bb.4:
	s_load_dword s6, s[0:1], 0x18
                                        ; implicit-def: $vgpr1
	s_waitcnt lgkmcnt(0)
	v_cmp_gt_i32_e32 vcc, s6, v38
	s_and_saveexec_b64 s[6:7], vcc
	s_xor_b64 s[6:7], exec, s[6:7]
	s_cbranch_execz .LBB172_6
; %bb.5:
	v_ashrrev_i32_e32 v39, 31, v38
	v_lshl_add_u64 v[10:11], v[38:39], 2, s[4:5]
	global_load_dword v1, v[10:11], off
	s_mov_b64 s[2:3], exec
	s_waitcnt vmcnt(0)
	v_subrev_u32_e32 v1, s12, v1
.LBB172_6:
	s_or_b64 exec, exec, s[6:7]
	s_branch .LBB172_10
.LBB172_7:
	v_cmp_gt_i32_e32 vcc, s14, v38
	s_andn2_b64 s[2:3], s[2:3], exec
	s_and_b64 s[4:5], vcc, exec
	s_or_b64 s[2:3], s[2:3], s[4:5]
	s_and_b64 exec, exec, s[2:3]
	s_cbranch_execnz .LBB172_11
.LBB172_8:
	s_endpgm
.LBB172_9:
                                        ; implicit-def: $vgpr1
	s_cbranch_execnz .LBB172_7
.LBB172_10:
	v_mov_b32_e32 v38, v1
	s_and_b64 exec, exec, s[2:3]
	s_cbranch_execz .LBB172_8
.LBB172_11:
	s_load_dwordx8 s[4:11], s[0:1], 0x28
	v_ashrrev_i32_e32 v39, 31, v38
	v_lshlrev_b64 v[10:11], 3, v[38:39]
	v_and_b32_e32 v0, 15, v0
	v_mov_b32_e32 v1, 0
	s_waitcnt lgkmcnt(0)
	v_lshl_add_u64 v[12:13], s[4:5], 0, v[10:11]
	s_cmp_eq_u64 s[6:7], 0
	v_lshl_add_u64 v[10:11], s[6:7], 0, v[10:11]
	global_load_dwordx2 v[54:55], v[12:13], off
	v_lshl_add_u64 v[12:13], v[12:13], 0, 8
	s_cselect_b64 vcc, -1, 0
	v_cndmask_b32_e32 v11, v11, v13, vcc
	v_cndmask_b32_e32 v10, v10, v12, vcc
	global_load_dwordx2 v[10:11], v[10:11], off
	s_load_dwordx2 s[4:5], s[0:1], 0x48
	s_cmp_eq_u32 s15, 1
	s_waitcnt vmcnt(1)
	v_subrev_co_u32_e32 v12, vcc, s12, v54
	s_nop 1
	v_subbrev_co_u32_e32 v13, vcc, 0, v55, vcc
	v_lshl_add_u64 v[44:45], v[12:13], 0, v[0:1]
	s_waitcnt vmcnt(0)
	v_subrev_co_u32_e32 v46, vcc, s12, v10
	s_nop 1
	v_subbrev_co_u32_e32 v47, vcc, 0, v11, vcc
	v_lshlrev_b64 v[10:11], 7, v[44:45]
	v_lshl_add_u64 v[48:49], s[10:11], 0, v[10:11]
	v_cmp_lt_i64_e64 s[2:3], v[44:45], v[46:47]
	s_cbranch_scc1 .LBB172_23
; %bb.12:
	v_mov_b64_e32 v[52:53], 0
	v_mov_b64_e32 v[62:63], 0
	v_mov_b64_e32 v[50:51], 0
	v_mov_b64_e32 v[60:61], 0
	v_mov_b64_e32 v[42:43], 0
	v_mov_b64_e32 v[34:35], 0
	v_mov_b64_e32 v[40:41], 0
	v_mov_b64_e32 v[18:19], 0
	s_and_saveexec_b64 s[6:7], s[2:3]
	s_cbranch_execz .LBB172_22
; %bb.13:
	v_or_b32_e32 v1, 16, v0
	v_subrev_co_u32_e32 v10, vcc, s12, v1
	v_not_b32_e32 v13, v55
	s_nop 0
	v_subb_co_u32_e64 v11, s[10:11], 0, 0, vcc
	v_lshl_add_u64 v[10:11], v[10:11], 0, v[54:55]
	v_cmp_gt_i64_e32 vcc, v[10:11], v[46:47]
	v_not_b32_e32 v12, v54
	v_mov_b64_e32 v[18:19], 0
	v_cndmask_b32_e32 v11, v47, v11, vcc
	v_cndmask_b32_e32 v10, v46, v10, vcc
	v_sub_co_u32_e32 v14, vcc, s12, v0
	v_mov_b64_e32 v[40:41], 0
	s_nop 0
	v_subb_co_u32_e64 v15, s[10:11], 0, 0, vcc
	v_lshl_add_u64 v[12:13], v[14:15], 0, v[12:13]
	v_lshl_add_u64 v[14:15], v[12:13], 0, v[10:11]
	v_and_b32_e32 v10, 48, v14
	v_mov_b32_e32 v11, 0
	v_cmp_ne_u64_e32 vcc, 48, v[10:11]
	v_mov_b64_e32 v[34:35], 0
	v_mov_b64_e32 v[42:43], 0
	;; [unrolled: 1-line block ×8, first 2 shown]
	s_and_saveexec_b64 s[10:11], vcc
	s_cbranch_execz .LBB172_17
; %bb.14:
	v_lshrrev_b32_e32 v1, 4, v14
	v_add_u32_e32 v1, 1, v1
	v_and_b32_e32 v1, 3, v1
	v_sub_co_u32_e32 v20, vcc, 0, v1
	v_lshl_add_u64 v[16:17], v[44:45], 2, s[8:9]
	s_nop 0
	v_subb_co_u32_e64 v21, s[16:17], 0, 0, vcc
	s_mov_b64 s[14:15], 0
	v_mov_b64_e32 v[52:53], 0
	s_mov_b64 s[16:17], 0x800
	v_mov_b64_e32 v[58:59], v[44:45]
	v_mov_b64_e32 v[56:57], v[48:49]
	v_mov_b64_e32 v[62:63], 0
	v_mov_b64_e32 v[50:51], 0
	v_mov_b64_e32 v[60:61], 0
	v_mov_b64_e32 v[42:43], 0
	v_mov_b64_e32 v[34:35], 0
	v_mov_b64_e32 v[40:41], 0
	v_mov_b64_e32 v[18:19], 0
.LBB172_15:                             ; =>This Inner Loop Header: Depth=1
	global_load_dword v1, v[16:17], off
	global_load_dwordx4 v[22:25], v[56:57], off
	global_load_dwordx4 v[26:29], v[56:57], off offset:16
	global_load_dwordx4 v[10:13], v[56:57], off offset:32
	global_load_dwordx4 v[30:33], v[56:57], off offset:64
	global_load_dwordx4 v[64:67], v[56:57], off offset:96
	global_load_dwordx4 v[68:71], v[56:57], off offset:48
	global_load_dwordx4 v[72:75], v[56:57], off offset:80
	global_load_dwordx4 v[76:79], v[56:57], off offset:112
	v_lshl_add_u64 v[20:21], v[20:21], 0, 1
	v_cmp_eq_u64_e32 vcc, 0, v[20:21]
	v_lshl_add_u64 v[56:57], v[56:57], 0, s[16:17]
	v_lshl_add_u64 v[58:59], v[58:59], 0, 16
	;; [unrolled: 1-line block ×3, first 2 shown]
	s_or_b64 s[14:15], vcc, s[14:15]
	s_waitcnt vmcnt(8)
	v_subrev_u32_e32 v1, s12, v1
	s_waitcnt vmcnt(7)
	v_cvt_f64_f32_e32 v[36:37], v22
	v_cvt_f64_f32_e32 v[84:85], v23
	s_waitcnt vmcnt(5)
	v_cvt_f64_f32_e32 v[98:99], v10
	v_lshlrev_b32_e32 v10, 2, v1
	v_cvt_f64_f32_e32 v[100:101], v11
	v_ashrrev_i32_e32 v11, 31, v10
	s_waitcnt lgkmcnt(0)
	v_lshl_add_u64 v[110:111], v[10:11], 4, s[4:5]
	v_cvt_f64_f32_e32 v[86:87], v24
	v_cvt_f64_f32_e32 v[88:89], v25
	;; [unrolled: 1-line block ×8, first 2 shown]
	global_load_dwordx4 v[10:13], v[110:111], off
	global_load_dwordx4 v[22:25], v[110:111], off offset:16
	global_load_dwordx4 v[26:29], v[110:111], off offset:32
	;; [unrolled: 1-line block ×3, first 2 shown]
	s_waitcnt vmcnt(8)
	v_cvt_f64_f32_e32 v[106:107], v30
	v_cvt_f64_f32_e32 v[30:31], v31
	s_waitcnt vmcnt(7)
	v_cvt_f64_f32_e32 v[108:109], v64
	v_cvt_f64_f32_e32 v[64:65], v65
	;; [unrolled: 1-line block ×6, first 2 shown]
	s_waitcnt vmcnt(6)
	v_cvt_f64_f32_e32 v[110:111], v68
	v_cvt_f64_f32_e32 v[68:69], v69
	s_waitcnt vmcnt(5)
	v_cvt_f64_f32_e32 v[116:117], v72
	v_cvt_f64_f32_e32 v[72:73], v73
	;; [unrolled: 3-line block ×3, first 2 shown]
	v_cvt_f64_f32_e32 v[112:113], v70
	v_cvt_f64_f32_e32 v[70:71], v71
	;; [unrolled: 1-line block ×6, first 2 shown]
	s_waitcnt vmcnt(3)
	v_fmac_f64_e32 v[62:63], v[36:37], v[10:11]
	v_fmac_f64_e32 v[52:53], v[84:85], v[10:11]
	v_fmac_f64_e32 v[60:61], v[98:99], v[10:11]
	v_fmac_f64_e32 v[50:51], v[100:101], v[10:11]
	v_fmac_f64_e32 v[34:35], v[106:107], v[10:11]
	v_fmac_f64_e32 v[42:43], v[30:31], v[10:11]
	v_fmac_f64_e32 v[18:19], v[108:109], v[10:11]
	v_fmac_f64_e32 v[40:41], v[64:65], v[10:11]
	v_fma_f64 v[10:11], -v[84:85], v[12:13], v[62:63]
	v_fmac_f64_e32 v[52:53], v[36:37], v[12:13]
	v_fma_f64 v[36:37], -v[100:101], v[12:13], v[60:61]
	v_fmac_f64_e32 v[50:51], v[98:99], v[12:13]
	v_fma_f64 v[30:31], -v[30:31], v[12:13], v[34:35]
	v_fmac_f64_e32 v[42:43], v[106:107], v[12:13]
	v_fma_f64 v[18:19], -v[64:65], v[12:13], v[18:19]
	v_fmac_f64_e32 v[40:41], v[108:109], v[12:13]
	s_waitcnt vmcnt(2)
	v_fmac_f64_e32 v[10:11], v[86:87], v[22:23]
	v_fmac_f64_e32 v[52:53], v[88:89], v[22:23]
	v_fmac_f64_e32 v[36:37], v[102:103], v[22:23]
	v_fmac_f64_e32 v[50:51], v[104:105], v[22:23]
	v_fmac_f64_e32 v[30:31], v[114:115], v[22:23]
	v_fmac_f64_e32 v[42:43], v[32:33], v[22:23]
	v_fmac_f64_e32 v[18:19], v[120:121], v[22:23]
	v_fmac_f64_e32 v[40:41], v[66:67], v[22:23]
	v_fma_f64 v[10:11], -v[88:89], v[24:25], v[10:11]
	v_fmac_f64_e32 v[52:53], v[86:87], v[24:25]
	v_fma_f64 v[12:13], -v[104:105], v[24:25], v[36:37]
	v_fmac_f64_e32 v[50:51], v[102:103], v[24:25]
	v_fma_f64 v[22:23], -v[32:33], v[24:25], v[30:31]
	v_fmac_f64_e32 v[42:43], v[114:115], v[24:25]
	v_fma_f64 v[18:19], -v[66:67], v[24:25], v[18:19]
	v_fmac_f64_e32 v[40:41], v[120:121], v[24:25]
	;; [unrolled: 17-line block ×4, first 2 shown]
	s_andn2_b64 exec, exec, s[14:15]
	s_cbranch_execnz .LBB172_15
; %bb.16:
	s_or_b64 exec, exec, s[14:15]
.LBB172_17:
	s_or_b64 exec, exec, s[10:11]
	v_cmp_lt_u64_e32 vcc, 47, v[14:15]
	s_and_saveexec_b64 s[10:11], vcc
	s_cbranch_execz .LBB172_21
; %bb.18:
	v_lshl_add_u64 v[10:11], v[58:59], 2, s[8:9]
	s_mov_b64 s[14:15], 0x80
	v_lshl_add_u64 v[64:65], v[10:11], 0, s[14:15]
	s_mov_b64 s[14:15], 0
	s_mov_b64 s[16:17], 0x1000
	s_movk_i32 s13, 0x1000
	s_mov_b64 s[18:19], 0x100
	s_mov_b64 s[20:21], 0x2000
.LBB172_19:                             ; =>This Inner Loop Header: Depth=1
	global_load_dword v1, v[64:65], off offset:-128
	global_load_dwordx4 v[20:23], v[56:57], off offset:48
	global_load_dwordx4 v[26:29], v[56:57], off offset:32
	global_load_dwordx4 v[30:33], v[56:57], off offset:16
	global_load_dwordx4 v[66:69], v[56:57], off
	v_lshl_add_u64 v[58:59], v[58:59], 0, 64
	s_waitcnt vmcnt(4)
	v_subrev_u32_e32 v1, s12, v1
	v_lshlrev_b32_e32 v10, 2, v1
	v_ashrrev_i32_e32 v11, 31, v10
	s_waitcnt vmcnt(0)
	v_cvt_f64_f32_e32 v[24:25], v66
	v_cvt_f64_f32_e32 v[36:37], v67
	s_waitcnt lgkmcnt(0)
	v_lshl_add_u64 v[66:67], v[10:11], 4, s[4:5]
	global_load_dwordx4 v[10:13], v[66:67], off offset:48
	global_load_dwordx4 v[14:17], v[66:67], off offset:32
	;; [unrolled: 1-line block ×3, first 2 shown]
	global_load_dwordx4 v[74:77], v[66:67], off
	s_waitcnt vmcnt(0)
	v_fmac_f64_e32 v[62:63], v[24:25], v[74:75]
	v_fmac_f64_e32 v[52:53], v[36:37], v[74:75]
	v_fma_f64 v[62:63], -v[36:37], v[76:77], v[62:63]
	v_fmac_f64_e32 v[52:53], v[24:25], v[76:77]
	v_cvt_f64_f32_e32 v[24:25], v68
	v_cvt_f64_f32_e32 v[36:37], v69
	v_fmac_f64_e32 v[62:63], v[24:25], v[70:71]
	v_fmac_f64_e32 v[52:53], v[36:37], v[70:71]
	v_fma_f64 v[62:63], -v[36:37], v[72:73], v[62:63]
	v_fmac_f64_e32 v[52:53], v[24:25], v[72:73]
	v_cvt_f64_f32_e32 v[24:25], v30
	v_cvt_f64_f32_e32 v[30:31], v31
	;; [unrolled: 6-line block ×3, first 2 shown]
	v_fmac_f64_e32 v[52:53], v[32:33], v[10:11]
	v_fmac_f64_e32 v[36:37], v[30:31], v[10:11]
	;; [unrolled: 1-line block ×3, first 2 shown]
	v_cvt_f64_f32_e32 v[30:31], v26
	v_cvt_f64_f32_e32 v[26:27], v27
	v_fmac_f64_e32 v[60:61], v[30:31], v[74:75]
	v_fmac_f64_e32 v[50:51], v[26:27], v[74:75]
	v_fma_f64 v[24:25], -v[32:33], v[12:13], v[36:37]
	v_fma_f64 v[32:33], -v[26:27], v[76:77], v[60:61]
	v_fmac_f64_e32 v[50:51], v[30:31], v[76:77]
	v_cvt_f64_f32_e32 v[26:27], v28
	v_cvt_f64_f32_e32 v[28:29], v29
	v_fmac_f64_e32 v[32:33], v[26:27], v[70:71]
	v_fmac_f64_e32 v[50:51], v[28:29], v[70:71]
	v_fma_f64 v[30:31], -v[28:29], v[72:73], v[32:33]
	v_fmac_f64_e32 v[50:51], v[26:27], v[72:73]
	v_cvt_f64_f32_e32 v[26:27], v20
	v_cvt_f64_f32_e32 v[20:21], v21
	v_fmac_f64_e32 v[30:31], v[26:27], v[14:15]
	v_fma_f64 v[28:29], -v[20:21], v[16:17], v[30:31]
	v_fmac_f64_e32 v[50:51], v[20:21], v[14:15]
	v_cvt_f64_f32_e32 v[20:21], v22
	v_fmac_f64_e32 v[50:51], v[26:27], v[16:17]
	v_cvt_f64_f32_e32 v[26:27], v23
	v_fmac_f64_e32 v[28:29], v[20:21], v[10:11]
	v_fma_f64 v[22:23], -v[26:27], v[12:13], v[28:29]
	global_load_dwordx4 v[28:31], v[56:57], off offset:112
	global_load_dwordx4 v[60:63], v[56:57], off offset:96
	global_load_dwordx4 v[66:69], v[56:57], off offset:80
	global_load_dwordx4 v[78:81], v[56:57], off offset:64
	global_load_dword v1, v[64:65], off offset:-64
	v_fmac_f64_e32 v[50:51], v[26:27], v[10:11]
	v_fmac_f64_e32 v[50:51], v[20:21], v[12:13]
	s_waitcnt vmcnt(1)
	v_cvt_f64_f32_e32 v[20:21], v78
	v_cvt_f64_f32_e32 v[26:27], v79
	v_fmac_f64_e32 v[34:35], v[20:21], v[74:75]
	v_fmac_f64_e32 v[42:43], v[26:27], v[74:75]
	v_fma_f64 v[32:33], -v[26:27], v[76:77], v[34:35]
	v_fmac_f64_e32 v[42:43], v[20:21], v[76:77]
	v_cvt_f64_f32_e32 v[20:21], v80
	v_cvt_f64_f32_e32 v[26:27], v81
	v_fmac_f64_e32 v[32:33], v[20:21], v[70:71]
	v_fmac_f64_e32 v[42:43], v[26:27], v[70:71]
	v_fma_f64 v[32:33], -v[26:27], v[72:73], v[32:33]
	v_fmac_f64_e32 v[42:43], v[20:21], v[72:73]
	;; [unrolled: 6-line block ×6, first 2 shown]
	v_cvt_f64_f32_e32 v[20:21], v28
	v_cvt_f64_f32_e32 v[28:29], v29
	v_fmac_f64_e32 v[18:19], v[20:21], v[14:15]
	v_fmac_f64_e32 v[40:41], v[28:29], v[14:15]
	s_waitcnt vmcnt(0)
	v_subrev_u32_e32 v1, s12, v1
	v_fma_f64 v[18:19], -v[28:29], v[16:17], v[18:19]
	v_fmac_f64_e32 v[40:41], v[20:21], v[16:17]
	v_cvt_f64_f32_e32 v[14:15], v30
	v_cvt_f64_f32_e32 v[16:17], v31
	v_lshlrev_b32_e32 v34, 2, v1
	v_fmac_f64_e32 v[18:19], v[14:15], v[10:11]
	v_fmac_f64_e32 v[40:41], v[16:17], v[10:11]
	v_ashrrev_i32_e32 v35, 31, v34
	v_fma_f64 v[28:29], -v[16:17], v[12:13], v[18:19]
	v_fmac_f64_e32 v[40:41], v[14:15], v[12:13]
	global_load_dwordx4 v[10:13], v[56:57], off offset:2096
	global_load_dwordx4 v[14:17], v[56:57], off offset:2080
	;; [unrolled: 1-line block ×4, first 2 shown]
	v_lshl_add_u64 v[76:77], v[34:35], 4, s[4:5]
	global_load_dwordx4 v[34:37], v[76:77], off offset:48
	global_load_dwordx4 v[60:63], v[76:77], off offset:32
	;; [unrolled: 1-line block ×3, first 2 shown]
	global_load_dwordx4 v[70:73], v[76:77], off
	s_waitcnt vmcnt(4)
	v_cvt_f64_f32_e32 v[74:75], v30
	v_cvt_f64_f32_e32 v[30:31], v31
	s_waitcnt vmcnt(0)
	v_fmac_f64_e32 v[24:25], v[74:75], v[70:71]
	v_fmac_f64_e32 v[52:53], v[30:31], v[70:71]
	v_fma_f64 v[24:25], -v[30:31], v[72:73], v[24:25]
	v_fmac_f64_e32 v[52:53], v[74:75], v[72:73]
	v_cvt_f64_f32_e32 v[30:31], v32
	v_cvt_f64_f32_e32 v[32:33], v33
	v_fmac_f64_e32 v[24:25], v[30:31], v[66:67]
	v_fmac_f64_e32 v[52:53], v[32:33], v[66:67]
	v_fma_f64 v[24:25], -v[32:33], v[68:69], v[24:25]
	v_fmac_f64_e32 v[52:53], v[30:31], v[68:69]
	v_cvt_f64_f32_e32 v[30:31], v18
	v_cvt_f64_f32_e32 v[18:19], v19
	;; [unrolled: 6-line block ×3, first 2 shown]
	v_fmac_f64_e32 v[24:25], v[30:31], v[34:35]
	v_fma_f64 v[18:19], -v[20:21], v[36:37], v[24:25]
	v_fmac_f64_e32 v[52:53], v[20:21], v[34:35]
	v_cvt_f64_f32_e32 v[20:21], v14
	v_cvt_f64_f32_e32 v[14:15], v15
	v_fmac_f64_e32 v[22:23], v[20:21], v[70:71]
	v_fmac_f64_e32 v[50:51], v[14:15], v[70:71]
	v_fma_f64 v[22:23], -v[14:15], v[72:73], v[22:23]
	v_fmac_f64_e32 v[50:51], v[20:21], v[72:73]
	v_cvt_f64_f32_e32 v[14:15], v16
	v_cvt_f64_f32_e32 v[16:17], v17
	v_fmac_f64_e32 v[22:23], v[14:15], v[66:67]
	;; [unrolled: 6-line block ×4, first 2 shown]
	v_fmac_f64_e32 v[50:51], v[12:13], v[34:35]
	v_fmac_f64_e32 v[52:53], v[30:31], v[36:37]
	v_fma_f64 v[76:77], -v[12:13], v[36:37], v[16:17]
	v_fmac_f64_e32 v[50:51], v[10:11], v[36:37]
	global_load_dwordx4 v[10:13], v[56:57], off offset:2160
	global_load_dwordx4 v[14:17], v[56:57], off offset:2144
	global_load_dwordx4 v[20:23], v[56:57], off offset:2128
	global_load_dwordx4 v[30:33], v[56:57], off offset:2112
	global_load_dword v1, v[64:65], off
	s_waitcnt vmcnt(1)
	v_cvt_f64_f32_e32 v[24:25], v30
	v_cvt_f64_f32_e32 v[30:31], v31
	v_fmac_f64_e32 v[26:27], v[24:25], v[70:71]
	v_fmac_f64_e32 v[42:43], v[30:31], v[70:71]
	v_fma_f64 v[26:27], -v[30:31], v[72:73], v[26:27]
	v_fmac_f64_e32 v[42:43], v[24:25], v[72:73]
	v_cvt_f64_f32_e32 v[24:25], v32
	v_cvt_f64_f32_e32 v[30:31], v33
	v_fmac_f64_e32 v[26:27], v[24:25], v[66:67]
	v_fmac_f64_e32 v[42:43], v[30:31], v[66:67]
	v_fma_f64 v[26:27], -v[30:31], v[68:69], v[26:27]
	v_fmac_f64_e32 v[42:43], v[24:25], v[68:69]
	;; [unrolled: 6-line block ×3, first 2 shown]
	v_cvt_f64_f32_e32 v[20:21], v22
	v_cvt_f64_f32_e32 v[22:23], v23
	v_fmac_f64_e32 v[42:43], v[22:23], v[34:35]
	v_fmac_f64_e32 v[26:27], v[20:21], v[34:35]
	;; [unrolled: 1-line block ×3, first 2 shown]
	v_cvt_f64_f32_e32 v[20:21], v14
	v_cvt_f64_f32_e32 v[14:15], v15
	v_fmac_f64_e32 v[28:29], v[20:21], v[70:71]
	v_fmac_f64_e32 v[40:41], v[14:15], v[70:71]
	v_fma_f64 v[78:79], -v[22:23], v[36:37], v[26:27]
	v_fma_f64 v[22:23], -v[14:15], v[72:73], v[28:29]
	v_fmac_f64_e32 v[40:41], v[20:21], v[72:73]
	v_cvt_f64_f32_e32 v[14:15], v16
	v_cvt_f64_f32_e32 v[16:17], v17
	v_fmac_f64_e32 v[22:23], v[14:15], v[66:67]
	v_fmac_f64_e32 v[40:41], v[16:17], v[66:67]
	v_fma_f64 v[20:21], -v[16:17], v[68:69], v[22:23]
	v_fmac_f64_e32 v[40:41], v[14:15], v[68:69]
	v_cvt_f64_f32_e32 v[14:15], v10
	v_cvt_f64_f32_e32 v[10:11], v11
	s_waitcnt vmcnt(0)
	v_subrev_u32_e32 v1, s12, v1
	v_fmac_f64_e32 v[20:21], v[14:15], v[60:61]
	v_fmac_f64_e32 v[40:41], v[10:11], v[60:61]
	v_lshlrev_b32_e32 v28, 2, v1
	v_fma_f64 v[16:17], -v[10:11], v[62:63], v[20:21]
	v_fmac_f64_e32 v[40:41], v[14:15], v[62:63]
	v_cvt_f64_f32_e32 v[10:11], v12
	v_cvt_f64_f32_e32 v[12:13], v13
	v_add_co_u32_e32 v30, vcc, s13, v56
	v_ashrrev_i32_e32 v29, 31, v28
	v_fmac_f64_e32 v[16:17], v[10:11], v[34:35]
	v_fmac_f64_e32 v[40:41], v[12:13], v[34:35]
	v_addc_co_u32_e32 v31, vcc, 0, v57, vcc
	v_lshl_add_u64 v[28:29], v[28:29], 4, s[4:5]
	v_fma_f64 v[68:69], -v[12:13], v[36:37], v[16:17]
	v_fmac_f64_e32 v[40:41], v[10:11], v[36:37]
	v_lshl_add_u64 v[66:67], v[56:57], 0, s[16:17]
	global_load_dwordx4 v[10:13], v[30:31], off
	global_load_dwordx4 v[14:17], v[66:67], off offset:48
	global_load_dwordx4 v[20:23], v[66:67], off offset:32
	;; [unrolled: 1-line block ×3, first 2 shown]
	s_nop 0
	global_load_dwordx4 v[30:33], v[28:29], off offset:48
	global_load_dwordx4 v[34:37], v[28:29], off offset:32
	;; [unrolled: 1-line block ×3, first 2 shown]
	global_load_dwordx4 v[72:75], v[28:29], off
	v_cmp_ge_i64_e32 vcc, v[58:59], v[46:47]
	v_lshl_add_u64 v[56:57], v[56:57], 0, s[20:21]
	s_or_b64 s[14:15], vcc, s[14:15]
	s_waitcnt vmcnt(7)
	v_cvt_f64_f32_e32 v[70:71], v10
	v_cvt_f64_f32_e32 v[10:11], v11
	s_waitcnt vmcnt(0)
	v_fmac_f64_e32 v[18:19], v[70:71], v[72:73]
	v_fmac_f64_e32 v[52:53], v[10:11], v[72:73]
	v_fma_f64 v[18:19], -v[10:11], v[74:75], v[18:19]
	v_fmac_f64_e32 v[52:53], v[70:71], v[74:75]
	v_cvt_f64_f32_e32 v[10:11], v12
	v_cvt_f64_f32_e32 v[12:13], v13
	v_fmac_f64_e32 v[18:19], v[10:11], v[60:61]
	v_fmac_f64_e32 v[52:53], v[12:13], v[60:61]
	v_fma_f64 v[18:19], -v[12:13], v[62:63], v[18:19]
	v_fmac_f64_e32 v[52:53], v[10:11], v[62:63]
	v_cvt_f64_f32_e32 v[10:11], v24
	v_cvt_f64_f32_e32 v[12:13], v25
	;; [unrolled: 6-line block ×7, first 2 shown]
	v_fmac_f64_e32 v[14:15], v[10:11], v[30:31]
	v_fmac_f64_e32 v[50:51], v[12:13], v[30:31]
	v_fma_f64 v[28:29], -v[12:13], v[32:33], v[14:15]
	v_fmac_f64_e32 v[50:51], v[10:11], v[32:33]
	global_load_dwordx4 v[10:13], v[66:67], off offset:112
	global_load_dwordx4 v[14:17], v[66:67], off offset:96
	;; [unrolled: 1-line block ×4, first 2 shown]
	global_load_dword v1, v[64:65], off offset:64
	v_lshl_add_u64 v[64:65], v[64:65], 0, s[18:19]
	s_waitcnt vmcnt(1)
	v_cvt_f64_f32_e32 v[70:71], v22
	v_cvt_f64_f32_e32 v[22:23], v23
	v_fmac_f64_e32 v[78:79], v[70:71], v[72:73]
	v_fmac_f64_e32 v[42:43], v[22:23], v[72:73]
	v_fma_f64 v[76:77], -v[22:23], v[74:75], v[78:79]
	v_fmac_f64_e32 v[42:43], v[70:71], v[74:75]
	v_cvt_f64_f32_e32 v[22:23], v24
	v_cvt_f64_f32_e32 v[24:25], v25
	v_fmac_f64_e32 v[76:77], v[22:23], v[60:61]
	v_fmac_f64_e32 v[42:43], v[24:25], v[60:61]
	v_fma_f64 v[70:71], -v[24:25], v[62:63], v[76:77]
	v_fmac_f64_e32 v[42:43], v[22:23], v[62:63]
	;; [unrolled: 6-line block ×3, first 2 shown]
	v_cvt_f64_f32_e32 v[18:19], v20
	v_cvt_f64_f32_e32 v[20:21], v21
	v_fmac_f64_e32 v[42:43], v[20:21], v[30:31]
	v_fmac_f64_e32 v[24:25], v[18:19], v[30:31]
	;; [unrolled: 1-line block ×3, first 2 shown]
	v_cvt_f64_f32_e32 v[18:19], v14
	v_cvt_f64_f32_e32 v[14:15], v15
	v_fmac_f64_e32 v[68:69], v[18:19], v[72:73]
	v_fmac_f64_e32 v[40:41], v[14:15], v[72:73]
	v_fma_f64 v[70:71], -v[20:21], v[32:33], v[24:25]
	v_fma_f64 v[20:21], -v[14:15], v[74:75], v[68:69]
	v_fmac_f64_e32 v[40:41], v[18:19], v[74:75]
	v_cvt_f64_f32_e32 v[14:15], v16
	v_cvt_f64_f32_e32 v[16:17], v17
	v_fmac_f64_e32 v[20:21], v[14:15], v[60:61]
	v_fmac_f64_e32 v[40:41], v[16:17], v[60:61]
	v_fma_f64 v[18:19], -v[16:17], v[62:63], v[20:21]
	v_fmac_f64_e32 v[40:41], v[14:15], v[62:63]
	v_cvt_f64_f32_e32 v[14:15], v10
	v_cvt_f64_f32_e32 v[10:11], v11
	v_fmac_f64_e32 v[18:19], v[14:15], v[34:35]
	v_fmac_f64_e32 v[40:41], v[10:11], v[34:35]
	v_fma_f64 v[16:17], -v[10:11], v[36:37], v[18:19]
	v_fmac_f64_e32 v[40:41], v[14:15], v[36:37]
	v_cvt_f64_f32_e32 v[10:11], v12
	v_cvt_f64_f32_e32 v[12:13], v13
	v_fmac_f64_e32 v[40:41], v[12:13], v[30:31]
	s_waitcnt vmcnt(0)
	v_subrev_u32_e32 v1, s12, v1
	v_fmac_f64_e32 v[16:17], v[10:11], v[30:31]
	v_fmac_f64_e32 v[40:41], v[10:11], v[32:33]
	v_lshlrev_b32_e32 v10, 2, v1
	v_ashrrev_i32_e32 v11, 31, v10
	v_fma_f64 v[68:69], -v[12:13], v[32:33], v[16:17]
	global_load_dwordx4 v[30:33], v[66:67], off offset:2096
	global_load_dwordx4 v[34:37], v[66:67], off offset:2080
	;; [unrolled: 1-line block ×4, first 2 shown]
	v_lshl_add_u64 v[78:79], v[10:11], 4, s[4:5]
	global_load_dwordx4 v[10:13], v[78:79], off offset:48
	global_load_dwordx4 v[14:17], v[78:79], off offset:32
	;; [unrolled: 1-line block ×3, first 2 shown]
	global_load_dwordx4 v[22:25], v[78:79], off
	s_waitcnt vmcnt(4)
	v_cvt_f64_f32_e32 v[76:77], v72
	v_cvt_f64_f32_e32 v[72:73], v73
	s_waitcnt vmcnt(0)
	v_fmac_f64_e32 v[26:27], v[76:77], v[22:23]
	v_fmac_f64_e32 v[52:53], v[72:73], v[22:23]
	v_fma_f64 v[26:27], -v[72:73], v[24:25], v[26:27]
	v_fmac_f64_e32 v[52:53], v[76:77], v[24:25]
	v_cvt_f64_f32_e32 v[72:73], v74
	v_cvt_f64_f32_e32 v[74:75], v75
	v_fmac_f64_e32 v[26:27], v[72:73], v[18:19]
	v_fmac_f64_e32 v[52:53], v[74:75], v[18:19]
	v_fma_f64 v[26:27], -v[74:75], v[20:21], v[26:27]
	v_fmac_f64_e32 v[52:53], v[72:73], v[20:21]
	v_cvt_f64_f32_e32 v[72:73], v60
	v_cvt_f64_f32_e32 v[60:61], v61
	v_fmac_f64_e32 v[26:27], v[72:73], v[14:15]
	v_fma_f64 v[26:27], -v[60:61], v[16:17], v[26:27]
	v_fmac_f64_e32 v[52:53], v[60:61], v[14:15]
	v_cvt_f64_f32_e32 v[60:61], v62
	v_fmac_f64_e32 v[52:53], v[72:73], v[16:17]
	v_cvt_f64_f32_e32 v[72:73], v63
	v_fmac_f64_e32 v[26:27], v[60:61], v[10:11]
	v_fma_f64 v[62:63], -v[72:73], v[12:13], v[26:27]
	v_cvt_f64_f32_e32 v[26:27], v34
	v_cvt_f64_f32_e32 v[34:35], v35
	v_fmac_f64_e32 v[28:29], v[26:27], v[22:23]
	v_fmac_f64_e32 v[50:51], v[34:35], v[22:23]
	v_fma_f64 v[28:29], -v[34:35], v[24:25], v[28:29]
	v_fmac_f64_e32 v[50:51], v[26:27], v[24:25]
	v_cvt_f64_f32_e32 v[26:27], v36
	v_cvt_f64_f32_e32 v[34:35], v37
	v_fmac_f64_e32 v[28:29], v[26:27], v[18:19]
	v_fmac_f64_e32 v[50:51], v[34:35], v[18:19]
	v_fma_f64 v[28:29], -v[34:35], v[20:21], v[28:29]
	v_fmac_f64_e32 v[50:51], v[26:27], v[20:21]
	;; [unrolled: 6-line block ×3, first 2 shown]
	v_cvt_f64_f32_e32 v[26:27], v32
	v_cvt_f64_f32_e32 v[30:31], v33
	v_fmac_f64_e32 v[52:53], v[72:73], v[10:11]
	v_fmac_f64_e32 v[28:29], v[26:27], v[10:11]
	;; [unrolled: 1-line block ×4, first 2 shown]
	v_fma_f64 v[60:61], -v[30:31], v[12:13], v[28:29]
	v_fmac_f64_e32 v[50:51], v[26:27], v[12:13]
	global_load_dwordx4 v[26:29], v[66:67], off offset:2160
	global_load_dwordx4 v[30:33], v[66:67], off offset:2144
	global_load_dwordx4 v[34:37], v[66:67], off offset:2128
	global_load_dwordx4 v[72:75], v[66:67], off offset:2112
	s_waitcnt vmcnt(0)
	v_cvt_f64_f32_e32 v[66:67], v72
	v_cvt_f64_f32_e32 v[72:73], v73
	v_fmac_f64_e32 v[70:71], v[66:67], v[22:23]
	v_fmac_f64_e32 v[42:43], v[72:73], v[22:23]
	v_fma_f64 v[70:71], -v[72:73], v[24:25], v[70:71]
	v_fmac_f64_e32 v[42:43], v[66:67], v[24:25]
	v_cvt_f64_f32_e32 v[66:67], v74
	v_cvt_f64_f32_e32 v[72:73], v75
	v_fmac_f64_e32 v[70:71], v[66:67], v[18:19]
	v_fmac_f64_e32 v[42:43], v[72:73], v[18:19]
	v_fma_f64 v[70:71], -v[72:73], v[20:21], v[70:71]
	v_fmac_f64_e32 v[42:43], v[66:67], v[20:21]
	;; [unrolled: 6-line block ×3, first 2 shown]
	v_cvt_f64_f32_e32 v[66:67], v36
	v_cvt_f64_f32_e32 v[36:37], v37
	v_fmac_f64_e32 v[70:71], v[66:67], v[10:11]
	v_fma_f64 v[34:35], -v[36:37], v[12:13], v[70:71]
	v_fmac_f64_e32 v[42:43], v[36:37], v[10:11]
	v_cvt_f64_f32_e32 v[36:37], v30
	v_cvt_f64_f32_e32 v[30:31], v31
	v_fmac_f64_e32 v[68:69], v[36:37], v[22:23]
	v_fmac_f64_e32 v[40:41], v[30:31], v[22:23]
	;; [unrolled: 1-line block ×3, first 2 shown]
	v_fma_f64 v[66:67], -v[30:31], v[24:25], v[68:69]
	v_fmac_f64_e32 v[40:41], v[36:37], v[24:25]
	v_cvt_f64_f32_e32 v[22:23], v32
	v_cvt_f64_f32_e32 v[24:25], v33
	v_fmac_f64_e32 v[66:67], v[22:23], v[18:19]
	v_fmac_f64_e32 v[40:41], v[24:25], v[18:19]
	v_fma_f64 v[30:31], -v[24:25], v[20:21], v[66:67]
	v_fmac_f64_e32 v[40:41], v[22:23], v[20:21]
	v_cvt_f64_f32_e32 v[18:19], v26
	v_cvt_f64_f32_e32 v[20:21], v27
	v_fmac_f64_e32 v[30:31], v[18:19], v[14:15]
	v_fmac_f64_e32 v[40:41], v[20:21], v[14:15]
	;; [unrolled: 6-line block ×3, first 2 shown]
	v_fma_f64 v[18:19], -v[16:17], v[12:13], v[22:23]
	v_fmac_f64_e32 v[40:41], v[14:15], v[12:13]
	s_andn2_b64 exec, exec, s[14:15]
	s_cbranch_execnz .LBB172_19
; %bb.20:
	s_or_b64 exec, exec, s[14:15]
.LBB172_21:
	s_or_b64 exec, exec, s[10:11]
.LBB172_22:
	s_or_b64 exec, exec, s[6:7]
	s_cbranch_execz .LBB172_24
	s_branch .LBB172_35
.LBB172_23:
                                        ; implicit-def: $vgpr52_vgpr53
                                        ; implicit-def: $vgpr62_vgpr63
                                        ; implicit-def: $vgpr50_vgpr51
                                        ; implicit-def: $vgpr60_vgpr61
                                        ; implicit-def: $vgpr42_vgpr43
                                        ; implicit-def: $vgpr34_vgpr35
                                        ; implicit-def: $vgpr40_vgpr41
                                        ; implicit-def: $vgpr18_vgpr19
.LBB172_24:
	v_mov_b64_e32 v[52:53], 0
	v_mov_b64_e32 v[62:63], 0
	;; [unrolled: 1-line block ×8, first 2 shown]
	s_and_saveexec_b64 s[6:7], s[2:3]
	s_cbranch_execz .LBB172_34
; %bb.25:
	v_or_b32_e32 v1, 16, v0
	v_subrev_co_u32_e32 v10, vcc, s12, v1
	v_not_b32_e32 v13, v55
	s_nop 0
	v_subb_co_u32_e64 v11, s[2:3], 0, 0, vcc
	v_lshl_add_u64 v[10:11], v[10:11], 0, v[54:55]
	v_cmp_gt_i64_e32 vcc, v[10:11], v[46:47]
	v_not_b32_e32 v12, v54
	v_mov_b64_e32 v[18:19], 0
	v_cndmask_b32_e32 v11, v47, v11, vcc
	v_cndmask_b32_e32 v10, v46, v10, vcc
	v_sub_co_u32_e32 v14, vcc, s12, v0
	v_mov_b64_e32 v[40:41], 0
	s_nop 0
	v_subb_co_u32_e64 v15, s[2:3], 0, 0, vcc
	v_lshl_add_u64 v[12:13], v[14:15], 0, v[12:13]
	v_lshl_add_u64 v[10:11], v[12:13], 0, v[10:11]
	v_and_b32_e32 v12, 48, v10
	v_mov_b32_e32 v13, 0
	v_cmp_ne_u64_e32 vcc, 48, v[12:13]
	v_mov_b64_e32 v[34:35], 0
	v_mov_b64_e32 v[42:43], 0
	;; [unrolled: 1-line block ×6, first 2 shown]
	s_and_saveexec_b64 s[2:3], vcc
	s_cbranch_execz .LBB172_29
; %bb.26:
	v_lshrrev_b32_e32 v1, 4, v10
	v_add_u32_e32 v1, 1, v1
	v_and_b32_e32 v1, 3, v1
	v_sub_co_u32_e32 v14, vcc, 0, v1
	v_lshl_add_u64 v[12:13], v[44:45], 2, s[8:9]
	s_nop 0
	v_subb_co_u32_e64 v15, s[14:15], 0, 0, vcc
	s_mov_b64 s[10:11], 0
	v_mov_b64_e32 v[52:53], 0
	s_mov_b64 s[14:15], 0x800
	v_mov_b64_e32 v[62:63], 0
	v_mov_b64_e32 v[50:51], 0
	;; [unrolled: 1-line block ×7, first 2 shown]
.LBB172_27:                             ; =>This Inner Loop Header: Depth=1
	global_load_dword v1, v[12:13], off
	global_load_dwordx4 v[20:23], v[48:49], off
	global_load_dwordx4 v[24:27], v[48:49], off offset:16
	global_load_dwordx4 v[28:31], v[48:49], off offset:32
	;; [unrolled: 1-line block ×7, first 2 shown]
	v_lshl_add_u64 v[14:15], v[14:15], 0, 1
	v_cmp_eq_u64_e32 vcc, 0, v[14:15]
	v_lshl_add_u64 v[48:49], v[48:49], 0, s[14:15]
	v_lshl_add_u64 v[44:45], v[44:45], 0, 16
	;; [unrolled: 1-line block ×3, first 2 shown]
	s_or_b64 s[10:11], vcc, s[10:11]
	s_waitcnt vmcnt(8)
	v_subrev_u32_e32 v1, s12, v1
	s_waitcnt vmcnt(7)
	v_cvt_f64_f32_e32 v[16:17], v20
	v_lshlrev_b32_e32 v20, 2, v1
	v_cvt_f64_f32_e32 v[32:33], v21
	v_ashrrev_i32_e32 v21, 31, v20
	s_waitcnt lgkmcnt(0)
	v_lshl_add_u64 v[104:105], v[20:21], 4, s[4:5]
	v_cvt_f64_f32_e32 v[36:37], v22
	v_cvt_f64_f32_e32 v[58:59], v23
	s_waitcnt vmcnt(6)
	v_cvt_f64_f32_e32 v[84:85], v24
	v_cvt_f64_f32_e32 v[86:87], v25
	;; [unrolled: 1-line block ×4, first 2 shown]
	s_waitcnt vmcnt(5)
	v_cvt_f64_f32_e32 v[92:93], v28
	v_cvt_f64_f32_e32 v[94:95], v29
	;; [unrolled: 1-line block ×4, first 2 shown]
	global_load_dwordx4 v[20:23], v[104:105], off
	global_load_dwordx4 v[24:27], v[104:105], off offset:16
	global_load_dwordx4 v[28:31], v[104:105], off offset:32
	;; [unrolled: 1-line block ×3, first 2 shown]
	s_waitcnt vmcnt(8)
	v_cvt_f64_f32_e32 v[100:101], v54
	v_cvt_f64_f32_e32 v[54:55], v55
	v_cvt_f64_f32_e32 v[102:103], v56
	v_cvt_f64_f32_e32 v[56:57], v57
	s_waitcnt vmcnt(7)
	v_cvt_f64_f32_e32 v[104:105], v64
	v_cvt_f64_f32_e32 v[64:65], v65
	v_cvt_f64_f32_e32 v[106:107], v66
	v_cvt_f64_f32_e32 v[66:67], v67
	;; [unrolled: 5-line block ×5, first 2 shown]
	s_waitcnt vmcnt(3)
	v_fmac_f64_e32 v[62:63], v[16:17], v[20:21]
	v_fmac_f64_e32 v[52:53], v[32:33], v[20:21]
	v_fmac_f64_e32 v[60:61], v[36:37], v[20:21]
	v_fmac_f64_e32 v[50:51], v[58:59], v[20:21]
	v_fmac_f64_e32 v[34:35], v[84:85], v[20:21]
	v_fmac_f64_e32 v[42:43], v[86:87], v[20:21]
	v_fmac_f64_e32 v[18:19], v[88:89], v[20:21]
	v_fmac_f64_e32 v[40:41], v[90:91], v[20:21]
	v_fma_f64 v[20:21], -v[32:33], v[22:23], v[62:63]
	v_fmac_f64_e32 v[52:53], v[16:17], v[22:23]
	v_fma_f64 v[16:17], -v[58:59], v[22:23], v[60:61]
	v_fmac_f64_e32 v[50:51], v[36:37], v[22:23]
	v_fma_f64 v[32:33], -v[86:87], v[22:23], v[34:35]
	v_fmac_f64_e32 v[42:43], v[84:85], v[22:23]
	v_fma_f64 v[18:19], -v[90:91], v[22:23], v[18:19]
	v_fmac_f64_e32 v[40:41], v[88:89], v[22:23]
	s_waitcnt vmcnt(2)
	v_fmac_f64_e32 v[20:21], v[92:93], v[24:25]
	v_fmac_f64_e32 v[52:53], v[94:95], v[24:25]
	v_fmac_f64_e32 v[16:17], v[96:97], v[24:25]
	v_fmac_f64_e32 v[50:51], v[98:99], v[24:25]
	v_fmac_f64_e32 v[32:33], v[100:101], v[24:25]
	v_fmac_f64_e32 v[42:43], v[54:55], v[24:25]
	v_fmac_f64_e32 v[18:19], v[102:103], v[24:25]
	v_fmac_f64_e32 v[40:41], v[56:57], v[24:25]
	v_fma_f64 v[20:21], -v[94:95], v[26:27], v[20:21]
	v_fmac_f64_e32 v[52:53], v[92:93], v[26:27]
	v_fma_f64 v[16:17], -v[98:99], v[26:27], v[16:17]
	v_fmac_f64_e32 v[50:51], v[96:97], v[26:27]
	v_fma_f64 v[22:23], -v[54:55], v[26:27], v[32:33]
	v_fmac_f64_e32 v[42:43], v[100:101], v[26:27]
	v_fma_f64 v[18:19], -v[56:57], v[26:27], v[18:19]
	v_fmac_f64_e32 v[40:41], v[102:103], v[26:27]
	;; [unrolled: 17-line block ×4, first 2 shown]
	s_andn2_b64 exec, exec, s[10:11]
	s_cbranch_execnz .LBB172_27
; %bb.28:
	s_or_b64 exec, exec, s[10:11]
.LBB172_29:
	s_or_b64 exec, exec, s[2:3]
	v_cmp_lt_u64_e32 vcc, 47, v[10:11]
	s_and_saveexec_b64 s[2:3], vcc
	s_cbranch_execz .LBB172_33
; %bb.30:
	v_lshl_add_u64 v[10:11], v[44:45], 2, s[8:9]
	s_mov_b64 s[8:9], 0x80
	v_lshl_add_u64 v[30:31], v[10:11], 0, s[8:9]
	s_mov_b64 s[8:9], 0
	s_mov_b64 s[10:11], 0x1000
	s_movk_i32 s13, 0x1000
	s_mov_b64 s[14:15], 0x100
	s_mov_b64 s[16:17], 0x2000
.LBB172_31:                             ; =>This Inner Loop Header: Depth=1
	global_load_dword v1, v[30:31], off offset:-128
	global_load_dwordx4 v[14:17], v[48:49], off offset:48
	global_load_dwordx4 v[20:23], v[48:49], off offset:32
	;; [unrolled: 1-line block ×3, first 2 shown]
	global_load_dwordx4 v[54:57], v[48:49], off
	v_lshl_add_u64 v[44:45], v[44:45], 0, 64
	s_waitcnt vmcnt(4)
	v_subrev_u32_e32 v1, s12, v1
	v_lshlrev_b32_e32 v10, 2, v1
	v_ashrrev_i32_e32 v11, 31, v10
	s_waitcnt lgkmcnt(0)
	v_lshl_add_u64 v[36:37], v[10:11], 4, s[4:5]
	global_load_dwordx4 v[10:13], v[36:37], off offset:48
	global_load_dwordx4 v[64:67], v[36:37], off offset:32
	;; [unrolled: 1-line block ×3, first 2 shown]
	global_load_dwordx4 v[72:75], v[36:37], off
	s_waitcnt vmcnt(4)
	v_cvt_f64_f32_e32 v[28:29], v54
	v_cvt_f64_f32_e32 v[32:33], v55
	s_waitcnt vmcnt(0)
	v_fmac_f64_e32 v[62:63], v[28:29], v[72:73]
	v_fma_f64 v[36:37], -v[32:33], v[74:75], v[62:63]
	v_fmac_f64_e32 v[52:53], v[32:33], v[72:73]
	v_cvt_f64_f32_e32 v[32:33], v57
	v_fmac_f64_e32 v[52:53], v[28:29], v[74:75]
	v_cvt_f64_f32_e32 v[28:29], v56
	v_fmac_f64_e32 v[50:51], v[32:33], v[72:73]
	v_fmac_f64_e32 v[60:61], v[28:29], v[72:73]
	;; [unrolled: 1-line block ×3, first 2 shown]
	v_cvt_f64_f32_e32 v[28:29], v24
	v_cvt_f64_f32_e32 v[24:25], v25
	v_fmac_f64_e32 v[34:35], v[28:29], v[72:73]
	v_fma_f64 v[54:55], -v[32:33], v[74:75], v[60:61]
	v_fma_f64 v[32:33], -v[24:25], v[74:75], v[34:35]
	v_fmac_f64_e32 v[42:43], v[24:25], v[72:73]
	v_cvt_f64_f32_e32 v[24:25], v26
	v_cvt_f64_f32_e32 v[26:27], v27
	v_fmac_f64_e32 v[40:41], v[26:27], v[72:73]
	v_fmac_f64_e32 v[18:19], v[24:25], v[72:73]
	;; [unrolled: 1-line block ×3, first 2 shown]
	v_cvt_f64_f32_e32 v[24:25], v20
	v_cvt_f64_f32_e32 v[20:21], v21
	v_fmac_f64_e32 v[36:37], v[24:25], v[68:69]
	v_fma_f64 v[34:35], -v[20:21], v[70:71], v[36:37]
	v_fmac_f64_e32 v[52:53], v[20:21], v[68:69]
	v_cvt_f64_f32_e32 v[20:21], v22
	v_cvt_f64_f32_e32 v[22:23], v23
	v_fmac_f64_e32 v[50:51], v[22:23], v[68:69]
	v_fmac_f64_e32 v[54:55], v[20:21], v[68:69]
	v_fmac_f64_e32 v[50:51], v[20:21], v[70:71]
	v_cvt_f64_f32_e32 v[20:21], v14
	v_fmac_f64_e32 v[42:43], v[28:29], v[74:75]
	v_cvt_f64_f32_e32 v[14:15], v15
	v_fmac_f64_e32 v[32:33], v[20:21], v[68:69]
	v_fma_f64 v[18:19], -v[26:27], v[74:75], v[18:19]
	v_fma_f64 v[32:33], -v[14:15], v[70:71], v[32:33]
	v_fmac_f64_e32 v[42:43], v[14:15], v[68:69]
	v_cvt_f64_f32_e32 v[14:15], v16
	v_cvt_f64_f32_e32 v[16:17], v17
	v_fmac_f64_e32 v[18:19], v[14:15], v[68:69]
	v_fmac_f64_e32 v[40:41], v[16:17], v[68:69]
	;; [unrolled: 1-line block ×3, first 2 shown]
	v_fma_f64 v[36:37], -v[22:23], v[70:71], v[54:55]
	v_fmac_f64_e32 v[42:43], v[20:21], v[70:71]
	v_fma_f64 v[54:55], -v[16:17], v[70:71], v[18:19]
	v_fmac_f64_e32 v[40:41], v[14:15], v[70:71]
	global_load_dwordx4 v[14:17], v[48:49], off offset:112
	global_load_dwordx4 v[18:21], v[48:49], off offset:96
	;; [unrolled: 1-line block ×4, first 2 shown]
	global_load_dword v1, v[30:31], off offset:-64
	s_waitcnt vmcnt(1)
	v_cvt_f64_f32_e32 v[56:57], v26
	v_cvt_f64_f32_e32 v[26:27], v27
	v_fmac_f64_e32 v[34:35], v[56:57], v[64:65]
	v_fma_f64 v[34:35], -v[26:27], v[66:67], v[34:35]
	v_fmac_f64_e32 v[52:53], v[26:27], v[64:65]
	v_cvt_f64_f32_e32 v[26:27], v28
	v_cvt_f64_f32_e32 v[28:29], v29
	v_fmac_f64_e32 v[50:51], v[28:29], v[64:65]
	v_fmac_f64_e32 v[36:37], v[26:27], v[64:65]
	;; [unrolled: 1-line block ×3, first 2 shown]
	v_cvt_f64_f32_e32 v[26:27], v22
	v_cvt_f64_f32_e32 v[22:23], v23
	v_fmac_f64_e32 v[32:33], v[26:27], v[64:65]
	v_fma_f64 v[36:37], -v[28:29], v[66:67], v[36:37]
	v_fma_f64 v[28:29], -v[22:23], v[66:67], v[32:33]
	v_fmac_f64_e32 v[42:43], v[22:23], v[64:65]
	v_cvt_f64_f32_e32 v[22:23], v24
	v_cvt_f64_f32_e32 v[24:25], v25
	v_fmac_f64_e32 v[40:41], v[24:25], v[64:65]
	v_fmac_f64_e32 v[54:55], v[22:23], v[64:65]
	;; [unrolled: 1-line block ×3, first 2 shown]
	v_cvt_f64_f32_e32 v[22:23], v18
	v_fmac_f64_e32 v[52:53], v[56:57], v[66:67]
	v_cvt_f64_f32_e32 v[18:19], v19
	v_fmac_f64_e32 v[34:35], v[22:23], v[10:11]
	v_fma_f64 v[70:71], -v[18:19], v[12:13], v[34:35]
	v_fmac_f64_e32 v[52:53], v[18:19], v[10:11]
	v_cvt_f64_f32_e32 v[18:19], v20
	v_cvt_f64_f32_e32 v[20:21], v21
	v_fmac_f64_e32 v[50:51], v[20:21], v[10:11]
	v_fmac_f64_e32 v[36:37], v[18:19], v[10:11]
	;; [unrolled: 1-line block ×3, first 2 shown]
	v_cvt_f64_f32_e32 v[18:19], v14
	v_fmac_f64_e32 v[42:43], v[26:27], v[66:67]
	v_cvt_f64_f32_e32 v[14:15], v15
	v_fmac_f64_e32 v[28:29], v[18:19], v[10:11]
	s_waitcnt vmcnt(0)
	v_subrev_u32_e32 v1, s12, v1
	v_fma_f64 v[32:33], -v[24:25], v[66:67], v[54:55]
	v_fma_f64 v[24:25], -v[14:15], v[12:13], v[28:29]
	v_fmac_f64_e32 v[42:43], v[14:15], v[10:11]
	v_cvt_f64_f32_e32 v[14:15], v16
	v_cvt_f64_f32_e32 v[16:17], v17
	v_lshlrev_b32_e32 v28, 2, v1
	v_fmac_f64_e32 v[32:33], v[14:15], v[10:11]
	v_fmac_f64_e32 v[40:41], v[16:17], v[10:11]
	v_ashrrev_i32_e32 v29, 31, v28
	v_fmac_f64_e32 v[52:53], v[22:23], v[12:13]
	v_fma_f64 v[26:27], -v[20:21], v[12:13], v[36:37]
	v_fmac_f64_e32 v[42:43], v[18:19], v[12:13]
	v_fma_f64 v[22:23], -v[16:17], v[12:13], v[32:33]
	v_fmac_f64_e32 v[40:41], v[14:15], v[12:13]
	global_load_dwordx4 v[10:13], v[48:49], off offset:2096
	global_load_dwordx4 v[14:17], v[48:49], off offset:2080
	;; [unrolled: 1-line block ×4, first 2 shown]
	v_lshl_add_u64 v[28:29], v[28:29], 4, s[4:5]
	global_load_dwordx4 v[54:57], v[28:29], off offset:48
	global_load_dwordx4 v[58:61], v[28:29], off offset:32
	;; [unrolled: 1-line block ×3, first 2 shown]
	global_load_dwordx4 v[66:69], v[28:29], off
	s_waitcnt vmcnt(4)
	v_cvt_f64_f32_e32 v[36:37], v32
	v_cvt_f64_f32_e32 v[32:33], v33
	s_waitcnt vmcnt(0)
	v_fmac_f64_e32 v[70:71], v[36:37], v[66:67]
	v_fma_f64 v[28:29], -v[32:33], v[68:69], v[70:71]
	v_fmac_f64_e32 v[52:53], v[32:33], v[66:67]
	v_cvt_f64_f32_e32 v[32:33], v34
	v_cvt_f64_f32_e32 v[34:35], v35
	v_fmac_f64_e32 v[50:51], v[34:35], v[66:67]
	v_fmac_f64_e32 v[26:27], v[32:33], v[66:67]
	;; [unrolled: 1-line block ×3, first 2 shown]
	v_cvt_f64_f32_e32 v[32:33], v18
	v_cvt_f64_f32_e32 v[18:19], v19
	v_fmac_f64_e32 v[24:25], v[32:33], v[66:67]
	v_fma_f64 v[24:25], -v[18:19], v[68:69], v[24:25]
	v_fmac_f64_e32 v[42:43], v[18:19], v[66:67]
	v_cvt_f64_f32_e32 v[18:19], v20
	v_cvt_f64_f32_e32 v[20:21], v21
	v_fmac_f64_e32 v[40:41], v[20:21], v[66:67]
	v_fmac_f64_e32 v[22:23], v[18:19], v[66:67]
	;; [unrolled: 1-line block ×3, first 2 shown]
	v_cvt_f64_f32_e32 v[18:19], v14
	v_fmac_f64_e32 v[52:53], v[36:37], v[68:69]
	v_cvt_f64_f32_e32 v[14:15], v15
	v_fmac_f64_e32 v[28:29], v[18:19], v[62:63]
	v_fma_f64 v[28:29], -v[14:15], v[64:65], v[28:29]
	v_fmac_f64_e32 v[52:53], v[14:15], v[62:63]
	v_cvt_f64_f32_e32 v[14:15], v16
	v_cvt_f64_f32_e32 v[16:17], v17
	v_fma_f64 v[26:27], -v[34:35], v[68:69], v[26:27]
	v_fmac_f64_e32 v[50:51], v[16:17], v[62:63]
	v_fmac_f64_e32 v[26:27], v[14:15], v[62:63]
	;; [unrolled: 1-line block ×3, first 2 shown]
	v_cvt_f64_f32_e32 v[14:15], v10
	v_fmac_f64_e32 v[42:43], v[32:33], v[68:69]
	v_cvt_f64_f32_e32 v[10:11], v11
	v_fmac_f64_e32 v[24:25], v[14:15], v[62:63]
	v_fma_f64 v[22:23], -v[20:21], v[68:69], v[22:23]
	v_fma_f64 v[32:33], -v[10:11], v[64:65], v[24:25]
	v_fmac_f64_e32 v[42:43], v[10:11], v[62:63]
	v_cvt_f64_f32_e32 v[10:11], v12
	v_cvt_f64_f32_e32 v[12:13], v13
	v_fmac_f64_e32 v[22:23], v[10:11], v[62:63]
	v_fmac_f64_e32 v[40:41], v[12:13], v[62:63]
	;; [unrolled: 1-line block ×3, first 2 shown]
	v_fma_f64 v[26:27], -v[16:17], v[64:65], v[26:27]
	v_fmac_f64_e32 v[42:43], v[14:15], v[64:65]
	v_fma_f64 v[34:35], -v[12:13], v[64:65], v[22:23]
	v_fmac_f64_e32 v[40:41], v[10:11], v[64:65]
	global_load_dwordx4 v[10:13], v[48:49], off offset:2160
	global_load_dwordx4 v[14:17], v[48:49], off offset:2144
	;; [unrolled: 1-line block ×4, first 2 shown]
	global_load_dword v1, v[30:31], off
	s_waitcnt vmcnt(1)
	v_cvt_f64_f32_e32 v[36:37], v22
	v_cvt_f64_f32_e32 v[22:23], v23
	v_fmac_f64_e32 v[28:29], v[36:37], v[58:59]
	v_fma_f64 v[28:29], -v[22:23], v[60:61], v[28:29]
	v_fmac_f64_e32 v[52:53], v[22:23], v[58:59]
	v_cvt_f64_f32_e32 v[22:23], v24
	v_cvt_f64_f32_e32 v[24:25], v25
	v_fmac_f64_e32 v[50:51], v[24:25], v[58:59]
	v_fmac_f64_e32 v[26:27], v[22:23], v[58:59]
	;; [unrolled: 1-line block ×3, first 2 shown]
	v_cvt_f64_f32_e32 v[22:23], v18
	v_cvt_f64_f32_e32 v[18:19], v19
	v_fmac_f64_e32 v[32:33], v[22:23], v[58:59]
	v_fma_f64 v[26:27], -v[24:25], v[60:61], v[26:27]
	v_fma_f64 v[24:25], -v[18:19], v[60:61], v[32:33]
	v_fmac_f64_e32 v[42:43], v[18:19], v[58:59]
	v_cvt_f64_f32_e32 v[18:19], v20
	v_cvt_f64_f32_e32 v[20:21], v21
	v_fmac_f64_e32 v[40:41], v[20:21], v[58:59]
	v_fmac_f64_e32 v[34:35], v[18:19], v[58:59]
	;; [unrolled: 1-line block ×3, first 2 shown]
	v_cvt_f64_f32_e32 v[18:19], v14
	v_fmac_f64_e32 v[52:53], v[36:37], v[60:61]
	v_cvt_f64_f32_e32 v[14:15], v15
	v_fmac_f64_e32 v[28:29], v[18:19], v[54:55]
	v_fma_f64 v[62:63], -v[14:15], v[56:57], v[28:29]
	v_fmac_f64_e32 v[52:53], v[14:15], v[54:55]
	v_cvt_f64_f32_e32 v[14:15], v16
	v_cvt_f64_f32_e32 v[16:17], v17
	v_fmac_f64_e32 v[50:51], v[16:17], v[54:55]
	v_fmac_f64_e32 v[26:27], v[14:15], v[54:55]
	v_fmac_f64_e32 v[50:51], v[14:15], v[56:57]
	v_cvt_f64_f32_e32 v[14:15], v10
	s_waitcnt vmcnt(0)
	v_subrev_u32_e32 v1, s12, v1
	v_fmac_f64_e32 v[42:43], v[22:23], v[60:61]
	v_fma_f64 v[64:65], -v[16:17], v[56:57], v[26:27]
	v_cvt_f64_f32_e32 v[10:11], v11
	v_fmac_f64_e32 v[24:25], v[14:15], v[54:55]
	v_lshlrev_b32_e32 v26, 2, v1
	v_fma_f64 v[22:23], -v[20:21], v[60:61], v[34:35]
	v_fma_f64 v[66:67], -v[10:11], v[56:57], v[24:25]
	v_fmac_f64_e32 v[42:43], v[10:11], v[54:55]
	v_cvt_f64_f32_e32 v[10:11], v12
	v_cvt_f64_f32_e32 v[12:13], v13
	v_add_co_u32_e32 v28, vcc, s13, v48
	v_ashrrev_i32_e32 v27, 31, v26
	v_fmac_f64_e32 v[22:23], v[10:11], v[54:55]
	v_fmac_f64_e32 v[40:41], v[12:13], v[54:55]
	v_addc_co_u32_e32 v29, vcc, 0, v49, vcc
	v_lshl_add_u64 v[72:73], v[26:27], 4, s[4:5]
	v_fmac_f64_e32 v[52:53], v[18:19], v[56:57]
	v_fmac_f64_e32 v[42:43], v[14:15], v[56:57]
	v_fma_f64 v[68:69], -v[12:13], v[56:57], v[22:23]
	v_fmac_f64_e32 v[40:41], v[10:11], v[56:57]
	v_lshl_add_u64 v[32:33], v[48:49], 0, s[10:11]
	global_load_dwordx4 v[10:13], v[28:29], off
	global_load_dwordx4 v[14:17], v[32:33], off offset:48
	global_load_dwordx4 v[18:21], v[32:33], off offset:32
	;; [unrolled: 1-line block ×3, first 2 shown]
	s_nop 0
	global_load_dwordx4 v[26:29], v[72:73], off offset:48
	global_load_dwordx4 v[34:37], v[72:73], off offset:32
	;; [unrolled: 1-line block ×3, first 2 shown]
	global_load_dwordx4 v[58:61], v[72:73], off
	v_cmp_ge_i64_e32 vcc, v[44:45], v[46:47]
	v_lshl_add_u64 v[48:49], v[48:49], 0, s[16:17]
	s_or_b64 s[8:9], vcc, s[8:9]
	s_waitcnt vmcnt(7)
	v_cvt_f64_f32_e32 v[70:71], v10
	v_cvt_f64_f32_e32 v[10:11], v11
	s_waitcnt vmcnt(0)
	v_fmac_f64_e32 v[62:63], v[70:71], v[58:59]
	v_fma_f64 v[62:63], -v[10:11], v[60:61], v[62:63]
	v_fmac_f64_e32 v[52:53], v[10:11], v[58:59]
	v_cvt_f64_f32_e32 v[10:11], v12
	v_cvt_f64_f32_e32 v[12:13], v13
	v_fmac_f64_e32 v[64:65], v[10:11], v[58:59]
	v_fmac_f64_e32 v[50:51], v[12:13], v[58:59]
	v_fma_f64 v[64:65], -v[12:13], v[60:61], v[64:65]
	v_fmac_f64_e32 v[50:51], v[10:11], v[60:61]
	v_cvt_f64_f32_e32 v[10:11], v22
	v_cvt_f64_f32_e32 v[12:13], v23
	v_fmac_f64_e32 v[66:67], v[10:11], v[58:59]
	;; [unrolled: 6-line block ×3, first 2 shown]
	v_fmac_f64_e32 v[40:41], v[12:13], v[58:59]
	v_fmac_f64_e32 v[52:53], v[70:71], v[60:61]
	v_fma_f64 v[24:25], -v[12:13], v[60:61], v[68:69]
	v_fmac_f64_e32 v[40:41], v[10:11], v[60:61]
	v_cvt_f64_f32_e32 v[10:11], v18
	v_cvt_f64_f32_e32 v[12:13], v19
	v_fmac_f64_e32 v[62:63], v[10:11], v[54:55]
	v_fmac_f64_e32 v[52:53], v[12:13], v[54:55]
	v_fma_f64 v[58:59], -v[12:13], v[56:57], v[62:63]
	v_fmac_f64_e32 v[52:53], v[10:11], v[56:57]
	v_cvt_f64_f32_e32 v[10:11], v20
	v_cvt_f64_f32_e32 v[12:13], v21
	;; [unrolled: 6-line block ×4, first 2 shown]
	v_fmac_f64_e32 v[24:25], v[10:11], v[54:55]
	v_fmac_f64_e32 v[40:41], v[12:13], v[54:55]
	v_fma_f64 v[64:65], -v[12:13], v[56:57], v[24:25]
	v_fmac_f64_e32 v[40:41], v[10:11], v[56:57]
	global_load_dwordx4 v[10:13], v[32:33], off offset:112
	global_load_dwordx4 v[14:17], v[32:33], off offset:96
	;; [unrolled: 1-line block ×4, first 2 shown]
	global_load_dword v1, v[30:31], off offset:64
	v_lshl_add_u64 v[30:31], v[30:31], 0, s[14:15]
	s_waitcnt vmcnt(1)
	v_cvt_f64_f32_e32 v[54:55], v22
	v_cvt_f64_f32_e32 v[22:23], v23
	v_fmac_f64_e32 v[58:59], v[54:55], v[34:35]
	v_fma_f64 v[56:57], -v[22:23], v[36:37], v[58:59]
	v_fmac_f64_e32 v[52:53], v[22:23], v[34:35]
	v_cvt_f64_f32_e32 v[22:23], v24
	v_cvt_f64_f32_e32 v[24:25], v25
	v_fmac_f64_e32 v[50:51], v[24:25], v[34:35]
	v_fmac_f64_e32 v[60:61], v[22:23], v[34:35]
	;; [unrolled: 1-line block ×3, first 2 shown]
	v_cvt_f64_f32_e32 v[22:23], v18
	v_cvt_f64_f32_e32 v[18:19], v19
	v_fmac_f64_e32 v[62:63], v[22:23], v[34:35]
	v_fmac_f64_e32 v[52:53], v[54:55], v[36:37]
	v_fma_f64 v[54:55], -v[24:25], v[36:37], v[60:61]
	v_fma_f64 v[24:25], -v[18:19], v[36:37], v[62:63]
	v_fmac_f64_e32 v[42:43], v[18:19], v[34:35]
	v_cvt_f64_f32_e32 v[18:19], v20
	v_cvt_f64_f32_e32 v[20:21], v21
	v_fmac_f64_e32 v[64:65], v[18:19], v[34:35]
	v_fma_f64 v[58:59], -v[20:21], v[36:37], v[64:65]
	v_fmac_f64_e32 v[40:41], v[20:21], v[34:35]
	v_cvt_f64_f32_e32 v[20:21], v14
	v_cvt_f64_f32_e32 v[14:15], v15
	v_fmac_f64_e32 v[56:57], v[20:21], v[26:27]
	v_fmac_f64_e32 v[40:41], v[18:19], v[36:37]
	v_fma_f64 v[18:19], -v[14:15], v[28:29], v[56:57]
	v_fmac_f64_e32 v[52:53], v[14:15], v[26:27]
	v_cvt_f64_f32_e32 v[14:15], v16
	v_cvt_f64_f32_e32 v[16:17], v17
	v_fmac_f64_e32 v[50:51], v[16:17], v[26:27]
	v_fmac_f64_e32 v[54:55], v[14:15], v[26:27]
	;; [unrolled: 1-line block ×3, first 2 shown]
	v_cvt_f64_f32_e32 v[14:15], v10
	v_fmac_f64_e32 v[42:43], v[22:23], v[36:37]
	v_cvt_f64_f32_e32 v[10:11], v11
	v_fmac_f64_e32 v[24:25], v[14:15], v[26:27]
	v_fma_f64 v[22:23], -v[10:11], v[28:29], v[24:25]
	v_fmac_f64_e32 v[42:43], v[10:11], v[26:27]
	v_cvt_f64_f32_e32 v[10:11], v12
	v_cvt_f64_f32_e32 v[12:13], v13
	v_fmac_f64_e32 v[40:41], v[12:13], v[26:27]
	s_waitcnt vmcnt(0)
	v_subrev_u32_e32 v1, s12, v1
	v_fmac_f64_e32 v[58:59], v[10:11], v[26:27]
	v_fmac_f64_e32 v[40:41], v[10:11], v[28:29]
	v_lshlrev_b32_e32 v10, 2, v1
	v_ashrrev_i32_e32 v11, 31, v10
	v_fmac_f64_e32 v[52:53], v[20:21], v[28:29]
	v_fma_f64 v[20:21], -v[16:17], v[28:29], v[54:55]
	v_fmac_f64_e32 v[42:43], v[14:15], v[28:29]
	v_fma_f64 v[24:25], -v[12:13], v[28:29], v[58:59]
	global_load_dwordx4 v[26:29], v[32:33], off offset:2096
	global_load_dwordx4 v[34:37], v[32:33], off offset:2080
	;; [unrolled: 1-line block ×4, first 2 shown]
	v_lshl_add_u64 v[72:73], v[10:11], 4, s[4:5]
	global_load_dwordx4 v[10:13], v[72:73], off offset:48
	global_load_dwordx4 v[14:17], v[72:73], off offset:32
	;; [unrolled: 1-line block ×3, first 2 shown]
	global_load_dwordx4 v[66:69], v[72:73], off
	s_waitcnt vmcnt(4)
	v_cvt_f64_f32_e32 v[70:71], v58
	v_cvt_f64_f32_e32 v[58:59], v59
	s_waitcnt vmcnt(0)
	v_fmac_f64_e32 v[18:19], v[70:71], v[66:67]
	v_fma_f64 v[18:19], -v[58:59], v[68:69], v[18:19]
	v_fmac_f64_e32 v[52:53], v[58:59], v[66:67]
	v_cvt_f64_f32_e32 v[58:59], v60
	v_cvt_f64_f32_e32 v[60:61], v61
	v_fmac_f64_e32 v[50:51], v[60:61], v[66:67]
	v_fmac_f64_e32 v[20:21], v[58:59], v[66:67]
	;; [unrolled: 1-line block ×3, first 2 shown]
	v_cvt_f64_f32_e32 v[58:59], v54
	v_cvt_f64_f32_e32 v[54:55], v55
	v_fmac_f64_e32 v[22:23], v[58:59], v[66:67]
	v_fma_f64 v[22:23], -v[54:55], v[68:69], v[22:23]
	v_fmac_f64_e32 v[42:43], v[54:55], v[66:67]
	v_cvt_f64_f32_e32 v[54:55], v56
	v_cvt_f64_f32_e32 v[56:57], v57
	v_fmac_f64_e32 v[40:41], v[56:57], v[66:67]
	v_fmac_f64_e32 v[24:25], v[54:55], v[66:67]
	;; [unrolled: 1-line block ×3, first 2 shown]
	v_cvt_f64_f32_e32 v[54:55], v34
	v_fmac_f64_e32 v[52:53], v[70:71], v[68:69]
	v_cvt_f64_f32_e32 v[34:35], v35
	v_fmac_f64_e32 v[18:19], v[54:55], v[62:63]
	v_fma_f64 v[20:21], -v[60:61], v[68:69], v[20:21]
	v_fma_f64 v[24:25], -v[56:57], v[68:69], v[24:25]
	;; [unrolled: 1-line block ×3, first 2 shown]
	v_fmac_f64_e32 v[52:53], v[34:35], v[62:63]
	v_cvt_f64_f32_e32 v[18:19], v36
	v_cvt_f64_f32_e32 v[34:35], v37
	v_fmac_f64_e32 v[20:21], v[18:19], v[62:63]
	v_fmac_f64_e32 v[50:51], v[34:35], v[62:63]
	;; [unrolled: 1-line block ×4, first 2 shown]
	v_fma_f64 v[54:55], -v[34:35], v[64:65], v[20:21]
	v_fmac_f64_e32 v[50:51], v[18:19], v[64:65]
	v_cvt_f64_f32_e32 v[18:19], v26
	v_cvt_f64_f32_e32 v[20:21], v27
	v_fmac_f64_e32 v[22:23], v[18:19], v[62:63]
	v_fmac_f64_e32 v[42:43], v[20:21], v[62:63]
	v_fma_f64 v[36:37], -v[20:21], v[64:65], v[22:23]
	v_fmac_f64_e32 v[42:43], v[18:19], v[64:65]
	v_cvt_f64_f32_e32 v[18:19], v28
	v_cvt_f64_f32_e32 v[20:21], v29
	v_fmac_f64_e32 v[24:25], v[18:19], v[62:63]
	v_fmac_f64_e32 v[40:41], v[20:21], v[62:63]
	v_fma_f64 v[34:35], -v[20:21], v[64:65], v[24:25]
	v_fmac_f64_e32 v[40:41], v[18:19], v[64:65]
	global_load_dwordx4 v[18:21], v[32:33], off offset:2160
	global_load_dwordx4 v[22:25], v[32:33], off offset:2144
	;; [unrolled: 1-line block ×4, first 2 shown]
	s_waitcnt vmcnt(0)
	v_cvt_f64_f32_e32 v[32:33], v58
	v_cvt_f64_f32_e32 v[58:59], v59
	v_fmac_f64_e32 v[56:57], v[32:33], v[14:15]
	v_fma_f64 v[56:57], -v[58:59], v[16:17], v[56:57]
	v_fmac_f64_e32 v[52:53], v[58:59], v[14:15]
	v_cvt_f64_f32_e32 v[58:59], v61
	v_fmac_f64_e32 v[52:53], v[32:33], v[16:17]
	v_cvt_f64_f32_e32 v[32:33], v60
	v_fmac_f64_e32 v[50:51], v[58:59], v[14:15]
	v_fmac_f64_e32 v[54:55], v[32:33], v[14:15]
	;; [unrolled: 1-line block ×3, first 2 shown]
	v_cvt_f64_f32_e32 v[32:33], v26
	v_cvt_f64_f32_e32 v[26:27], v27
	v_fmac_f64_e32 v[36:37], v[32:33], v[14:15]
	v_fma_f64 v[36:37], -v[26:27], v[16:17], v[36:37]
	v_fmac_f64_e32 v[42:43], v[26:27], v[14:15]
	v_cvt_f64_f32_e32 v[26:27], v28
	v_cvt_f64_f32_e32 v[28:29], v29
	v_fmac_f64_e32 v[34:35], v[26:27], v[14:15]
	v_fmac_f64_e32 v[40:41], v[28:29], v[14:15]
	v_fma_f64 v[54:55], -v[58:59], v[16:17], v[54:55]
	v_fmac_f64_e32 v[42:43], v[32:33], v[16:17]
	v_fma_f64 v[32:33], -v[28:29], v[16:17], v[34:35]
	v_fmac_f64_e32 v[40:41], v[26:27], v[16:17]
	v_cvt_f64_f32_e32 v[14:15], v22
	v_cvt_f64_f32_e32 v[16:17], v23
	v_fmac_f64_e32 v[56:57], v[14:15], v[10:11]
	v_fmac_f64_e32 v[52:53], v[16:17], v[10:11]
	v_fma_f64 v[62:63], -v[16:17], v[12:13], v[56:57]
	v_fmac_f64_e32 v[52:53], v[14:15], v[12:13]
	v_cvt_f64_f32_e32 v[14:15], v24
	v_cvt_f64_f32_e32 v[16:17], v25
	v_fmac_f64_e32 v[54:55], v[14:15], v[10:11]
	;; [unrolled: 6-line block ×4, first 2 shown]
	v_fmac_f64_e32 v[40:41], v[16:17], v[10:11]
	v_fma_f64 v[18:19], -v[16:17], v[12:13], v[32:33]
	v_fmac_f64_e32 v[40:41], v[14:15], v[12:13]
	s_andn2_b64 exec, exec, s[8:9]
	s_cbranch_execnz .LBB172_31
; %bb.32:
	s_or_b64 exec, exec, s[8:9]
.LBB172_33:
	s_or_b64 exec, exec, s[2:3]
.LBB172_34:
	s_or_b64 exec, exec, s[6:7]
.LBB172_35:
	v_mov_b32_dpp v32, v42 row_shr:1 row_mask:0xf bank_mask:0xf
	v_mov_b32_dpp v33, v43 row_shr:1 row_mask:0xf bank_mask:0xf
	;; [unrolled: 1-line block ×12, first 2 shown]
	v_add_f64 v[32:33], v[42:43], v[32:33]
	v_mov_b32_dpp v36, v18 row_shr:1 row_mask:0xf bank_mask:0xf
	v_mov_b32_dpp v37, v19 row_shr:1 row_mask:0xf bank_mask:0xf
	;; [unrolled: 1-line block ×4, first 2 shown]
	v_add_f64 v[10:11], v[62:63], v[10:11]
	v_add_f64 v[14:15], v[52:53], v[14:15]
	;; [unrolled: 1-line block ×7, first 2 shown]
	v_mov_b32_dpp v12, v10 row_shr:2 row_mask:0xf bank_mask:0xf
	v_mov_b32_dpp v13, v11 row_shr:2 row_mask:0xf bank_mask:0xf
	;; [unrolled: 1-line block ×16, first 2 shown]
	v_add_f64 v[10:11], v[10:11], v[12:13]
	v_add_f64 v[14:15], v[14:15], v[16:17]
	;; [unrolled: 1-line block ×8, first 2 shown]
	v_mov_b32_dpp v12, v10 row_shr:4 row_mask:0xf bank_mask:0xe
	v_mov_b32_dpp v13, v11 row_shr:4 row_mask:0xf bank_mask:0xe
	;; [unrolled: 1-line block ×16, first 2 shown]
	v_add_f64 v[10:11], v[10:11], v[12:13]
	v_add_f64 v[14:15], v[14:15], v[16:17]
	;; [unrolled: 1-line block ×8, first 2 shown]
	v_mov_b32_dpp v12, v10 row_shr:8 row_mask:0xf bank_mask:0xc
	v_mov_b32_dpp v13, v11 row_shr:8 row_mask:0xf bank_mask:0xc
	;; [unrolled: 1-line block ×16, first 2 shown]
	v_cmp_eq_u32_e32 vcc, 15, v0
	s_and_b64 exec, exec, vcc
	s_cbranch_execz .LBB172_8
; %bb.36:
	s_load_dwordx2 s[2:3], s[0:1], 0x60
	v_add_f64 v[0:1], v[10:11], v[12:13]
	v_add_f64 v[10:11], v[14:15], v[16:17]
	;; [unrolled: 1-line block ×8, first 2 shown]
	v_cmp_eq_f64_e32 vcc, 0, v[2:3]
	v_cmp_eq_f64_e64 s[0:1], 0, v[4:5]
	v_mul_f64 v[22:23], v[10:11], -v[8:9]
	v_mul_f64 v[24:25], v[6:7], v[10:11]
	v_mul_f64 v[18:19], v[12:13], -v[8:9]
	v_mul_f64 v[20:21], v[6:7], v[12:13]
	;; [unrolled: 2-line block ×4, first 2 shown]
	s_and_b64 s[0:1], vcc, s[0:1]
	v_fmac_f64_e32 v[22:23], v[6:7], v[0:1]
	v_fmac_f64_e32 v[24:25], v[8:9], v[0:1]
	v_lshlrev_b32_e32 v0, 2, v38
	v_fmac_f64_e32 v[18:19], v[6:7], v[44:45]
	v_fmac_f64_e32 v[20:21], v[8:9], v[44:45]
	;; [unrolled: 1-line block ×6, first 2 shown]
	s_waitcnt lgkmcnt(0)
	s_and_saveexec_b64 s[4:5], s[0:1]
	s_xor_b64 s[0:1], exec, s[4:5]
	s_cbranch_execz .LBB172_38
; %bb.37:
	v_ashrrev_i32_e32 v1, 31, v0
	v_lshl_add_u64 v[0:1], v[0:1], 4, s[2:3]
	global_store_dwordx4 v[0:1], v[22:25], off
	global_store_dwordx4 v[0:1], v[18:21], off offset:16
	global_store_dwordx4 v[0:1], v[14:17], off offset:32
	;; [unrolled: 1-line block ×3, first 2 shown]
                                        ; implicit-def: $vgpr4_vgpr5
                                        ; implicit-def: $vgpr22_vgpr23
                                        ; implicit-def: $vgpr0
                                        ; implicit-def: $vgpr18_vgpr19
                                        ; implicit-def: $vgpr14_vgpr15
                                        ; implicit-def: $vgpr10_vgpr11
.LBB172_38:
	s_andn2_saveexec_b64 s[0:1], s[0:1]
	s_cbranch_execz .LBB172_8
; %bb.39:
	v_ashrrev_i32_e32 v1, 31, v0
	v_lshl_add_u64 v[0:1], v[0:1], 4, s[2:3]
	global_load_dwordx4 v[6:9], v[0:1], off
	global_load_dwordx4 v[26:29], v[0:1], off offset:16
	global_load_dwordx4 v[30:33], v[0:1], off offset:32
	;; [unrolled: 1-line block ×3, first 2 shown]
	s_waitcnt vmcnt(3)
	v_fmac_f64_e32 v[22:23], v[2:3], v[6:7]
	v_fmac_f64_e32 v[24:25], v[4:5], v[6:7]
	s_waitcnt vmcnt(2)
	v_fmac_f64_e32 v[18:19], v[2:3], v[26:27]
	v_fmac_f64_e32 v[20:21], v[4:5], v[26:27]
	;; [unrolled: 3-line block ×4, first 2 shown]
	v_fma_f64 v[22:23], -v[4:5], v[8:9], v[22:23]
	v_fmac_f64_e32 v[24:25], v[2:3], v[8:9]
	v_fma_f64 v[18:19], -v[4:5], v[28:29], v[18:19]
	v_fmac_f64_e32 v[20:21], v[2:3], v[28:29]
	;; [unrolled: 2-line block ×4, first 2 shown]
	global_store_dwordx4 v[0:1], v[22:25], off
	global_store_dwordx4 v[0:1], v[18:21], off offset:16
	global_store_dwordx4 v[0:1], v[14:17], off offset:32
	;; [unrolled: 1-line block ×3, first 2 shown]
	s_endpgm
	.section	.rodata,"a",@progbits
	.p2align	6, 0x0
	.amdhsa_kernel _ZN9rocsparseL18bsrxmvn_4x4_kernelILj128ELj16E21rocsparse_complex_numIdEliS1_IfES2_S2_EEvT3_20rocsparse_direction_NS_24const_host_device_scalarIT1_EES4_PKS4_PKT2_SD_SA_PKT4_PKT5_S8_PT6_21rocsparse_index_base_b
		.amdhsa_group_segment_fixed_size 0
		.amdhsa_private_segment_fixed_size 0
		.amdhsa_kernarg_size 112
		.amdhsa_user_sgpr_count 2
		.amdhsa_user_sgpr_dispatch_ptr 0
		.amdhsa_user_sgpr_queue_ptr 0
		.amdhsa_user_sgpr_kernarg_segment_ptr 1
		.amdhsa_user_sgpr_dispatch_id 0
		.amdhsa_user_sgpr_kernarg_preload_length 0
		.amdhsa_user_sgpr_kernarg_preload_offset 0
		.amdhsa_user_sgpr_private_segment_size 0
		.amdhsa_uses_dynamic_stack 0
		.amdhsa_enable_private_segment 0
		.amdhsa_system_sgpr_workgroup_id_x 1
		.amdhsa_system_sgpr_workgroup_id_y 0
		.amdhsa_system_sgpr_workgroup_id_z 0
		.amdhsa_system_sgpr_workgroup_info 0
		.amdhsa_system_vgpr_workitem_id 0
		.amdhsa_next_free_vgpr 126
		.amdhsa_next_free_sgpr 22
		.amdhsa_accum_offset 128
		.amdhsa_reserve_vcc 1
		.amdhsa_float_round_mode_32 0
		.amdhsa_float_round_mode_16_64 0
		.amdhsa_float_denorm_mode_32 3
		.amdhsa_float_denorm_mode_16_64 3
		.amdhsa_dx10_clamp 1
		.amdhsa_ieee_mode 1
		.amdhsa_fp16_overflow 0
		.amdhsa_tg_split 0
		.amdhsa_exception_fp_ieee_invalid_op 0
		.amdhsa_exception_fp_denorm_src 0
		.amdhsa_exception_fp_ieee_div_zero 0
		.amdhsa_exception_fp_ieee_overflow 0
		.amdhsa_exception_fp_ieee_underflow 0
		.amdhsa_exception_fp_ieee_inexact 0
		.amdhsa_exception_int_div_zero 0
	.end_amdhsa_kernel
	.section	.text._ZN9rocsparseL18bsrxmvn_4x4_kernelILj128ELj16E21rocsparse_complex_numIdEliS1_IfES2_S2_EEvT3_20rocsparse_direction_NS_24const_host_device_scalarIT1_EES4_PKS4_PKT2_SD_SA_PKT4_PKT5_S8_PT6_21rocsparse_index_base_b,"axG",@progbits,_ZN9rocsparseL18bsrxmvn_4x4_kernelILj128ELj16E21rocsparse_complex_numIdEliS1_IfES2_S2_EEvT3_20rocsparse_direction_NS_24const_host_device_scalarIT1_EES4_PKS4_PKT2_SD_SA_PKT4_PKT5_S8_PT6_21rocsparse_index_base_b,comdat
.Lfunc_end172:
	.size	_ZN9rocsparseL18bsrxmvn_4x4_kernelILj128ELj16E21rocsparse_complex_numIdEliS1_IfES2_S2_EEvT3_20rocsparse_direction_NS_24const_host_device_scalarIT1_EES4_PKS4_PKT2_SD_SA_PKT4_PKT5_S8_PT6_21rocsparse_index_base_b, .Lfunc_end172-_ZN9rocsparseL18bsrxmvn_4x4_kernelILj128ELj16E21rocsparse_complex_numIdEliS1_IfES2_S2_EEvT3_20rocsparse_direction_NS_24const_host_device_scalarIT1_EES4_PKS4_PKT2_SD_SA_PKT4_PKT5_S8_PT6_21rocsparse_index_base_b
                                        ; -- End function
	.set _ZN9rocsparseL18bsrxmvn_4x4_kernelILj128ELj16E21rocsparse_complex_numIdEliS1_IfES2_S2_EEvT3_20rocsparse_direction_NS_24const_host_device_scalarIT1_EES4_PKS4_PKT2_SD_SA_PKT4_PKT5_S8_PT6_21rocsparse_index_base_b.num_vgpr, 126
	.set _ZN9rocsparseL18bsrxmvn_4x4_kernelILj128ELj16E21rocsparse_complex_numIdEliS1_IfES2_S2_EEvT3_20rocsparse_direction_NS_24const_host_device_scalarIT1_EES4_PKS4_PKT2_SD_SA_PKT4_PKT5_S8_PT6_21rocsparse_index_base_b.num_agpr, 0
	.set _ZN9rocsparseL18bsrxmvn_4x4_kernelILj128ELj16E21rocsparse_complex_numIdEliS1_IfES2_S2_EEvT3_20rocsparse_direction_NS_24const_host_device_scalarIT1_EES4_PKS4_PKT2_SD_SA_PKT4_PKT5_S8_PT6_21rocsparse_index_base_b.numbered_sgpr, 22
	.set _ZN9rocsparseL18bsrxmvn_4x4_kernelILj128ELj16E21rocsparse_complex_numIdEliS1_IfES2_S2_EEvT3_20rocsparse_direction_NS_24const_host_device_scalarIT1_EES4_PKS4_PKT2_SD_SA_PKT4_PKT5_S8_PT6_21rocsparse_index_base_b.num_named_barrier, 0
	.set _ZN9rocsparseL18bsrxmvn_4x4_kernelILj128ELj16E21rocsparse_complex_numIdEliS1_IfES2_S2_EEvT3_20rocsparse_direction_NS_24const_host_device_scalarIT1_EES4_PKS4_PKT2_SD_SA_PKT4_PKT5_S8_PT6_21rocsparse_index_base_b.private_seg_size, 0
	.set _ZN9rocsparseL18bsrxmvn_4x4_kernelILj128ELj16E21rocsparse_complex_numIdEliS1_IfES2_S2_EEvT3_20rocsparse_direction_NS_24const_host_device_scalarIT1_EES4_PKS4_PKT2_SD_SA_PKT4_PKT5_S8_PT6_21rocsparse_index_base_b.uses_vcc, 1
	.set _ZN9rocsparseL18bsrxmvn_4x4_kernelILj128ELj16E21rocsparse_complex_numIdEliS1_IfES2_S2_EEvT3_20rocsparse_direction_NS_24const_host_device_scalarIT1_EES4_PKS4_PKT2_SD_SA_PKT4_PKT5_S8_PT6_21rocsparse_index_base_b.uses_flat_scratch, 0
	.set _ZN9rocsparseL18bsrxmvn_4x4_kernelILj128ELj16E21rocsparse_complex_numIdEliS1_IfES2_S2_EEvT3_20rocsparse_direction_NS_24const_host_device_scalarIT1_EES4_PKS4_PKT2_SD_SA_PKT4_PKT5_S8_PT6_21rocsparse_index_base_b.has_dyn_sized_stack, 0
	.set _ZN9rocsparseL18bsrxmvn_4x4_kernelILj128ELj16E21rocsparse_complex_numIdEliS1_IfES2_S2_EEvT3_20rocsparse_direction_NS_24const_host_device_scalarIT1_EES4_PKS4_PKT2_SD_SA_PKT4_PKT5_S8_PT6_21rocsparse_index_base_b.has_recursion, 0
	.set _ZN9rocsparseL18bsrxmvn_4x4_kernelILj128ELj16E21rocsparse_complex_numIdEliS1_IfES2_S2_EEvT3_20rocsparse_direction_NS_24const_host_device_scalarIT1_EES4_PKS4_PKT2_SD_SA_PKT4_PKT5_S8_PT6_21rocsparse_index_base_b.has_indirect_call, 0
	.section	.AMDGPU.csdata,"",@progbits
; Kernel info:
; codeLenInByte = 8516
; TotalNumSgprs: 28
; NumVgprs: 126
; NumAgprs: 0
; TotalNumVgprs: 126
; ScratchSize: 0
; MemoryBound: 0
; FloatMode: 240
; IeeeMode: 1
; LDSByteSize: 0 bytes/workgroup (compile time only)
; SGPRBlocks: 3
; VGPRBlocks: 15
; NumSGPRsForWavesPerEU: 28
; NumVGPRsForWavesPerEU: 126
; AccumOffset: 128
; Occupancy: 4
; WaveLimiterHint : 1
; COMPUTE_PGM_RSRC2:SCRATCH_EN: 0
; COMPUTE_PGM_RSRC2:USER_SGPR: 2
; COMPUTE_PGM_RSRC2:TRAP_HANDLER: 0
; COMPUTE_PGM_RSRC2:TGID_X_EN: 1
; COMPUTE_PGM_RSRC2:TGID_Y_EN: 0
; COMPUTE_PGM_RSRC2:TGID_Z_EN: 0
; COMPUTE_PGM_RSRC2:TIDIG_COMP_CNT: 0
; COMPUTE_PGM_RSRC3_GFX90A:ACCUM_OFFSET: 31
; COMPUTE_PGM_RSRC3_GFX90A:TG_SPLIT: 0
	.section	.text._ZN9rocsparseL18bsrxmvn_4x4_kernelILj128ELj32E21rocsparse_complex_numIdEliS1_IfES2_S2_EEvT3_20rocsparse_direction_NS_24const_host_device_scalarIT1_EES4_PKS4_PKT2_SD_SA_PKT4_PKT5_S8_PT6_21rocsparse_index_base_b,"axG",@progbits,_ZN9rocsparseL18bsrxmvn_4x4_kernelILj128ELj32E21rocsparse_complex_numIdEliS1_IfES2_S2_EEvT3_20rocsparse_direction_NS_24const_host_device_scalarIT1_EES4_PKS4_PKT2_SD_SA_PKT4_PKT5_S8_PT6_21rocsparse_index_base_b,comdat
	.globl	_ZN9rocsparseL18bsrxmvn_4x4_kernelILj128ELj32E21rocsparse_complex_numIdEliS1_IfES2_S2_EEvT3_20rocsparse_direction_NS_24const_host_device_scalarIT1_EES4_PKS4_PKT2_SD_SA_PKT4_PKT5_S8_PT6_21rocsparse_index_base_b ; -- Begin function _ZN9rocsparseL18bsrxmvn_4x4_kernelILj128ELj32E21rocsparse_complex_numIdEliS1_IfES2_S2_EEvT3_20rocsparse_direction_NS_24const_host_device_scalarIT1_EES4_PKS4_PKT2_SD_SA_PKT4_PKT5_S8_PT6_21rocsparse_index_base_b
	.p2align	8
	.type	_ZN9rocsparseL18bsrxmvn_4x4_kernelILj128ELj32E21rocsparse_complex_numIdEliS1_IfES2_S2_EEvT3_20rocsparse_direction_NS_24const_host_device_scalarIT1_EES4_PKS4_PKT2_SD_SA_PKT4_PKT5_S8_PT6_21rocsparse_index_base_b,@function
_ZN9rocsparseL18bsrxmvn_4x4_kernelILj128ELj32E21rocsparse_complex_numIdEliS1_IfES2_S2_EEvT3_20rocsparse_direction_NS_24const_host_device_scalarIT1_EES4_PKS4_PKT2_SD_SA_PKT4_PKT5_S8_PT6_21rocsparse_index_base_b: ; @_ZN9rocsparseL18bsrxmvn_4x4_kernelILj128ELj32E21rocsparse_complex_numIdEliS1_IfES2_S2_EEvT3_20rocsparse_direction_NS_24const_host_device_scalarIT1_EES4_PKS4_PKT2_SD_SA_PKT4_PKT5_S8_PT6_21rocsparse_index_base_b
; %bb.0:
	s_load_dwordx2 s[4:5], s[0:1], 0x8
	s_load_dwordx2 s[12:13], s[0:1], 0x68
	s_add_u32 s3, s0, 8
	s_addc_u32 s8, s1, 0
	s_add_u32 s9, s0, 0x50
	s_load_dwordx2 s[6:7], s[0:1], 0x50
	s_addc_u32 s10, s1, 0
	s_waitcnt lgkmcnt(0)
	s_bitcmp1_b32 s13, 0
	s_cselect_b32 s5, s8, s5
	s_cselect_b32 s3, s3, s4
	v_mov_b32_e32 v2, s3
	v_mov_b32_e32 v3, s5
	flat_load_dwordx4 v[6:9], v[2:3]
	s_cselect_b32 s3, s10, s7
	s_cselect_b32 s4, s9, s6
	v_mov_b32_e32 v2, s4
	v_mov_b32_e32 v3, s3
	flat_load_dwordx4 v[2:5], v[2:3]
	s_waitcnt vmcnt(0) lgkmcnt(0)
	v_cmp_eq_f64_e32 vcc, 0, v[6:7]
	v_cmp_eq_f64_e64 s[4:5], 0, v[8:9]
	s_and_b64 s[8:9], vcc, s[4:5]
	s_mov_b64 s[4:5], -1
	s_and_saveexec_b64 s[6:7], s[8:9]
; %bb.1:
	v_cmp_neq_f64_e32 vcc, 1.0, v[2:3]
	v_cmp_neq_f64_e64 s[4:5], 0, v[4:5]
	s_or_b64 s[4:5], vcc, s[4:5]
	s_orn2_b64 s[4:5], s[4:5], exec
; %bb.2:
	s_or_b64 exec, exec, s[6:7]
	s_and_saveexec_b64 s[6:7], s[4:5]
	s_cbranch_execz .LBB173_8
; %bb.3:
	s_load_dwordx2 s[4:5], s[0:1], 0x20
	s_load_dwordx2 s[14:15], s[0:1], 0x0
	v_lshrrev_b32_e32 v1, 5, v0
	v_lshl_or_b32 v30, s2, 2, v1
	s_mov_b64 s[2:3], 0
	s_waitcnt lgkmcnt(0)
	s_cmp_lg_u64 s[4:5], 0
	s_cbranch_scc0 .LBB173_9
; %bb.4:
	s_load_dword s6, s[0:1], 0x18
                                        ; implicit-def: $vgpr1
	s_waitcnt lgkmcnt(0)
	v_cmp_gt_i32_e32 vcc, s6, v30
	s_and_saveexec_b64 s[6:7], vcc
	s_xor_b64 s[6:7], exec, s[6:7]
	s_cbranch_execz .LBB173_6
; %bb.5:
	v_ashrrev_i32_e32 v31, 31, v30
	v_lshl_add_u64 v[10:11], v[30:31], 2, s[4:5]
	global_load_dword v1, v[10:11], off
	s_mov_b64 s[2:3], exec
	s_waitcnt vmcnt(0)
	v_subrev_u32_e32 v1, s12, v1
.LBB173_6:
	s_or_b64 exec, exec, s[6:7]
	s_branch .LBB173_10
.LBB173_7:
	v_cmp_gt_i32_e32 vcc, s14, v30
	s_andn2_b64 s[2:3], s[2:3], exec
	s_and_b64 s[4:5], vcc, exec
	s_or_b64 s[2:3], s[2:3], s[4:5]
	s_and_b64 exec, exec, s[2:3]
	s_cbranch_execnz .LBB173_11
.LBB173_8:
	s_endpgm
.LBB173_9:
                                        ; implicit-def: $vgpr1
	s_cbranch_execnz .LBB173_7
.LBB173_10:
	v_mov_b32_e32 v30, v1
	s_and_b64 exec, exec, s[2:3]
	s_cbranch_execz .LBB173_8
.LBB173_11:
	s_load_dwordx8 s[4:11], s[0:1], 0x28
	v_ashrrev_i32_e32 v31, 31, v30
	v_lshlrev_b64 v[10:11], 3, v[30:31]
	v_and_b32_e32 v0, 31, v0
	v_mov_b32_e32 v1, 0
	s_waitcnt lgkmcnt(0)
	v_lshl_add_u64 v[12:13], s[4:5], 0, v[10:11]
	s_cmp_eq_u64 s[6:7], 0
	v_lshl_add_u64 v[10:11], s[6:7], 0, v[10:11]
	global_load_dwordx2 v[46:47], v[12:13], off
	v_lshl_add_u64 v[12:13], v[12:13], 0, 8
	s_cselect_b64 vcc, -1, 0
	v_cndmask_b32_e32 v11, v11, v13, vcc
	v_cndmask_b32_e32 v10, v10, v12, vcc
	global_load_dwordx2 v[10:11], v[10:11], off
	s_load_dwordx2 s[4:5], s[0:1], 0x48
	s_cmp_eq_u32 s15, 1
	s_waitcnt vmcnt(1)
	v_subrev_co_u32_e32 v12, vcc, s12, v46
	s_nop 1
	v_subbrev_co_u32_e32 v13, vcc, 0, v47, vcc
	v_lshl_add_u64 v[36:37], v[12:13], 0, v[0:1]
	s_waitcnt vmcnt(0)
	v_subrev_co_u32_e32 v38, vcc, s12, v10
	s_nop 1
	v_subbrev_co_u32_e32 v39, vcc, 0, v11, vcc
	v_lshlrev_b64 v[10:11], 7, v[36:37]
	v_lshl_add_u64 v[40:41], s[10:11], 0, v[10:11]
	v_cmp_lt_i64_e64 s[2:3], v[36:37], v[38:39]
	s_cbranch_scc1 .LBB173_23
; %bb.12:
	v_mov_b64_e32 v[44:45], 0
	v_mov_b64_e32 v[56:57], 0
	;; [unrolled: 1-line block ×8, first 2 shown]
	s_and_saveexec_b64 s[6:7], s[2:3]
	s_cbranch_execz .LBB173_22
; %bb.13:
	v_or_b32_e32 v1, 32, v0
	v_subrev_co_u32_e32 v10, vcc, s12, v1
	v_not_b32_e32 v13, v47
	s_nop 0
	v_subb_co_u32_e64 v11, s[10:11], 0, 0, vcc
	v_lshl_add_u64 v[10:11], v[10:11], 0, v[46:47]
	v_cmp_gt_i64_e32 vcc, v[10:11], v[38:39]
	v_not_b32_e32 v12, v46
	v_mov_b64_e32 v[18:19], 0
	v_cndmask_b32_e32 v11, v39, v11, vcc
	v_cndmask_b32_e32 v10, v38, v10, vcc
	v_sub_co_u32_e32 v14, vcc, s12, v0
	v_mov_b64_e32 v[32:33], 0
	s_nop 0
	v_subb_co_u32_e64 v15, s[10:11], 0, 0, vcc
	v_lshl_add_u64 v[12:13], v[14:15], 0, v[12:13]
	v_lshl_add_u64 v[14:15], v[12:13], 0, v[10:11]
	v_and_b32_e32 v10, 0x60, v14
	v_mov_b32_e32 v11, 0
	s_mov_b64 s[10:11], 0x60
	v_cmp_ne_u64_e32 vcc, s[10:11], v[10:11]
	v_mov_b64_e32 v[58:59], 0
	v_mov_b64_e32 v[34:35], 0
	;; [unrolled: 1-line block ×8, first 2 shown]
	s_and_saveexec_b64 s[10:11], vcc
	s_cbranch_execz .LBB173_17
; %bb.14:
	v_lshrrev_b32_e32 v1, 5, v14
	v_add_u32_e32 v1, 1, v1
	v_and_b32_e32 v1, 3, v1
	v_sub_co_u32_e32 v20, vcc, 0, v1
	v_lshl_add_u64 v[16:17], v[36:37], 2, s[8:9]
	s_nop 0
	v_subb_co_u32_e64 v21, s[16:17], 0, 0, vcc
	s_mov_b64 s[14:15], 0
	v_mov_b64_e32 v[44:45], 0
	s_mov_b64 s[16:17], 0x1000
	s_mov_b64 s[18:19], 0x80
	v_mov_b64_e32 v[50:51], v[36:37]
	v_mov_b64_e32 v[48:49], v[40:41]
	v_mov_b64_e32 v[56:57], 0
	v_mov_b64_e32 v[42:43], 0
	v_mov_b64_e32 v[54:55], 0
	v_mov_b64_e32 v[34:35], 0
	v_mov_b64_e32 v[58:59], 0
	v_mov_b64_e32 v[32:33], 0
	v_mov_b64_e32 v[18:19], 0
.LBB173_15:                             ; =>This Inner Loop Header: Depth=1
	global_load_dword v1, v[16:17], off
	global_load_dwordx4 v[22:25], v[48:49], off
	global_load_dwordx4 v[26:29], v[48:49], off offset:16
	global_load_dwordx4 v[10:13], v[48:49], off offset:32
	;; [unrolled: 1-line block ×7, first 2 shown]
	v_lshl_add_u64 v[20:21], v[20:21], 0, 1
	v_cmp_eq_u64_e32 vcc, 0, v[20:21]
	v_lshl_add_u64 v[48:49], v[48:49], 0, s[16:17]
	v_lshl_add_u64 v[50:51], v[50:51], 0, 32
	;; [unrolled: 1-line block ×3, first 2 shown]
	s_or_b64 s[14:15], vcc, s[14:15]
	s_waitcnt vmcnt(8)
	v_subrev_u32_e32 v1, s12, v1
	s_waitcnt vmcnt(7)
	v_cvt_f64_f32_e32 v[52:53], v22
	v_cvt_f64_f32_e32 v[84:85], v23
	s_waitcnt vmcnt(5)
	v_cvt_f64_f32_e32 v[98:99], v10
	v_lshlrev_b32_e32 v10, 2, v1
	v_cvt_f64_f32_e32 v[100:101], v11
	v_ashrrev_i32_e32 v11, 31, v10
	s_waitcnt lgkmcnt(0)
	v_lshl_add_u64 v[110:111], v[10:11], 4, s[4:5]
	v_cvt_f64_f32_e32 v[86:87], v24
	v_cvt_f64_f32_e32 v[88:89], v25
	;; [unrolled: 1-line block ×8, first 2 shown]
	global_load_dwordx4 v[10:13], v[110:111], off
	global_load_dwordx4 v[22:25], v[110:111], off offset:16
	global_load_dwordx4 v[26:29], v[110:111], off offset:32
	;; [unrolled: 1-line block ×3, first 2 shown]
	s_waitcnt vmcnt(8)
	v_cvt_f64_f32_e32 v[106:107], v60
	v_cvt_f64_f32_e32 v[60:61], v61
	s_waitcnt vmcnt(7)
	v_cvt_f64_f32_e32 v[108:109], v64
	v_cvt_f64_f32_e32 v[64:65], v65
	v_cvt_f64_f32_e32 v[114:115], v62
	v_cvt_f64_f32_e32 v[62:63], v63
	v_cvt_f64_f32_e32 v[120:121], v66
	v_cvt_f64_f32_e32 v[66:67], v67
	s_waitcnt vmcnt(6)
	v_cvt_f64_f32_e32 v[110:111], v68
	v_cvt_f64_f32_e32 v[68:69], v69
	s_waitcnt vmcnt(5)
	v_cvt_f64_f32_e32 v[116:117], v72
	v_cvt_f64_f32_e32 v[72:73], v73
	;; [unrolled: 3-line block ×3, first 2 shown]
	v_cvt_f64_f32_e32 v[112:113], v70
	v_cvt_f64_f32_e32 v[70:71], v71
	v_cvt_f64_f32_e32 v[118:119], v74
	v_cvt_f64_f32_e32 v[74:75], v75
	v_cvt_f64_f32_e32 v[124:125], v78
	v_cvt_f64_f32_e32 v[78:79], v79
	s_waitcnt vmcnt(3)
	v_fmac_f64_e32 v[56:57], v[52:53], v[10:11]
	v_fmac_f64_e32 v[44:45], v[84:85], v[10:11]
	v_fmac_f64_e32 v[54:55], v[98:99], v[10:11]
	v_fmac_f64_e32 v[42:43], v[100:101], v[10:11]
	v_fmac_f64_e32 v[58:59], v[106:107], v[10:11]
	v_fmac_f64_e32 v[34:35], v[60:61], v[10:11]
	v_fmac_f64_e32 v[18:19], v[108:109], v[10:11]
	v_fmac_f64_e32 v[32:33], v[64:65], v[10:11]
	v_fma_f64 v[10:11], -v[84:85], v[12:13], v[56:57]
	v_fmac_f64_e32 v[44:45], v[52:53], v[12:13]
	v_fma_f64 v[52:53], -v[100:101], v[12:13], v[54:55]
	v_fmac_f64_e32 v[42:43], v[98:99], v[12:13]
	v_fma_f64 v[54:55], -v[60:61], v[12:13], v[58:59]
	v_fmac_f64_e32 v[34:35], v[106:107], v[12:13]
	v_fma_f64 v[18:19], -v[64:65], v[12:13], v[18:19]
	v_fmac_f64_e32 v[32:33], v[108:109], v[12:13]
	s_waitcnt vmcnt(2)
	v_fmac_f64_e32 v[10:11], v[86:87], v[22:23]
	v_fmac_f64_e32 v[44:45], v[88:89], v[22:23]
	v_fmac_f64_e32 v[52:53], v[102:103], v[22:23]
	v_fmac_f64_e32 v[42:43], v[104:105], v[22:23]
	v_fmac_f64_e32 v[54:55], v[114:115], v[22:23]
	v_fmac_f64_e32 v[34:35], v[62:63], v[22:23]
	v_fmac_f64_e32 v[18:19], v[120:121], v[22:23]
	v_fmac_f64_e32 v[32:33], v[66:67], v[22:23]
	v_fma_f64 v[10:11], -v[88:89], v[24:25], v[10:11]
	v_fmac_f64_e32 v[44:45], v[86:87], v[24:25]
	v_fma_f64 v[12:13], -v[104:105], v[24:25], v[52:53]
	v_fmac_f64_e32 v[42:43], v[102:103], v[24:25]
	v_fma_f64 v[22:23], -v[62:63], v[24:25], v[54:55]
	v_fmac_f64_e32 v[34:35], v[114:115], v[24:25]
	v_fma_f64 v[18:19], -v[66:67], v[24:25], v[18:19]
	v_fmac_f64_e32 v[32:33], v[120:121], v[24:25]
	;; [unrolled: 17-line block ×4, first 2 shown]
	s_andn2_b64 exec, exec, s[14:15]
	s_cbranch_execnz .LBB173_15
; %bb.16:
	s_or_b64 exec, exec, s[14:15]
.LBB173_17:
	s_or_b64 exec, exec, s[10:11]
	s_mov_b64 s[10:11], 0x5f
	v_cmp_lt_u64_e32 vcc, s[10:11], v[14:15]
	s_and_saveexec_b64 s[10:11], vcc
	s_cbranch_execz .LBB173_21
; %bb.18:
	v_lshl_add_u64 v[10:11], v[50:51], 2, s[8:9]
	s_mov_b64 s[14:15], 0x100
	v_lshl_add_u64 v[52:53], v[10:11], 0, s[14:15]
	s_mov_b64 s[14:15], 0
	s_mov_b64 s[16:17], 0x1000
	s_mov_b64 s[18:19], 0x2000
	s_movk_i32 s13, 0x2000
	s_mov_b64 s[20:21], 0x3000
	s_movk_i32 s28, 0x3000
	s_mov_b64 s[22:23], 0x80
	s_mov_b64 s[24:25], 0x200
	;; [unrolled: 1-line block ×3, first 2 shown]
.LBB173_19:                             ; =>This Inner Loop Header: Depth=1
	global_load_dword v1, v[52:53], off offset:-256
	global_load_dwordx4 v[22:25], v[48:49], off offset:48
	global_load_dwordx4 v[26:29], v[48:49], off offset:32
	;; [unrolled: 1-line block ×3, first 2 shown]
	global_load_dwordx4 v[64:67], v[48:49], off
	v_lshl_add_u64 v[78:79], v[48:49], 0, s[16:17]
	v_lshl_add_u64 v[50:51], v[50:51], 0, s[22:23]
	s_waitcnt vmcnt(4)
	v_subrev_u32_e32 v1, s12, v1
	v_lshlrev_b32_e32 v10, 2, v1
	v_ashrrev_i32_e32 v11, 31, v10
	s_waitcnt lgkmcnt(0)
	v_lshl_add_u64 v[76:77], v[10:11], 4, s[4:5]
	global_load_dwordx4 v[10:13], v[76:77], off offset:48
	global_load_dwordx4 v[14:17], v[76:77], off offset:32
	;; [unrolled: 1-line block ×3, first 2 shown]
	global_load_dwordx4 v[72:75], v[76:77], off
	s_waitcnt vmcnt(4)
	v_cvt_f64_f32_e32 v[20:21], v64
	v_cvt_f64_f32_e32 v[64:65], v65
	s_waitcnt vmcnt(0)
	v_fmac_f64_e32 v[56:57], v[20:21], v[72:73]
	v_fmac_f64_e32 v[44:45], v[64:65], v[72:73]
	v_fma_f64 v[56:57], -v[64:65], v[74:75], v[56:57]
	v_fmac_f64_e32 v[44:45], v[20:21], v[74:75]
	v_cvt_f64_f32_e32 v[20:21], v66
	v_cvt_f64_f32_e32 v[64:65], v67
	v_fmac_f64_e32 v[56:57], v[20:21], v[68:69]
	v_fmac_f64_e32 v[44:45], v[64:65], v[68:69]
	v_fma_f64 v[56:57], -v[64:65], v[70:71], v[56:57]
	v_fmac_f64_e32 v[44:45], v[20:21], v[70:71]
	v_cvt_f64_f32_e32 v[20:21], v60
	v_cvt_f64_f32_e32 v[60:61], v61
	v_fmac_f64_e32 v[56:57], v[20:21], v[14:15]
	v_fma_f64 v[56:57], -v[60:61], v[16:17], v[56:57]
	v_fmac_f64_e32 v[44:45], v[60:61], v[14:15]
	v_cvt_f64_f32_e32 v[60:61], v62
	v_cvt_f64_f32_e32 v[62:63], v63
	v_fmac_f64_e32 v[56:57], v[60:61], v[10:11]
	v_fmac_f64_e32 v[44:45], v[20:21], v[16:17]
	v_fma_f64 v[20:21], -v[62:63], v[12:13], v[56:57]
	v_cvt_f64_f32_e32 v[56:57], v26
	v_cvt_f64_f32_e32 v[26:27], v27
	v_fmac_f64_e32 v[54:55], v[56:57], v[72:73]
	v_fmac_f64_e32 v[42:43], v[26:27], v[72:73]
	v_fma_f64 v[54:55], -v[26:27], v[74:75], v[54:55]
	v_fmac_f64_e32 v[42:43], v[56:57], v[74:75]
	v_cvt_f64_f32_e32 v[26:27], v28
	v_cvt_f64_f32_e32 v[28:29], v29
	v_fmac_f64_e32 v[54:55], v[26:27], v[68:69]
	v_fmac_f64_e32 v[42:43], v[28:29], v[68:69]
	v_fma_f64 v[54:55], -v[28:29], v[70:71], v[54:55]
	v_fmac_f64_e32 v[42:43], v[26:27], v[70:71]
	;; [unrolled: 6-line block ×3, first 2 shown]
	v_cvt_f64_f32_e32 v[26:27], v24
	v_cvt_f64_f32_e32 v[24:25], v25
	v_fmac_f64_e32 v[44:45], v[62:63], v[10:11]
	v_fmac_f64_e32 v[28:29], v[26:27], v[10:11]
	;; [unrolled: 1-line block ×4, first 2 shown]
	v_fma_f64 v[22:23], -v[24:25], v[12:13], v[28:29]
	v_fmac_f64_e32 v[42:43], v[26:27], v[12:13]
	global_load_dwordx4 v[24:27], v[48:49], off offset:112
	global_load_dwordx4 v[54:57], v[48:49], off offset:96
	;; [unrolled: 1-line block ×4, first 2 shown]
	global_load_dword v1, v[52:53], off offset:-128
	s_waitcnt vmcnt(1)
	v_cvt_f64_f32_e32 v[28:29], v64
	v_cvt_f64_f32_e32 v[64:65], v65
	v_fmac_f64_e32 v[58:59], v[28:29], v[72:73]
	v_fmac_f64_e32 v[34:35], v[64:65], v[72:73]
	v_fma_f64 v[58:59], -v[64:65], v[74:75], v[58:59]
	v_fmac_f64_e32 v[34:35], v[28:29], v[74:75]
	v_cvt_f64_f32_e32 v[28:29], v66
	v_cvt_f64_f32_e32 v[64:65], v67
	v_fmac_f64_e32 v[58:59], v[28:29], v[68:69]
	v_fmac_f64_e32 v[34:35], v[64:65], v[68:69]
	v_fma_f64 v[58:59], -v[64:65], v[70:71], v[58:59]
	v_fmac_f64_e32 v[34:35], v[28:29], v[70:71]
	;; [unrolled: 6-line block ×3, first 2 shown]
	v_cvt_f64_f32_e32 v[60:61], v63
	v_cvt_f64_f32_e32 v[28:29], v62
	v_fmac_f64_e32 v[34:35], v[60:61], v[10:11]
	v_fmac_f64_e32 v[58:59], v[28:29], v[10:11]
	;; [unrolled: 1-line block ×3, first 2 shown]
	v_cvt_f64_f32_e32 v[28:29], v54
	v_cvt_f64_f32_e32 v[54:55], v55
	v_fmac_f64_e32 v[18:19], v[28:29], v[72:73]
	v_fmac_f64_e32 v[32:33], v[54:55], v[72:73]
	v_fma_f64 v[18:19], -v[54:55], v[74:75], v[18:19]
	v_fmac_f64_e32 v[32:33], v[28:29], v[74:75]
	v_cvt_f64_f32_e32 v[28:29], v56
	v_cvt_f64_f32_e32 v[54:55], v57
	v_fmac_f64_e32 v[18:19], v[28:29], v[68:69]
	v_fmac_f64_e32 v[32:33], v[54:55], v[68:69]
	v_fma_f64 v[18:19], -v[54:55], v[70:71], v[18:19]
	v_fmac_f64_e32 v[32:33], v[28:29], v[70:71]
	v_cvt_f64_f32_e32 v[28:29], v24
	v_cvt_f64_f32_e32 v[24:25], v25
	v_fmac_f64_e32 v[18:19], v[28:29], v[14:15]
	v_fmac_f64_e32 v[32:33], v[24:25], v[14:15]
	s_waitcnt vmcnt(0)
	v_subrev_u32_e32 v1, s12, v1
	v_fma_f64 v[18:19], -v[24:25], v[16:17], v[18:19]
	v_fmac_f64_e32 v[32:33], v[28:29], v[16:17]
	v_cvt_f64_f32_e32 v[14:15], v26
	v_cvt_f64_f32_e32 v[16:17], v27
	v_lshlrev_b32_e32 v28, 2, v1
	v_fmac_f64_e32 v[18:19], v[14:15], v[10:11]
	v_fmac_f64_e32 v[32:33], v[16:17], v[10:11]
	v_add_co_u32_e32 v10, vcc, s13, v48
	v_ashrrev_i32_e32 v29, 31, v28
	s_nop 0
	v_addc_co_u32_e32 v11, vcc, 0, v49, vcc
	v_lshl_add_u64 v[28:29], v[28:29], 4, s[4:5]
	v_fma_f64 v[76:77], -v[60:61], v[12:13], v[58:59]
	v_fma_f64 v[74:75], -v[16:17], v[12:13], v[18:19]
	v_fmac_f64_e32 v[32:33], v[14:15], v[12:13]
	global_load_dwordx4 v[12:15], v[10:11], off offset:-4096
	global_load_dwordx4 v[16:19], v[78:79], off offset:48
	global_load_dwordx4 v[24:27], v[78:79], off offset:32
	;; [unrolled: 1-line block ×6, first 2 shown]
	global_load_dwordx4 v[70:73], v[28:29], off
	s_waitcnt vmcnt(7)
	v_cvt_f64_f32_e32 v[80:81], v12
	v_cvt_f64_f32_e32 v[12:13], v13
	s_waitcnt vmcnt(4)
	v_cvt_f64_f32_e32 v[28:29], v57
	s_waitcnt vmcnt(0)
	v_fmac_f64_e32 v[20:21], v[80:81], v[70:71]
	v_fmac_f64_e32 v[44:45], v[12:13], v[70:71]
	v_fma_f64 v[20:21], -v[12:13], v[72:73], v[20:21]
	v_fmac_f64_e32 v[44:45], v[80:81], v[72:73]
	v_cvt_f64_f32_e32 v[12:13], v14
	v_cvt_f64_f32_e32 v[14:15], v15
	v_fmac_f64_e32 v[20:21], v[12:13], v[66:67]
	v_fmac_f64_e32 v[44:45], v[14:15], v[66:67]
	v_fma_f64 v[20:21], -v[14:15], v[68:69], v[20:21]
	v_fmac_f64_e32 v[44:45], v[12:13], v[68:69]
	v_cvt_f64_f32_e32 v[12:13], v54
	v_cvt_f64_f32_e32 v[14:15], v55
	v_fmac_f64_e32 v[20:21], v[12:13], v[62:63]
	v_fmac_f64_e32 v[44:45], v[14:15], v[62:63]
	v_fma_f64 v[20:21], -v[14:15], v[64:65], v[20:21]
	v_fmac_f64_e32 v[44:45], v[12:13], v[64:65]
	v_cvt_f64_f32_e32 v[14:15], v56
	v_fmac_f64_e32 v[20:21], v[14:15], v[58:59]
	v_fmac_f64_e32 v[44:45], v[28:29], v[58:59]
	v_fma_f64 v[12:13], -v[28:29], v[60:61], v[20:21]
	v_fmac_f64_e32 v[44:45], v[14:15], v[60:61]
	v_cvt_f64_f32_e32 v[14:15], v24
	v_cvt_f64_f32_e32 v[20:21], v25
	v_fmac_f64_e32 v[22:23], v[14:15], v[70:71]
	v_fmac_f64_e32 v[42:43], v[20:21], v[70:71]
	v_fma_f64 v[22:23], -v[20:21], v[72:73], v[22:23]
	v_fmac_f64_e32 v[42:43], v[14:15], v[72:73]
	v_cvt_f64_f32_e32 v[14:15], v26
	;; [unrolled: 6-line block ×3, first 2 shown]
	v_cvt_f64_f32_e32 v[16:17], v17
	v_fmac_f64_e32 v[22:23], v[14:15], v[62:63]
	v_fma_f64 v[20:21], -v[16:17], v[64:65], v[22:23]
	v_fmac_f64_e32 v[42:43], v[16:17], v[62:63]
	v_cvt_f64_f32_e32 v[16:17], v18
	v_fmac_f64_e32 v[42:43], v[14:15], v[64:65]
	v_cvt_f64_f32_e32 v[18:19], v19
	v_fmac_f64_e32 v[20:21], v[16:17], v[58:59]
	v_fma_f64 v[14:15], -v[18:19], v[60:61], v[20:21]
	v_fmac_f64_e32 v[42:43], v[18:19], v[58:59]
	global_load_dwordx4 v[18:21], v[78:79], off offset:112
	global_load_dwordx4 v[22:25], v[78:79], off offset:96
	;; [unrolled: 1-line block ×4, first 2 shown]
	global_load_dword v1, v[52:53], off
	v_fmac_f64_e32 v[42:43], v[16:17], v[60:61]
	v_lshl_add_u64 v[78:79], v[48:49], 0, s[18:19]
	s_waitcnt vmcnt(1)
	v_cvt_f64_f32_e32 v[16:17], v54
	v_cvt_f64_f32_e32 v[54:55], v55
	v_fmac_f64_e32 v[76:77], v[16:17], v[70:71]
	v_fmac_f64_e32 v[34:35], v[54:55], v[70:71]
	v_fma_f64 v[76:77], -v[54:55], v[72:73], v[76:77]
	v_fmac_f64_e32 v[34:35], v[16:17], v[72:73]
	v_cvt_f64_f32_e32 v[16:17], v56
	v_cvt_f64_f32_e32 v[54:55], v57
	v_fmac_f64_e32 v[76:77], v[16:17], v[66:67]
	v_fmac_f64_e32 v[34:35], v[54:55], v[66:67]
	v_fma_f64 v[56:57], -v[54:55], v[68:69], v[76:77]
	v_fmac_f64_e32 v[34:35], v[16:17], v[68:69]
	;; [unrolled: 6-line block ×3, first 2 shown]
	v_cvt_f64_f32_e32 v[26:27], v28
	v_cvt_f64_f32_e32 v[28:29], v29
	v_fmac_f64_e32 v[34:35], v[28:29], v[58:59]
	v_fmac_f64_e32 v[54:55], v[26:27], v[58:59]
	;; [unrolled: 1-line block ×3, first 2 shown]
	v_cvt_f64_f32_e32 v[26:27], v22
	v_cvt_f64_f32_e32 v[22:23], v23
	v_fmac_f64_e32 v[74:75], v[26:27], v[70:71]
	v_fmac_f64_e32 v[32:33], v[22:23], v[70:71]
	v_fma_f64 v[16:17], -v[28:29], v[60:61], v[54:55]
	v_fma_f64 v[28:29], -v[22:23], v[72:73], v[74:75]
	v_fmac_f64_e32 v[32:33], v[26:27], v[72:73]
	v_cvt_f64_f32_e32 v[22:23], v24
	v_cvt_f64_f32_e32 v[24:25], v25
	v_fmac_f64_e32 v[28:29], v[22:23], v[66:67]
	v_fmac_f64_e32 v[32:33], v[24:25], v[66:67]
	v_fma_f64 v[26:27], -v[24:25], v[68:69], v[28:29]
	v_fmac_f64_e32 v[32:33], v[22:23], v[68:69]
	v_cvt_f64_f32_e32 v[22:23], v18
	v_cvt_f64_f32_e32 v[18:19], v19
	s_waitcnt vmcnt(0)
	v_subrev_u32_e32 v1, s12, v1
	v_fmac_f64_e32 v[26:27], v[22:23], v[62:63]
	v_fmac_f64_e32 v[32:33], v[18:19], v[62:63]
	v_lshlrev_b32_e32 v28, 2, v1
	v_fma_f64 v[24:25], -v[18:19], v[64:65], v[26:27]
	v_fmac_f64_e32 v[32:33], v[22:23], v[64:65]
	v_cvt_f64_f32_e32 v[22:23], v20
	v_cvt_f64_f32_e32 v[20:21], v21
	v_ashrrev_i32_e32 v29, 31, v28
	v_fmac_f64_e32 v[24:25], v[22:23], v[58:59]
	v_fmac_f64_e32 v[32:33], v[20:21], v[58:59]
	v_lshl_add_u64 v[28:29], v[28:29], 4, s[4:5]
	v_fma_f64 v[18:19], -v[20:21], v[60:61], v[24:25]
	v_fmac_f64_e32 v[32:33], v[22:23], v[60:61]
	global_load_dwordx4 v[20:23], v[10:11], off
	global_load_dwordx4 v[54:57], v[78:79], off offset:48
	global_load_dwordx4 v[58:61], v[78:79], off offset:32
	;; [unrolled: 1-line block ×6, first 2 shown]
	global_load_dwordx4 v[74:77], v[28:29], off
	s_waitcnt vmcnt(7)
	v_cvt_f64_f32_e32 v[10:11], v20
	v_cvt_f64_f32_e32 v[20:21], v21
	s_waitcnt vmcnt(0)
	v_fmac_f64_e32 v[12:13], v[10:11], v[74:75]
	v_fmac_f64_e32 v[44:45], v[20:21], v[74:75]
	v_fma_f64 v[12:13], -v[20:21], v[76:77], v[12:13]
	v_fmac_f64_e32 v[44:45], v[10:11], v[76:77]
	v_cvt_f64_f32_e32 v[10:11], v22
	v_cvt_f64_f32_e32 v[20:21], v23
	v_fmac_f64_e32 v[12:13], v[10:11], v[70:71]
	v_fmac_f64_e32 v[44:45], v[20:21], v[70:71]
	v_fma_f64 v[12:13], -v[20:21], v[72:73], v[12:13]
	v_fmac_f64_e32 v[44:45], v[10:11], v[72:73]
	v_cvt_f64_f32_e32 v[10:11], v24
	v_cvt_f64_f32_e32 v[20:21], v25
	v_fmac_f64_e32 v[12:13], v[10:11], v[66:67]
	v_fmac_f64_e32 v[44:45], v[20:21], v[66:67]
	v_fma_f64 v[12:13], -v[20:21], v[68:69], v[12:13]
	v_fmac_f64_e32 v[44:45], v[10:11], v[68:69]
	v_cvt_f64_f32_e32 v[10:11], v26
	v_cvt_f64_f32_e32 v[20:21], v27
	v_fmac_f64_e32 v[12:13], v[10:11], v[62:63]
	v_fmac_f64_e32 v[44:45], v[20:21], v[62:63]
	v_fma_f64 v[26:27], -v[20:21], v[64:65], v[12:13]
	v_fmac_f64_e32 v[44:45], v[10:11], v[64:65]
	v_cvt_f64_f32_e32 v[10:11], v58
	v_cvt_f64_f32_e32 v[12:13], v59
	v_fmac_f64_e32 v[14:15], v[10:11], v[74:75]
	v_fmac_f64_e32 v[42:43], v[12:13], v[74:75]
	v_fma_f64 v[14:15], -v[12:13], v[76:77], v[14:15]
	v_fmac_f64_e32 v[42:43], v[10:11], v[76:77]
	v_cvt_f64_f32_e32 v[10:11], v60
	v_cvt_f64_f32_e32 v[12:13], v61
	v_fmac_f64_e32 v[14:15], v[10:11], v[70:71]
	v_fmac_f64_e32 v[42:43], v[12:13], v[70:71]
	v_fma_f64 v[14:15], -v[12:13], v[72:73], v[14:15]
	v_fmac_f64_e32 v[42:43], v[10:11], v[72:73]
	v_cvt_f64_f32_e32 v[10:11], v54
	v_cvt_f64_f32_e32 v[12:13], v55
	v_fmac_f64_e32 v[14:15], v[10:11], v[66:67]
	v_fmac_f64_e32 v[42:43], v[12:13], v[66:67]
	v_fma_f64 v[14:15], -v[12:13], v[68:69], v[14:15]
	v_fmac_f64_e32 v[42:43], v[10:11], v[68:69]
	v_cvt_f64_f32_e32 v[10:11], v56
	v_cvt_f64_f32_e32 v[12:13], v57
	v_fmac_f64_e32 v[14:15], v[10:11], v[62:63]
	v_fmac_f64_e32 v[42:43], v[12:13], v[62:63]
	v_fma_f64 v[28:29], -v[12:13], v[64:65], v[14:15]
	v_fmac_f64_e32 v[42:43], v[10:11], v[64:65]
	global_load_dwordx4 v[10:13], v[78:79], off offset:112
	global_load_dwordx4 v[20:23], v[78:79], off offset:96
	;; [unrolled: 1-line block ×4, first 2 shown]
	global_load_dword v1, v[52:53], off offset:128
	v_lshl_add_u64 v[52:53], v[52:53], 0, s[24:25]
	s_waitcnt vmcnt(1)
	v_cvt_f64_f32_e32 v[14:15], v58
	v_cvt_f64_f32_e32 v[24:25], v59
	v_fmac_f64_e32 v[16:17], v[14:15], v[74:75]
	v_fmac_f64_e32 v[34:35], v[24:25], v[74:75]
	v_fma_f64 v[16:17], -v[24:25], v[76:77], v[16:17]
	v_fmac_f64_e32 v[34:35], v[14:15], v[76:77]
	v_cvt_f64_f32_e32 v[14:15], v60
	v_cvt_f64_f32_e32 v[24:25], v61
	v_fmac_f64_e32 v[16:17], v[14:15], v[70:71]
	v_fmac_f64_e32 v[34:35], v[24:25], v[70:71]
	v_fma_f64 v[16:17], -v[24:25], v[72:73], v[16:17]
	v_fmac_f64_e32 v[34:35], v[14:15], v[72:73]
	;; [unrolled: 6-line block ×7, first 2 shown]
	v_cvt_f64_f32_e32 v[10:11], v12
	v_cvt_f64_f32_e32 v[12:13], v13
	v_fmac_f64_e32 v[32:33], v[12:13], v[62:63]
	s_waitcnt vmcnt(0)
	v_subrev_u32_e32 v1, s12, v1
	v_fmac_f64_e32 v[16:17], v[10:11], v[62:63]
	v_fmac_f64_e32 v[32:33], v[10:11], v[64:65]
	v_lshlrev_b32_e32 v10, 2, v1
	v_fma_f64 v[60:61], -v[12:13], v[64:65], v[16:17]
	v_add_co_u32_e32 v12, vcc, s28, v48
	v_ashrrev_i32_e32 v11, 31, v10
	s_nop 0
	v_addc_co_u32_e32 v13, vcc, 0, v49, vcc
	v_lshl_add_u64 v[78:79], v[10:11], 4, s[4:5]
	v_lshl_add_u64 v[62:63], v[48:49], 0, s[20:21]
	global_load_dwordx4 v[54:57], v[12:13], off
	global_load_dwordx4 v[64:67], v[62:63], off offset:48
	global_load_dwordx4 v[68:71], v[62:63], off offset:32
	;; [unrolled: 1-line block ×3, first 2 shown]
	s_nop 0
	global_load_dwordx4 v[10:13], v[78:79], off offset:48
	global_load_dwordx4 v[14:17], v[78:79], off offset:32
	;; [unrolled: 1-line block ×3, first 2 shown]
	global_load_dwordx4 v[22:25], v[78:79], off
	v_cmp_ge_i64_e32 vcc, v[50:51], v[38:39]
	v_lshl_add_u64 v[48:49], v[48:49], 0, s[26:27]
	s_or_b64 s[14:15], vcc, s[14:15]
	s_waitcnt vmcnt(7)
	v_cvt_f64_f32_e32 v[76:77], v54
	v_cvt_f64_f32_e32 v[54:55], v55
	s_waitcnt vmcnt(0)
	v_fmac_f64_e32 v[26:27], v[76:77], v[22:23]
	v_fmac_f64_e32 v[44:45], v[54:55], v[22:23]
	v_fma_f64 v[26:27], -v[54:55], v[24:25], v[26:27]
	v_fmac_f64_e32 v[44:45], v[76:77], v[24:25]
	v_cvt_f64_f32_e32 v[54:55], v56
	v_cvt_f64_f32_e32 v[56:57], v57
	v_fmac_f64_e32 v[26:27], v[54:55], v[18:19]
	v_fmac_f64_e32 v[44:45], v[56:57], v[18:19]
	v_fma_f64 v[26:27], -v[56:57], v[20:21], v[26:27]
	v_fmac_f64_e32 v[44:45], v[54:55], v[20:21]
	v_cvt_f64_f32_e32 v[54:55], v72
	v_cvt_f64_f32_e32 v[56:57], v73
	;; [unrolled: 6-line block ×7, first 2 shown]
	v_fmac_f64_e32 v[28:29], v[26:27], v[10:11]
	v_fmac_f64_e32 v[42:43], v[64:65], v[10:11]
	v_fma_f64 v[54:55], -v[64:65], v[12:13], v[28:29]
	v_fmac_f64_e32 v[42:43], v[26:27], v[12:13]
	global_load_dwordx4 v[26:29], v[62:63], off offset:112
	global_load_dwordx4 v[64:67], v[62:63], off offset:96
	;; [unrolled: 1-line block ×4, first 2 shown]
	s_waitcnt vmcnt(0)
	v_cvt_f64_f32_e32 v[62:63], v72
	v_cvt_f64_f32_e32 v[72:73], v73
	v_fmac_f64_e32 v[58:59], v[62:63], v[22:23]
	v_fmac_f64_e32 v[34:35], v[72:73], v[22:23]
	v_fma_f64 v[58:59], -v[72:73], v[24:25], v[58:59]
	v_fmac_f64_e32 v[34:35], v[62:63], v[24:25]
	v_cvt_f64_f32_e32 v[62:63], v74
	v_cvt_f64_f32_e32 v[72:73], v75
	v_fmac_f64_e32 v[58:59], v[62:63], v[18:19]
	v_fmac_f64_e32 v[34:35], v[72:73], v[18:19]
	v_fma_f64 v[58:59], -v[72:73], v[20:21], v[58:59]
	v_fmac_f64_e32 v[34:35], v[62:63], v[20:21]
	;; [unrolled: 6-line block ×3, first 2 shown]
	v_cvt_f64_f32_e32 v[68:69], v71
	v_cvt_f64_f32_e32 v[62:63], v70
	v_fmac_f64_e32 v[34:35], v[68:69], v[10:11]
	v_fmac_f64_e32 v[58:59], v[62:63], v[10:11]
	;; [unrolled: 1-line block ×3, first 2 shown]
	v_cvt_f64_f32_e32 v[62:63], v64
	v_cvt_f64_f32_e32 v[64:65], v65
	v_fmac_f64_e32 v[60:61], v[62:63], v[22:23]
	v_fmac_f64_e32 v[32:33], v[64:65], v[22:23]
	v_fma_f64 v[60:61], -v[64:65], v[24:25], v[60:61]
	v_fmac_f64_e32 v[32:33], v[62:63], v[24:25]
	v_cvt_f64_f32_e32 v[22:23], v66
	v_cvt_f64_f32_e32 v[24:25], v67
	v_fmac_f64_e32 v[60:61], v[22:23], v[18:19]
	v_fmac_f64_e32 v[32:33], v[24:25], v[18:19]
	v_fma_f64 v[60:61], -v[24:25], v[20:21], v[60:61]
	v_fmac_f64_e32 v[32:33], v[22:23], v[20:21]
	;; [unrolled: 6-line block ×3, first 2 shown]
	v_cvt_f64_f32_e32 v[14:15], v28
	v_cvt_f64_f32_e32 v[16:17], v29
	v_fmac_f64_e32 v[22:23], v[14:15], v[10:11]
	v_fmac_f64_e32 v[32:33], v[16:17], v[10:11]
	v_fma_f64 v[58:59], -v[68:69], v[12:13], v[58:59]
	v_fma_f64 v[18:19], -v[16:17], v[12:13], v[22:23]
	v_fmac_f64_e32 v[32:33], v[14:15], v[12:13]
	s_andn2_b64 exec, exec, s[14:15]
	s_cbranch_execnz .LBB173_19
; %bb.20:
	s_or_b64 exec, exec, s[14:15]
.LBB173_21:
	s_or_b64 exec, exec, s[10:11]
.LBB173_22:
	s_or_b64 exec, exec, s[6:7]
	s_cbranch_execz .LBB173_24
	s_branch .LBB173_35
.LBB173_23:
                                        ; implicit-def: $vgpr44_vgpr45
                                        ; implicit-def: $vgpr56_vgpr57
                                        ; implicit-def: $vgpr42_vgpr43
                                        ; implicit-def: $vgpr54_vgpr55
                                        ; implicit-def: $vgpr34_vgpr35
                                        ; implicit-def: $vgpr58_vgpr59
                                        ; implicit-def: $vgpr32_vgpr33
                                        ; implicit-def: $vgpr18_vgpr19
.LBB173_24:
	v_mov_b64_e32 v[44:45], 0
	v_mov_b64_e32 v[56:57], 0
	;; [unrolled: 1-line block ×8, first 2 shown]
	s_and_saveexec_b64 s[6:7], s[2:3]
	s_cbranch_execz .LBB173_34
; %bb.25:
	v_or_b32_e32 v1, 32, v0
	v_subrev_co_u32_e32 v10, vcc, s12, v1
	v_not_b32_e32 v13, v47
	s_nop 0
	v_subb_co_u32_e64 v11, s[2:3], 0, 0, vcc
	v_lshl_add_u64 v[10:11], v[10:11], 0, v[46:47]
	v_cmp_gt_i64_e32 vcc, v[10:11], v[38:39]
	v_not_b32_e32 v12, v46
	v_mov_b64_e32 v[18:19], 0
	v_cndmask_b32_e32 v11, v39, v11, vcc
	v_cndmask_b32_e32 v10, v38, v10, vcc
	v_sub_co_u32_e32 v14, vcc, s12, v0
	v_mov_b64_e32 v[32:33], 0
	s_nop 0
	v_subb_co_u32_e64 v15, s[2:3], 0, 0, vcc
	v_lshl_add_u64 v[12:13], v[14:15], 0, v[12:13]
	v_lshl_add_u64 v[10:11], v[12:13], 0, v[10:11]
	v_and_b32_e32 v12, 0x60, v10
	v_mov_b32_e32 v13, 0
	s_mov_b64 s[2:3], 0x60
	v_cmp_ne_u64_e32 vcc, s[2:3], v[12:13]
	v_mov_b64_e32 v[58:59], 0
	v_mov_b64_e32 v[34:35], 0
	;; [unrolled: 1-line block ×6, first 2 shown]
	s_and_saveexec_b64 s[2:3], vcc
	s_cbranch_execz .LBB173_29
; %bb.26:
	v_lshrrev_b32_e32 v1, 5, v10
	v_add_u32_e32 v1, 1, v1
	v_and_b32_e32 v1, 3, v1
	v_sub_co_u32_e32 v14, vcc, 0, v1
	v_lshl_add_u64 v[12:13], v[36:37], 2, s[8:9]
	s_nop 0
	v_subb_co_u32_e64 v15, s[14:15], 0, 0, vcc
	s_mov_b64 s[10:11], 0
	v_mov_b64_e32 v[44:45], 0
	s_mov_b64 s[14:15], 0x1000
	s_mov_b64 s[16:17], 0x80
	v_mov_b64_e32 v[56:57], 0
	v_mov_b64_e32 v[42:43], 0
	v_mov_b64_e32 v[54:55], 0
	v_mov_b64_e32 v[34:35], 0
	v_mov_b64_e32 v[58:59], 0
	v_mov_b64_e32 v[32:33], 0
	v_mov_b64_e32 v[18:19], 0
.LBB173_27:                             ; =>This Inner Loop Header: Depth=1
	global_load_dword v1, v[12:13], off
	global_load_dwordx4 v[20:23], v[40:41], off
	global_load_dwordx4 v[24:27], v[40:41], off offset:16
	global_load_dwordx4 v[46:49], v[40:41], off offset:32
	;; [unrolled: 1-line block ×7, first 2 shown]
	v_lshl_add_u64 v[14:15], v[14:15], 0, 1
	v_cmp_eq_u64_e32 vcc, 0, v[14:15]
	v_lshl_add_u64 v[40:41], v[40:41], 0, s[14:15]
	v_lshl_add_u64 v[36:37], v[36:37], 0, 32
	;; [unrolled: 1-line block ×3, first 2 shown]
	s_or_b64 s[10:11], vcc, s[10:11]
	s_waitcnt vmcnt(8)
	v_subrev_u32_e32 v1, s12, v1
	s_waitcnt vmcnt(7)
	v_cvt_f64_f32_e32 v[16:17], v20
	v_lshlrev_b32_e32 v20, 2, v1
	v_cvt_f64_f32_e32 v[28:29], v21
	v_ashrrev_i32_e32 v21, 31, v20
	s_waitcnt lgkmcnt(0)
	v_lshl_add_u64 v[104:105], v[20:21], 4, s[4:5]
	v_cvt_f64_f32_e32 v[80:81], v22
	v_cvt_f64_f32_e32 v[82:83], v23
	s_waitcnt vmcnt(6)
	v_cvt_f64_f32_e32 v[84:85], v24
	v_cvt_f64_f32_e32 v[86:87], v25
	;; [unrolled: 1-line block ×4, first 2 shown]
	s_waitcnt vmcnt(5)
	v_cvt_f64_f32_e32 v[92:93], v46
	v_cvt_f64_f32_e32 v[94:95], v47
	;; [unrolled: 1-line block ×4, first 2 shown]
	global_load_dwordx4 v[20:23], v[104:105], off
	global_load_dwordx4 v[24:27], v[104:105], off offset:16
	global_load_dwordx4 v[46:49], v[104:105], off offset:32
	;; [unrolled: 1-line block ×3, first 2 shown]
	s_waitcnt vmcnt(8)
	v_cvt_f64_f32_e32 v[100:101], v50
	v_cvt_f64_f32_e32 v[50:51], v51
	v_cvt_f64_f32_e32 v[102:103], v52
	v_cvt_f64_f32_e32 v[52:53], v53
	s_waitcnt vmcnt(7)
	v_cvt_f64_f32_e32 v[104:105], v60
	v_cvt_f64_f32_e32 v[60:61], v61
	v_cvt_f64_f32_e32 v[106:107], v62
	v_cvt_f64_f32_e32 v[62:63], v63
	;; [unrolled: 5-line block ×5, first 2 shown]
	s_waitcnt vmcnt(3)
	v_fmac_f64_e32 v[56:57], v[16:17], v[20:21]
	v_fmac_f64_e32 v[44:45], v[28:29], v[20:21]
	v_fmac_f64_e32 v[54:55], v[80:81], v[20:21]
	v_fmac_f64_e32 v[42:43], v[82:83], v[20:21]
	v_fmac_f64_e32 v[58:59], v[84:85], v[20:21]
	v_fmac_f64_e32 v[34:35], v[86:87], v[20:21]
	v_fmac_f64_e32 v[18:19], v[88:89], v[20:21]
	v_fmac_f64_e32 v[32:33], v[90:91], v[20:21]
	v_fma_f64 v[20:21], -v[28:29], v[22:23], v[56:57]
	v_fmac_f64_e32 v[44:45], v[16:17], v[22:23]
	v_fma_f64 v[16:17], -v[82:83], v[22:23], v[54:55]
	v_fmac_f64_e32 v[42:43], v[80:81], v[22:23]
	v_fma_f64 v[28:29], -v[86:87], v[22:23], v[58:59]
	v_fmac_f64_e32 v[34:35], v[84:85], v[22:23]
	v_fma_f64 v[18:19], -v[90:91], v[22:23], v[18:19]
	v_fmac_f64_e32 v[32:33], v[88:89], v[22:23]
	s_waitcnt vmcnt(2)
	v_fmac_f64_e32 v[20:21], v[92:93], v[24:25]
	v_fmac_f64_e32 v[44:45], v[94:95], v[24:25]
	v_fmac_f64_e32 v[16:17], v[96:97], v[24:25]
	v_fmac_f64_e32 v[42:43], v[98:99], v[24:25]
	v_fmac_f64_e32 v[28:29], v[100:101], v[24:25]
	v_fmac_f64_e32 v[34:35], v[50:51], v[24:25]
	v_fmac_f64_e32 v[18:19], v[102:103], v[24:25]
	v_fmac_f64_e32 v[32:33], v[52:53], v[24:25]
	v_fma_f64 v[20:21], -v[94:95], v[26:27], v[20:21]
	v_fmac_f64_e32 v[44:45], v[92:93], v[26:27]
	v_fma_f64 v[16:17], -v[98:99], v[26:27], v[16:17]
	v_fmac_f64_e32 v[42:43], v[96:97], v[26:27]
	v_fma_f64 v[22:23], -v[50:51], v[26:27], v[28:29]
	v_fmac_f64_e32 v[34:35], v[100:101], v[26:27]
	v_fma_f64 v[18:19], -v[52:53], v[26:27], v[18:19]
	v_fmac_f64_e32 v[32:33], v[102:103], v[26:27]
	;; [unrolled: 17-line block ×4, first 2 shown]
	s_andn2_b64 exec, exec, s[10:11]
	s_cbranch_execnz .LBB173_27
; %bb.28:
	s_or_b64 exec, exec, s[10:11]
.LBB173_29:
	s_or_b64 exec, exec, s[2:3]
	s_mov_b64 s[2:3], 0x5f
	v_cmp_lt_u64_e32 vcc, s[2:3], v[10:11]
	s_and_saveexec_b64 s[2:3], vcc
	s_cbranch_execz .LBB173_33
; %bb.30:
	v_lshl_add_u64 v[10:11], v[36:37], 2, s[8:9]
	s_mov_b64 s[8:9], 0x100
	v_lshl_add_u64 v[22:23], v[10:11], 0, s[8:9]
	s_mov_b64 s[8:9], 0
	s_mov_b64 s[10:11], 0x1000
	;; [unrolled: 1-line block ×3, first 2 shown]
	s_movk_i32 s13, 0x2000
	s_mov_b64 s[16:17], 0x3000
	s_movk_i32 s24, 0x3000
	s_mov_b64 s[18:19], 0x80
	s_mov_b64 s[20:21], 0x200
	;; [unrolled: 1-line block ×3, first 2 shown]
.LBB173_31:                             ; =>This Inner Loop Header: Depth=1
	global_load_dword v1, v[22:23], off offset:-256
	global_load_dwordx4 v[14:17], v[40:41], off offset:48
	global_load_dwordx4 v[24:27], v[40:41], off offset:32
	;; [unrolled: 1-line block ×3, first 2 shown]
	global_load_dwordx4 v[50:53], v[40:41], off
	v_lshl_add_u64 v[36:37], v[36:37], 0, s[18:19]
	s_waitcnt vmcnt(4)
	v_subrev_u32_e32 v1, s12, v1
	v_lshlrev_b32_e32 v10, 2, v1
	v_ashrrev_i32_e32 v11, 31, v10
	s_waitcnt vmcnt(0)
	v_cvt_f64_f32_e32 v[20:21], v50
	v_cvt_f64_f32_e32 v[28:29], v51
	s_waitcnt lgkmcnt(0)
	v_lshl_add_u64 v[50:51], v[10:11], 4, s[4:5]
	global_load_dwordx4 v[10:13], v[50:51], off offset:48
	global_load_dwordx4 v[60:63], v[50:51], off offset:32
	;; [unrolled: 1-line block ×3, first 2 shown]
	global_load_dwordx4 v[68:71], v[50:51], off
	s_waitcnt vmcnt(0)
	v_fmac_f64_e32 v[56:57], v[20:21], v[68:69]
	v_fma_f64 v[50:51], -v[28:29], v[70:71], v[56:57]
	v_fmac_f64_e32 v[44:45], v[28:29], v[68:69]
	v_cvt_f64_f32_e32 v[28:29], v53
	v_fmac_f64_e32 v[44:45], v[20:21], v[70:71]
	v_cvt_f64_f32_e32 v[20:21], v52
	v_fmac_f64_e32 v[42:43], v[28:29], v[68:69]
	v_fmac_f64_e32 v[54:55], v[20:21], v[68:69]
	v_fmac_f64_e32 v[42:43], v[20:21], v[70:71]
	v_cvt_f64_f32_e32 v[20:21], v46
	v_fma_f64 v[52:53], -v[28:29], v[70:71], v[54:55]
	v_cvt_f64_f32_e32 v[28:29], v47
	v_fmac_f64_e32 v[58:59], v[20:21], v[68:69]
	v_fma_f64 v[46:47], -v[28:29], v[70:71], v[58:59]
	v_fmac_f64_e32 v[34:35], v[28:29], v[68:69]
	v_cvt_f64_f32_e32 v[28:29], v49
	v_fmac_f64_e32 v[34:35], v[20:21], v[70:71]
	v_cvt_f64_f32_e32 v[20:21], v48
	v_fmac_f64_e32 v[32:33], v[28:29], v[68:69]
	v_fmac_f64_e32 v[18:19], v[20:21], v[68:69]
	;; [unrolled: 1-line block ×3, first 2 shown]
	v_cvt_f64_f32_e32 v[20:21], v24
	v_cvt_f64_f32_e32 v[24:25], v25
	v_fmac_f64_e32 v[50:51], v[20:21], v[64:65]
	v_fma_f64 v[18:19], -v[28:29], v[70:71], v[18:19]
	v_fma_f64 v[28:29], -v[24:25], v[66:67], v[50:51]
	v_fmac_f64_e32 v[44:45], v[24:25], v[64:65]
	v_cvt_f64_f32_e32 v[24:25], v27
	v_fmac_f64_e32 v[44:45], v[20:21], v[66:67]
	v_cvt_f64_f32_e32 v[20:21], v26
	v_fmac_f64_e32 v[42:43], v[24:25], v[64:65]
	v_fmac_f64_e32 v[52:53], v[20:21], v[64:65]
	;; [unrolled: 1-line block ×3, first 2 shown]
	v_cvt_f64_f32_e32 v[20:21], v14
	v_cvt_f64_f32_e32 v[14:15], v15
	v_fmac_f64_e32 v[46:47], v[20:21], v[64:65]
	v_fma_f64 v[50:51], -v[24:25], v[66:67], v[52:53]
	v_fma_f64 v[52:53], -v[14:15], v[66:67], v[46:47]
	v_fmac_f64_e32 v[34:35], v[14:15], v[64:65]
	v_cvt_f64_f32_e32 v[14:15], v16
	v_cvt_f64_f32_e32 v[16:17], v17
	v_fmac_f64_e32 v[18:19], v[14:15], v[64:65]
	v_fmac_f64_e32 v[32:33], v[16:17], v[64:65]
	;; [unrolled: 1-line block ×3, first 2 shown]
	v_fma_f64 v[54:55], -v[16:17], v[66:67], v[18:19]
	v_fmac_f64_e32 v[32:33], v[14:15], v[66:67]
	global_load_dwordx4 v[14:17], v[40:41], off offset:112
	global_load_dwordx4 v[18:21], v[40:41], off offset:96
	;; [unrolled: 1-line block ×4, first 2 shown]
	global_load_dword v1, v[22:23], off offset:-128
	v_lshl_add_u64 v[70:71], v[40:41], 0, s[10:11]
	s_waitcnt vmcnt(1)
	v_cvt_f64_f32_e32 v[56:57], v46
	v_cvt_f64_f32_e32 v[46:47], v47
	v_fmac_f64_e32 v[28:29], v[56:57], v[60:61]
	v_fma_f64 v[28:29], -v[46:47], v[62:63], v[28:29]
	v_fmac_f64_e32 v[44:45], v[46:47], v[60:61]
	v_cvt_f64_f32_e32 v[46:47], v48
	v_cvt_f64_f32_e32 v[48:49], v49
	v_fmac_f64_e32 v[42:43], v[48:49], v[60:61]
	v_fmac_f64_e32 v[50:51], v[46:47], v[60:61]
	;; [unrolled: 1-line block ×3, first 2 shown]
	v_cvt_f64_f32_e32 v[46:47], v24
	v_cvt_f64_f32_e32 v[24:25], v25
	v_fmac_f64_e32 v[52:53], v[46:47], v[60:61]
	v_fma_f64 v[50:51], -v[48:49], v[62:63], v[50:51]
	v_fma_f64 v[48:49], -v[24:25], v[62:63], v[52:53]
	v_fmac_f64_e32 v[34:35], v[24:25], v[60:61]
	v_cvt_f64_f32_e32 v[24:25], v26
	v_cvt_f64_f32_e32 v[26:27], v27
	v_fmac_f64_e32 v[32:33], v[26:27], v[60:61]
	v_fmac_f64_e32 v[54:55], v[24:25], v[60:61]
	;; [unrolled: 1-line block ×3, first 2 shown]
	v_cvt_f64_f32_e32 v[24:25], v18
	v_fmac_f64_e32 v[44:45], v[56:57], v[62:63]
	v_cvt_f64_f32_e32 v[18:19], v19
	v_fmac_f64_e32 v[28:29], v[24:25], v[10:11]
	v_fma_f64 v[28:29], -v[18:19], v[12:13], v[28:29]
	v_fmac_f64_e32 v[44:45], v[18:19], v[10:11]
	v_cvt_f64_f32_e32 v[18:19], v20
	v_cvt_f64_f32_e32 v[20:21], v21
	v_fmac_f64_e32 v[42:43], v[20:21], v[10:11]
	v_fmac_f64_e32 v[50:51], v[18:19], v[10:11]
	;; [unrolled: 1-line block ×3, first 2 shown]
	v_cvt_f64_f32_e32 v[18:19], v14
	v_fmac_f64_e32 v[34:35], v[46:47], v[62:63]
	v_cvt_f64_f32_e32 v[14:15], v15
	v_fmac_f64_e32 v[48:49], v[18:19], v[10:11]
	s_waitcnt vmcnt(0)
	v_subrev_u32_e32 v1, s12, v1
	v_fma_f64 v[46:47], -v[26:27], v[62:63], v[54:55]
	v_fma_f64 v[66:67], -v[20:21], v[12:13], v[50:51]
	v_fma_f64 v[20:21], -v[14:15], v[12:13], v[48:49]
	v_fmac_f64_e32 v[34:35], v[14:15], v[10:11]
	v_cvt_f64_f32_e32 v[14:15], v16
	v_cvt_f64_f32_e32 v[16:17], v17
	v_lshlrev_b32_e32 v50, 2, v1
	v_fmac_f64_e32 v[46:47], v[14:15], v[10:11]
	v_fmac_f64_e32 v[32:33], v[16:17], v[10:11]
	v_add_co_u32_e32 v10, vcc, s13, v40
	v_ashrrev_i32_e32 v51, 31, v50
	s_nop 0
	v_addc_co_u32_e32 v11, vcc, 0, v41, vcc
	v_lshl_add_u64 v[74:75], v[50:51], 4, s[4:5]
	v_fmac_f64_e32 v[44:45], v[24:25], v[12:13]
	v_fmac_f64_e32 v[34:35], v[18:19], v[12:13]
	v_fma_f64 v[68:69], -v[16:17], v[12:13], v[46:47]
	v_fmac_f64_e32 v[32:33], v[14:15], v[12:13]
	global_load_dwordx4 v[12:15], v[10:11], off offset:-4096
	global_load_dwordx4 v[16:19], v[70:71], off offset:48
	global_load_dwordx4 v[24:27], v[70:71], off offset:32
	;; [unrolled: 1-line block ×6, first 2 shown]
	global_load_dwordx4 v[62:65], v[74:75], off
	s_waitcnt vmcnt(7)
	v_cvt_f64_f32_e32 v[72:73], v12
	v_cvt_f64_f32_e32 v[12:13], v13
	s_waitcnt vmcnt(0)
	v_fmac_f64_e32 v[28:29], v[72:73], v[62:63]
	v_fma_f64 v[28:29], -v[12:13], v[64:65], v[28:29]
	v_fmac_f64_e32 v[44:45], v[12:13], v[62:63]
	v_cvt_f64_f32_e32 v[12:13], v14
	v_cvt_f64_f32_e32 v[14:15], v15
	v_fmac_f64_e32 v[66:67], v[12:13], v[62:63]
	v_fmac_f64_e32 v[42:43], v[14:15], v[62:63]
	v_fma_f64 v[66:67], -v[14:15], v[64:65], v[66:67]
	v_fmac_f64_e32 v[42:43], v[12:13], v[64:65]
	v_cvt_f64_f32_e32 v[12:13], v46
	v_cvt_f64_f32_e32 v[14:15], v47
	v_fmac_f64_e32 v[20:21], v[12:13], v[62:63]
	;; [unrolled: 6-line block ×3, first 2 shown]
	v_fmac_f64_e32 v[32:33], v[14:15], v[62:63]
	v_fmac_f64_e32 v[44:45], v[72:73], v[64:65]
	v_fma_f64 v[46:47], -v[14:15], v[64:65], v[68:69]
	v_fmac_f64_e32 v[32:33], v[12:13], v[64:65]
	v_cvt_f64_f32_e32 v[12:13], v24
	v_cvt_f64_f32_e32 v[14:15], v25
	v_fmac_f64_e32 v[28:29], v[12:13], v[58:59]
	v_fmac_f64_e32 v[44:45], v[14:15], v[58:59]
	v_fma_f64 v[28:29], -v[14:15], v[60:61], v[28:29]
	v_fmac_f64_e32 v[44:45], v[12:13], v[60:61]
	v_cvt_f64_f32_e32 v[12:13], v26
	v_cvt_f64_f32_e32 v[14:15], v27
	;; [unrolled: 6-line block ×4, first 2 shown]
	v_fmac_f64_e32 v[46:47], v[12:13], v[58:59]
	v_fmac_f64_e32 v[32:33], v[14:15], v[58:59]
	v_fma_f64 v[64:65], -v[14:15], v[60:61], v[46:47]
	v_fmac_f64_e32 v[32:33], v[12:13], v[60:61]
	global_load_dwordx4 v[16:19], v[70:71], off offset:112
	global_load_dwordx4 v[12:15], v[70:71], off offset:96
	;; [unrolled: 1-line block ×4, first 2 shown]
	global_load_dword v1, v[22:23], off
	s_waitcnt vmcnt(1)
	v_cvt_f64_f32_e32 v[58:59], v46
	v_cvt_f64_f32_e32 v[46:47], v47
	v_fmac_f64_e32 v[28:29], v[58:59], v[54:55]
	v_fma_f64 v[28:29], -v[46:47], v[56:57], v[28:29]
	v_fmac_f64_e32 v[44:45], v[46:47], v[54:55]
	v_cvt_f64_f32_e32 v[46:47], v48
	v_cvt_f64_f32_e32 v[48:49], v49
	v_fmac_f64_e32 v[42:43], v[48:49], v[54:55]
	v_fmac_f64_e32 v[62:63], v[46:47], v[54:55]
	;; [unrolled: 1-line block ×3, first 2 shown]
	v_cvt_f64_f32_e32 v[46:47], v24
	v_cvt_f64_f32_e32 v[24:25], v25
	v_fmac_f64_e32 v[20:21], v[46:47], v[54:55]
	v_fma_f64 v[20:21], -v[24:25], v[56:57], v[20:21]
	v_fmac_f64_e32 v[34:35], v[24:25], v[54:55]
	v_cvt_f64_f32_e32 v[24:25], v26
	v_cvt_f64_f32_e32 v[26:27], v27
	v_fmac_f64_e32 v[64:65], v[24:25], v[54:55]
	v_fmac_f64_e32 v[44:45], v[58:59], v[56:57]
	;; [unrolled: 1-line block ×3, first 2 shown]
	v_fma_f64 v[46:47], -v[26:27], v[56:57], v[64:65]
	v_fmac_f64_e32 v[32:33], v[26:27], v[54:55]
	v_cvt_f64_f32_e32 v[26:27], v13
	v_fmac_f64_e32 v[32:33], v[24:25], v[56:57]
	v_cvt_f64_f32_e32 v[24:25], v12
	v_fmac_f64_e32 v[44:45], v[26:27], v[50:51]
	v_fma_f64 v[58:59], -v[48:49], v[56:57], v[62:63]
	v_fmac_f64_e32 v[28:29], v[24:25], v[50:51]
	v_fmac_f64_e32 v[44:45], v[24:25], v[52:53]
	v_cvt_f64_f32_e32 v[24:25], v14
	v_fma_f64 v[12:13], -v[26:27], v[52:53], v[28:29]
	v_cvt_f64_f32_e32 v[26:27], v15
	v_fmac_f64_e32 v[58:59], v[24:25], v[50:51]
	v_fma_f64 v[14:15], -v[26:27], v[52:53], v[58:59]
	v_fmac_f64_e32 v[42:43], v[26:27], v[50:51]
	v_cvt_f64_f32_e32 v[26:27], v17
	v_fmac_f64_e32 v[42:43], v[24:25], v[52:53]
	v_cvt_f64_f32_e32 v[24:25], v16
	v_fmac_f64_e32 v[34:35], v[26:27], v[50:51]
	v_fmac_f64_e32 v[20:21], v[24:25], v[50:51]
	;; [unrolled: 1-line block ×3, first 2 shown]
	v_cvt_f64_f32_e32 v[24:25], v19
	v_fma_f64 v[16:17], -v[26:27], v[52:53], v[20:21]
	v_cvt_f64_f32_e32 v[20:21], v18
	v_fmac_f64_e32 v[32:33], v[24:25], v[50:51]
	s_waitcnt vmcnt(0)
	v_subrev_u32_e32 v1, s12, v1
	v_fmac_f64_e32 v[46:47], v[20:21], v[50:51]
	v_fmac_f64_e32 v[32:33], v[20:21], v[52:53]
	v_lshlrev_b32_e32 v20, 2, v1
	v_ashrrev_i32_e32 v21, 31, v20
	v_lshl_add_u64 v[20:21], v[20:21], 4, s[4:5]
	v_fma_f64 v[18:19], -v[24:25], v[52:53], v[46:47]
	v_lshl_add_u64 v[28:29], v[40:41], 0, s[14:15]
	global_load_dwordx4 v[24:27], v[10:11], off
	global_load_dwordx4 v[46:49], v[28:29], off offset:48
	global_load_dwordx4 v[50:53], v[28:29], off offset:32
	;; [unrolled: 1-line block ×6, first 2 shown]
	global_load_dwordx4 v[70:73], v[20:21], off
	s_waitcnt vmcnt(7)
	v_cvt_f64_f32_e32 v[10:11], v24
	v_cvt_f64_f32_e32 v[24:25], v25
	;; [unrolled: 1-line block ×3, first 2 shown]
	s_waitcnt vmcnt(0)
	v_fmac_f64_e32 v[44:45], v[24:25], v[70:71]
	v_fmac_f64_e32 v[12:13], v[10:11], v[70:71]
	;; [unrolled: 1-line block ×3, first 2 shown]
	v_cvt_f64_f32_e32 v[10:11], v26
	v_fmac_f64_e32 v[14:15], v[10:11], v[70:71]
	v_fmac_f64_e32 v[42:43], v[20:21], v[70:71]
	v_fma_f64 v[14:15], -v[20:21], v[72:73], v[14:15]
	v_fmac_f64_e32 v[42:43], v[10:11], v[72:73]
	v_cvt_f64_f32_e32 v[10:11], v54
	v_cvt_f64_f32_e32 v[20:21], v55
	v_fmac_f64_e32 v[16:17], v[10:11], v[70:71]
	v_fmac_f64_e32 v[34:35], v[20:21], v[70:71]
	v_fma_f64 v[16:17], -v[20:21], v[72:73], v[16:17]
	v_fmac_f64_e32 v[34:35], v[10:11], v[72:73]
	v_cvt_f64_f32_e32 v[10:11], v56
	v_cvt_f64_f32_e32 v[20:21], v57
	v_fmac_f64_e32 v[18:19], v[10:11], v[70:71]
	v_fmac_f64_e32 v[32:33], v[20:21], v[70:71]
	v_fma_f64 v[12:13], -v[24:25], v[72:73], v[12:13]
	v_fma_f64 v[18:19], -v[20:21], v[72:73], v[18:19]
	v_fmac_f64_e32 v[32:33], v[10:11], v[72:73]
	v_cvt_f64_f32_e32 v[10:11], v50
	v_cvt_f64_f32_e32 v[20:21], v51
	v_fmac_f64_e32 v[12:13], v[10:11], v[66:67]
	v_fmac_f64_e32 v[44:45], v[20:21], v[66:67]
	v_fma_f64 v[50:51], -v[20:21], v[68:69], v[12:13]
	v_fmac_f64_e32 v[44:45], v[10:11], v[68:69]
	v_cvt_f64_f32_e32 v[10:11], v52
	v_cvt_f64_f32_e32 v[12:13], v53
	v_fmac_f64_e32 v[14:15], v[10:11], v[66:67]
	v_fmac_f64_e32 v[42:43], v[12:13], v[66:67]
	;; [unrolled: 6-line block ×4, first 2 shown]
	v_fma_f64 v[48:49], -v[12:13], v[68:69], v[18:19]
	v_fmac_f64_e32 v[32:33], v[10:11], v[68:69]
	global_load_dwordx4 v[10:13], v[28:29], off offset:112
	global_load_dwordx4 v[14:17], v[28:29], off offset:96
	global_load_dwordx4 v[18:21], v[28:29], off offset:80
	global_load_dwordx4 v[24:27], v[28:29], off offset:64
	global_load_dword v1, v[22:23], off offset:128
	v_lshl_add_u64 v[22:23], v[22:23], 0, s[20:21]
	s_waitcnt vmcnt(1)
	v_cvt_f64_f32_e32 v[28:29], v24
	v_cvt_f64_f32_e32 v[24:25], v25
	v_fmac_f64_e32 v[50:51], v[28:29], v[62:63]
	v_fma_f64 v[50:51], -v[24:25], v[64:65], v[50:51]
	v_fmac_f64_e32 v[44:45], v[24:25], v[62:63]
	v_cvt_f64_f32_e32 v[24:25], v26
	v_cvt_f64_f32_e32 v[26:27], v27
	v_fmac_f64_e32 v[42:43], v[26:27], v[62:63]
	v_fmac_f64_e32 v[52:53], v[24:25], v[62:63]
	;; [unrolled: 1-line block ×3, first 2 shown]
	v_cvt_f64_f32_e32 v[24:25], v18
	v_cvt_f64_f32_e32 v[18:19], v19
	v_fmac_f64_e32 v[46:47], v[24:25], v[62:63]
	v_fmac_f64_e32 v[44:45], v[28:29], v[64:65]
	v_fma_f64 v[28:29], -v[26:27], v[64:65], v[52:53]
	v_fma_f64 v[26:27], -v[18:19], v[64:65], v[46:47]
	v_fmac_f64_e32 v[34:35], v[18:19], v[62:63]
	v_cvt_f64_f32_e32 v[18:19], v20
	v_cvt_f64_f32_e32 v[20:21], v21
	v_fmac_f64_e32 v[48:49], v[18:19], v[62:63]
	v_fma_f64 v[46:47], -v[20:21], v[64:65], v[48:49]
	v_fmac_f64_e32 v[32:33], v[20:21], v[62:63]
	v_cvt_f64_f32_e32 v[20:21], v14
	v_cvt_f64_f32_e32 v[14:15], v15
	v_fmac_f64_e32 v[50:51], v[20:21], v[58:59]
	v_fmac_f64_e32 v[32:33], v[18:19], v[64:65]
	v_fma_f64 v[18:19], -v[14:15], v[60:61], v[50:51]
	v_fmac_f64_e32 v[44:45], v[14:15], v[58:59]
	v_cvt_f64_f32_e32 v[14:15], v16
	v_cvt_f64_f32_e32 v[16:17], v17
	v_fmac_f64_e32 v[42:43], v[16:17], v[58:59]
	v_fmac_f64_e32 v[28:29], v[14:15], v[58:59]
	;; [unrolled: 1-line block ×3, first 2 shown]
	v_cvt_f64_f32_e32 v[14:15], v10
	v_fmac_f64_e32 v[34:35], v[24:25], v[64:65]
	v_cvt_f64_f32_e32 v[10:11], v11
	v_fmac_f64_e32 v[26:27], v[14:15], v[58:59]
	v_fma_f64 v[24:25], -v[10:11], v[60:61], v[26:27]
	v_fmac_f64_e32 v[34:35], v[10:11], v[58:59]
	v_cvt_f64_f32_e32 v[10:11], v12
	v_cvt_f64_f32_e32 v[12:13], v13
	v_fmac_f64_e32 v[46:47], v[10:11], v[58:59]
	v_fma_f64 v[26:27], -v[12:13], v[60:61], v[46:47]
	v_fmac_f64_e32 v[32:33], v[12:13], v[58:59]
	v_add_co_u32_e32 v12, vcc, s24, v40
	v_fmac_f64_e32 v[44:45], v[20:21], v[60:61]
	s_nop 0
	v_addc_co_u32_e32 v13, vcc, 0, v41, vcc
	v_fma_f64 v[20:21], -v[16:17], v[60:61], v[28:29]
	v_fmac_f64_e32 v[34:35], v[14:15], v[60:61]
	v_fmac_f64_e32 v[32:33], v[10:11], v[60:61]
	v_lshl_add_u64 v[48:49], v[40:41], 0, s[16:17]
	global_load_dwordx4 v[50:53], v[12:13], off
	global_load_dwordx4 v[54:57], v[48:49], off offset:48
	global_load_dwordx4 v[58:61], v[48:49], off offset:32
	;; [unrolled: 1-line block ×3, first 2 shown]
	s_waitcnt vmcnt(4)
	v_subrev_u32_e32 v1, s12, v1
	v_lshlrev_b32_e32 v10, 2, v1
	v_ashrrev_i32_e32 v11, 31, v10
	v_cmp_ge_i64_e32 vcc, v[36:37], v[38:39]
	v_lshl_add_u64 v[40:41], v[40:41], 0, s[22:23]
	s_or_b64 s[8:9], vcc, s[8:9]
	s_waitcnt vmcnt(3)
	v_cvt_f64_f32_e32 v[28:29], v50
	v_cvt_f64_f32_e32 v[46:47], v51
	v_lshl_add_u64 v[50:51], v[10:11], 4, s[4:5]
	global_load_dwordx4 v[10:13], v[50:51], off offset:48
	global_load_dwordx4 v[14:17], v[50:51], off offset:32
	;; [unrolled: 1-line block ×3, first 2 shown]
	global_load_dwordx4 v[70:73], v[50:51], off
	s_waitcnt vmcnt(0)
	v_fmac_f64_e32 v[18:19], v[28:29], v[70:71]
	v_fmac_f64_e32 v[44:45], v[46:47], v[70:71]
	v_fma_f64 v[18:19], -v[46:47], v[72:73], v[18:19]
	v_fmac_f64_e32 v[44:45], v[28:29], v[72:73]
	v_cvt_f64_f32_e32 v[28:29], v52
	v_cvt_f64_f32_e32 v[46:47], v53
	v_fmac_f64_e32 v[20:21], v[28:29], v[70:71]
	v_fmac_f64_e32 v[42:43], v[46:47], v[70:71]
	v_fma_f64 v[20:21], -v[46:47], v[72:73], v[20:21]
	v_fmac_f64_e32 v[42:43], v[28:29], v[72:73]
	v_cvt_f64_f32_e32 v[28:29], v62
	v_cvt_f64_f32_e32 v[46:47], v63
	;; [unrolled: 6-line block ×7, first 2 shown]
	v_fmac_f64_e32 v[50:51], v[18:19], v[66:67]
	v_fmac_f64_e32 v[32:33], v[20:21], v[66:67]
	v_fma_f64 v[24:25], -v[20:21], v[68:69], v[50:51]
	v_fmac_f64_e32 v[32:33], v[18:19], v[68:69]
	global_load_dwordx4 v[18:21], v[48:49], off offset:112
	global_load_dwordx4 v[50:53], v[48:49], off offset:96
	;; [unrolled: 1-line block ×4, first 2 shown]
	s_waitcnt vmcnt(0)
	v_cvt_f64_f32_e32 v[48:49], v58
	v_cvt_f64_f32_e32 v[58:59], v59
	v_fmac_f64_e32 v[46:47], v[48:49], v[14:15]
	v_fma_f64 v[46:47], -v[58:59], v[16:17], v[46:47]
	v_fmac_f64_e32 v[44:45], v[58:59], v[14:15]
	v_cvt_f64_f32_e32 v[58:59], v61
	v_fmac_f64_e32 v[44:45], v[48:49], v[16:17]
	v_cvt_f64_f32_e32 v[48:49], v60
	v_fmac_f64_e32 v[42:43], v[58:59], v[14:15]
	v_fmac_f64_e32 v[28:29], v[48:49], v[14:15]
	v_fmac_f64_e32 v[42:43], v[48:49], v[16:17]
	v_cvt_f64_f32_e32 v[48:49], v54
	v_cvt_f64_f32_e32 v[54:55], v55
	v_fmac_f64_e32 v[26:27], v[48:49], v[14:15]
	v_fmac_f64_e32 v[34:35], v[54:55], v[14:15]
	v_fma_f64 v[26:27], -v[54:55], v[16:17], v[26:27]
	v_fmac_f64_e32 v[34:35], v[48:49], v[16:17]
	v_cvt_f64_f32_e32 v[48:49], v56
	v_cvt_f64_f32_e32 v[54:55], v57
	v_fmac_f64_e32 v[24:25], v[48:49], v[14:15]
	v_fmac_f64_e32 v[32:33], v[54:55], v[14:15]
	v_fma_f64 v[28:29], -v[58:59], v[16:17], v[28:29]
	v_fma_f64 v[24:25], -v[54:55], v[16:17], v[24:25]
	v_fmac_f64_e32 v[32:33], v[48:49], v[16:17]
	v_cvt_f64_f32_e32 v[14:15], v50
	v_cvt_f64_f32_e32 v[16:17], v51
	v_fmac_f64_e32 v[46:47], v[14:15], v[10:11]
	v_fmac_f64_e32 v[44:45], v[16:17], v[10:11]
	v_fma_f64 v[56:57], -v[16:17], v[12:13], v[46:47]
	v_fmac_f64_e32 v[44:45], v[14:15], v[12:13]
	v_cvt_f64_f32_e32 v[14:15], v52
	v_cvt_f64_f32_e32 v[16:17], v53
	v_fmac_f64_e32 v[28:29], v[14:15], v[10:11]
	v_fmac_f64_e32 v[42:43], v[16:17], v[10:11]
	;; [unrolled: 6-line block ×4, first 2 shown]
	v_fma_f64 v[18:19], -v[16:17], v[12:13], v[24:25]
	v_fmac_f64_e32 v[32:33], v[14:15], v[12:13]
	s_andn2_b64 exec, exec, s[8:9]
	s_cbranch_execnz .LBB173_31
; %bb.32:
	s_or_b64 exec, exec, s[8:9]
.LBB173_33:
	s_or_b64 exec, exec, s[2:3]
.LBB173_34:
	s_or_b64 exec, exec, s[6:7]
.LBB173_35:
	v_mov_b32_dpp v24, v42 row_shr:1 row_mask:0xf bank_mask:0xf
	v_mov_b32_dpp v25, v43 row_shr:1 row_mask:0xf bank_mask:0xf
	;; [unrolled: 1-line block ×8, first 2 shown]
	v_add_f64 v[24:25], v[42:43], v[24:25]
	v_mov_b32_dpp v28, v58 row_shr:1 row_mask:0xf bank_mask:0xf
	v_mov_b32_dpp v29, v59 row_shr:1 row_mask:0xf bank_mask:0xf
	;; [unrolled: 1-line block ×8, first 2 shown]
	v_add_f64 v[10:11], v[56:57], v[10:11]
	v_add_f64 v[14:15], v[44:45], v[14:15]
	v_add_f64 v[20:21], v[54:55], v[20:21]
	v_add_f64 v[28:29], v[58:59], v[28:29]
	v_add_f64 v[34:35], v[34:35], v[38:39]
	v_add_f64 v[18:19], v[18:19], v[40:41]
	v_add_f64 v[32:33], v[32:33], v[42:43]
	v_mov_b32_dpp v12, v10 row_shr:2 row_mask:0xf bank_mask:0xf
	v_mov_b32_dpp v13, v11 row_shr:2 row_mask:0xf bank_mask:0xf
	v_mov_b32_dpp v16, v14 row_shr:2 row_mask:0xf bank_mask:0xf
	v_mov_b32_dpp v17, v15 row_shr:2 row_mask:0xf bank_mask:0xf
	v_mov_b32_dpp v22, v20 row_shr:2 row_mask:0xf bank_mask:0xf
	v_mov_b32_dpp v23, v21 row_shr:2 row_mask:0xf bank_mask:0xf
	v_mov_b32_dpp v26, v24 row_shr:2 row_mask:0xf bank_mask:0xf
	v_mov_b32_dpp v27, v25 row_shr:2 row_mask:0xf bank_mask:0xf
	v_mov_b32_dpp v36, v28 row_shr:2 row_mask:0xf bank_mask:0xf
	v_mov_b32_dpp v37, v29 row_shr:2 row_mask:0xf bank_mask:0xf
	v_mov_b32_dpp v38, v34 row_shr:2 row_mask:0xf bank_mask:0xf
	v_mov_b32_dpp v39, v35 row_shr:2 row_mask:0xf bank_mask:0xf
	v_mov_b32_dpp v40, v18 row_shr:2 row_mask:0xf bank_mask:0xf
	v_mov_b32_dpp v41, v19 row_shr:2 row_mask:0xf bank_mask:0xf
	v_mov_b32_dpp v42, v32 row_shr:2 row_mask:0xf bank_mask:0xf
	v_mov_b32_dpp v43, v33 row_shr:2 row_mask:0xf bank_mask:0xf
	v_add_f64 v[10:11], v[10:11], v[12:13]
	v_add_f64 v[14:15], v[14:15], v[16:17]
	v_add_f64 v[20:21], v[20:21], v[22:23]
	v_add_f64 v[24:25], v[24:25], v[26:27]
	v_add_f64 v[28:29], v[28:29], v[36:37]
	v_add_f64 v[34:35], v[34:35], v[38:39]
	v_add_f64 v[18:19], v[18:19], v[40:41]
	v_add_f64 v[32:33], v[32:33], v[42:43]
	v_mov_b32_dpp v12, v10 row_shr:4 row_mask:0xf bank_mask:0xe
	v_mov_b32_dpp v13, v11 row_shr:4 row_mask:0xf bank_mask:0xe
	v_mov_b32_dpp v16, v14 row_shr:4 row_mask:0xf bank_mask:0xe
	v_mov_b32_dpp v17, v15 row_shr:4 row_mask:0xf bank_mask:0xe
	v_mov_b32_dpp v22, v20 row_shr:4 row_mask:0xf bank_mask:0xe
	v_mov_b32_dpp v23, v21 row_shr:4 row_mask:0xf bank_mask:0xe
	v_mov_b32_dpp v26, v24 row_shr:4 row_mask:0xf bank_mask:0xe
	v_mov_b32_dpp v27, v25 row_shr:4 row_mask:0xf bank_mask:0xe
	v_mov_b32_dpp v36, v28 row_shr:4 row_mask:0xf bank_mask:0xe
	v_mov_b32_dpp v37, v29 row_shr:4 row_mask:0xf bank_mask:0xe
	v_mov_b32_dpp v38, v34 row_shr:4 row_mask:0xf bank_mask:0xe
	v_mov_b32_dpp v39, v35 row_shr:4 row_mask:0xf bank_mask:0xe
	v_mov_b32_dpp v40, v18 row_shr:4 row_mask:0xf bank_mask:0xe
	v_mov_b32_dpp v41, v19 row_shr:4 row_mask:0xf bank_mask:0xe
	v_mov_b32_dpp v42, v32 row_shr:4 row_mask:0xf bank_mask:0xe
	v_mov_b32_dpp v43, v33 row_shr:4 row_mask:0xf bank_mask:0xe
	v_add_f64 v[10:11], v[10:11], v[12:13]
	;; [unrolled: 24-line block ×3, first 2 shown]
	v_add_f64 v[14:15], v[14:15], v[16:17]
	v_add_f64 v[20:21], v[20:21], v[22:23]
	;; [unrolled: 1-line block ×7, first 2 shown]
	v_mov_b32_dpp v12, v10 row_bcast:15 row_mask:0xa bank_mask:0xf
	v_mov_b32_dpp v13, v11 row_bcast:15 row_mask:0xa bank_mask:0xf
	;; [unrolled: 1-line block ×16, first 2 shown]
	v_cmp_eq_u32_e32 vcc, 31, v0
	s_and_b64 exec, exec, vcc
	s_cbranch_execz .LBB173_8
; %bb.36:
	s_load_dwordx2 s[2:3], s[0:1], 0x60
	v_add_f64 v[0:1], v[10:11], v[12:13]
	v_add_f64 v[10:11], v[14:15], v[16:17]
	;; [unrolled: 1-line block ×8, first 2 shown]
	v_cmp_eq_f64_e32 vcc, 0, v[2:3]
	v_cmp_eq_f64_e64 s[0:1], 0, v[4:5]
	v_mul_f64 v[22:23], v[10:11], -v[8:9]
	v_mul_f64 v[24:25], v[6:7], v[10:11]
	v_mul_f64 v[18:19], v[12:13], -v[8:9]
	v_mul_f64 v[20:21], v[6:7], v[12:13]
	;; [unrolled: 2-line block ×4, first 2 shown]
	s_and_b64 s[0:1], vcc, s[0:1]
	v_fmac_f64_e32 v[22:23], v[6:7], v[0:1]
	v_fmac_f64_e32 v[24:25], v[8:9], v[0:1]
	v_lshlrev_b32_e32 v0, 2, v30
	v_fmac_f64_e32 v[18:19], v[6:7], v[44:45]
	v_fmac_f64_e32 v[20:21], v[8:9], v[44:45]
	;; [unrolled: 1-line block ×6, first 2 shown]
	s_waitcnt lgkmcnt(0)
	s_and_saveexec_b64 s[4:5], s[0:1]
	s_xor_b64 s[0:1], exec, s[4:5]
	s_cbranch_execz .LBB173_38
; %bb.37:
	v_ashrrev_i32_e32 v1, 31, v0
	v_lshl_add_u64 v[0:1], v[0:1], 4, s[2:3]
	global_store_dwordx4 v[0:1], v[22:25], off
	global_store_dwordx4 v[0:1], v[18:21], off offset:16
	global_store_dwordx4 v[0:1], v[14:17], off offset:32
	;; [unrolled: 1-line block ×3, first 2 shown]
                                        ; implicit-def: $vgpr4_vgpr5
                                        ; implicit-def: $vgpr22_vgpr23
                                        ; implicit-def: $vgpr0
                                        ; implicit-def: $vgpr18_vgpr19
                                        ; implicit-def: $vgpr14_vgpr15
                                        ; implicit-def: $vgpr10_vgpr11
.LBB173_38:
	s_andn2_saveexec_b64 s[0:1], s[0:1]
	s_cbranch_execz .LBB173_8
; %bb.39:
	v_ashrrev_i32_e32 v1, 31, v0
	v_lshl_add_u64 v[0:1], v[0:1], 4, s[2:3]
	global_load_dwordx4 v[6:9], v[0:1], off
	global_load_dwordx4 v[26:29], v[0:1], off offset:16
	global_load_dwordx4 v[30:33], v[0:1], off offset:32
	;; [unrolled: 1-line block ×3, first 2 shown]
	s_waitcnt vmcnt(3)
	v_fmac_f64_e32 v[22:23], v[2:3], v[6:7]
	v_fmac_f64_e32 v[24:25], v[4:5], v[6:7]
	s_waitcnt vmcnt(2)
	v_fmac_f64_e32 v[18:19], v[2:3], v[26:27]
	v_fmac_f64_e32 v[20:21], v[4:5], v[26:27]
	;; [unrolled: 3-line block ×4, first 2 shown]
	v_fma_f64 v[22:23], -v[4:5], v[8:9], v[22:23]
	v_fmac_f64_e32 v[24:25], v[2:3], v[8:9]
	v_fma_f64 v[18:19], -v[4:5], v[28:29], v[18:19]
	v_fmac_f64_e32 v[20:21], v[2:3], v[28:29]
	v_fma_f64 v[14:15], -v[4:5], v[32:33], v[14:15]
	v_fmac_f64_e32 v[16:17], v[2:3], v[32:33]
	v_fma_f64 v[10:11], -v[4:5], v[36:37], v[10:11]
	v_fmac_f64_e32 v[12:13], v[2:3], v[36:37]
	global_store_dwordx4 v[0:1], v[22:25], off
	global_store_dwordx4 v[0:1], v[18:21], off offset:16
	global_store_dwordx4 v[0:1], v[14:17], off offset:32
	;; [unrolled: 1-line block ×3, first 2 shown]
	s_endpgm
	.section	.rodata,"a",@progbits
	.p2align	6, 0x0
	.amdhsa_kernel _ZN9rocsparseL18bsrxmvn_4x4_kernelILj128ELj32E21rocsparse_complex_numIdEliS1_IfES2_S2_EEvT3_20rocsparse_direction_NS_24const_host_device_scalarIT1_EES4_PKS4_PKT2_SD_SA_PKT4_PKT5_S8_PT6_21rocsparse_index_base_b
		.amdhsa_group_segment_fixed_size 0
		.amdhsa_private_segment_fixed_size 0
		.amdhsa_kernarg_size 112
		.amdhsa_user_sgpr_count 2
		.amdhsa_user_sgpr_dispatch_ptr 0
		.amdhsa_user_sgpr_queue_ptr 0
		.amdhsa_user_sgpr_kernarg_segment_ptr 1
		.amdhsa_user_sgpr_dispatch_id 0
		.amdhsa_user_sgpr_kernarg_preload_length 0
		.amdhsa_user_sgpr_kernarg_preload_offset 0
		.amdhsa_user_sgpr_private_segment_size 0
		.amdhsa_uses_dynamic_stack 0
		.amdhsa_enable_private_segment 0
		.amdhsa_system_sgpr_workgroup_id_x 1
		.amdhsa_system_sgpr_workgroup_id_y 0
		.amdhsa_system_sgpr_workgroup_id_z 0
		.amdhsa_system_sgpr_workgroup_info 0
		.amdhsa_system_vgpr_workitem_id 0
		.amdhsa_next_free_vgpr 126
		.amdhsa_next_free_sgpr 29
		.amdhsa_accum_offset 128
		.amdhsa_reserve_vcc 1
		.amdhsa_float_round_mode_32 0
		.amdhsa_float_round_mode_16_64 0
		.amdhsa_float_denorm_mode_32 3
		.amdhsa_float_denorm_mode_16_64 3
		.amdhsa_dx10_clamp 1
		.amdhsa_ieee_mode 1
		.amdhsa_fp16_overflow 0
		.amdhsa_tg_split 0
		.amdhsa_exception_fp_ieee_invalid_op 0
		.amdhsa_exception_fp_denorm_src 0
		.amdhsa_exception_fp_ieee_div_zero 0
		.amdhsa_exception_fp_ieee_overflow 0
		.amdhsa_exception_fp_ieee_underflow 0
		.amdhsa_exception_fp_ieee_inexact 0
		.amdhsa_exception_int_div_zero 0
	.end_amdhsa_kernel
	.section	.text._ZN9rocsparseL18bsrxmvn_4x4_kernelILj128ELj32E21rocsparse_complex_numIdEliS1_IfES2_S2_EEvT3_20rocsparse_direction_NS_24const_host_device_scalarIT1_EES4_PKS4_PKT2_SD_SA_PKT4_PKT5_S8_PT6_21rocsparse_index_base_b,"axG",@progbits,_ZN9rocsparseL18bsrxmvn_4x4_kernelILj128ELj32E21rocsparse_complex_numIdEliS1_IfES2_S2_EEvT3_20rocsparse_direction_NS_24const_host_device_scalarIT1_EES4_PKS4_PKT2_SD_SA_PKT4_PKT5_S8_PT6_21rocsparse_index_base_b,comdat
.Lfunc_end173:
	.size	_ZN9rocsparseL18bsrxmvn_4x4_kernelILj128ELj32E21rocsparse_complex_numIdEliS1_IfES2_S2_EEvT3_20rocsparse_direction_NS_24const_host_device_scalarIT1_EES4_PKS4_PKT2_SD_SA_PKT4_PKT5_S8_PT6_21rocsparse_index_base_b, .Lfunc_end173-_ZN9rocsparseL18bsrxmvn_4x4_kernelILj128ELj32E21rocsparse_complex_numIdEliS1_IfES2_S2_EEvT3_20rocsparse_direction_NS_24const_host_device_scalarIT1_EES4_PKS4_PKT2_SD_SA_PKT4_PKT5_S8_PT6_21rocsparse_index_base_b
                                        ; -- End function
	.set _ZN9rocsparseL18bsrxmvn_4x4_kernelILj128ELj32E21rocsparse_complex_numIdEliS1_IfES2_S2_EEvT3_20rocsparse_direction_NS_24const_host_device_scalarIT1_EES4_PKS4_PKT2_SD_SA_PKT4_PKT5_S8_PT6_21rocsparse_index_base_b.num_vgpr, 126
	.set _ZN9rocsparseL18bsrxmvn_4x4_kernelILj128ELj32E21rocsparse_complex_numIdEliS1_IfES2_S2_EEvT3_20rocsparse_direction_NS_24const_host_device_scalarIT1_EES4_PKS4_PKT2_SD_SA_PKT4_PKT5_S8_PT6_21rocsparse_index_base_b.num_agpr, 0
	.set _ZN9rocsparseL18bsrxmvn_4x4_kernelILj128ELj32E21rocsparse_complex_numIdEliS1_IfES2_S2_EEvT3_20rocsparse_direction_NS_24const_host_device_scalarIT1_EES4_PKS4_PKT2_SD_SA_PKT4_PKT5_S8_PT6_21rocsparse_index_base_b.numbered_sgpr, 29
	.set _ZN9rocsparseL18bsrxmvn_4x4_kernelILj128ELj32E21rocsparse_complex_numIdEliS1_IfES2_S2_EEvT3_20rocsparse_direction_NS_24const_host_device_scalarIT1_EES4_PKS4_PKT2_SD_SA_PKT4_PKT5_S8_PT6_21rocsparse_index_base_b.num_named_barrier, 0
	.set _ZN9rocsparseL18bsrxmvn_4x4_kernelILj128ELj32E21rocsparse_complex_numIdEliS1_IfES2_S2_EEvT3_20rocsparse_direction_NS_24const_host_device_scalarIT1_EES4_PKS4_PKT2_SD_SA_PKT4_PKT5_S8_PT6_21rocsparse_index_base_b.private_seg_size, 0
	.set _ZN9rocsparseL18bsrxmvn_4x4_kernelILj128ELj32E21rocsparse_complex_numIdEliS1_IfES2_S2_EEvT3_20rocsparse_direction_NS_24const_host_device_scalarIT1_EES4_PKS4_PKT2_SD_SA_PKT4_PKT5_S8_PT6_21rocsparse_index_base_b.uses_vcc, 1
	.set _ZN9rocsparseL18bsrxmvn_4x4_kernelILj128ELj32E21rocsparse_complex_numIdEliS1_IfES2_S2_EEvT3_20rocsparse_direction_NS_24const_host_device_scalarIT1_EES4_PKS4_PKT2_SD_SA_PKT4_PKT5_S8_PT6_21rocsparse_index_base_b.uses_flat_scratch, 0
	.set _ZN9rocsparseL18bsrxmvn_4x4_kernelILj128ELj32E21rocsparse_complex_numIdEliS1_IfES2_S2_EEvT3_20rocsparse_direction_NS_24const_host_device_scalarIT1_EES4_PKS4_PKT2_SD_SA_PKT4_PKT5_S8_PT6_21rocsparse_index_base_b.has_dyn_sized_stack, 0
	.set _ZN9rocsparseL18bsrxmvn_4x4_kernelILj128ELj32E21rocsparse_complex_numIdEliS1_IfES2_S2_EEvT3_20rocsparse_direction_NS_24const_host_device_scalarIT1_EES4_PKS4_PKT2_SD_SA_PKT4_PKT5_S8_PT6_21rocsparse_index_base_b.has_recursion, 0
	.set _ZN9rocsparseL18bsrxmvn_4x4_kernelILj128ELj32E21rocsparse_complex_numIdEliS1_IfES2_S2_EEvT3_20rocsparse_direction_NS_24const_host_device_scalarIT1_EES4_PKS4_PKT2_SD_SA_PKT4_PKT5_S8_PT6_21rocsparse_index_base_b.has_indirect_call, 0
	.section	.AMDGPU.csdata,"",@progbits
; Kernel info:
; codeLenInByte = 8884
; TotalNumSgprs: 35
; NumVgprs: 126
; NumAgprs: 0
; TotalNumVgprs: 126
; ScratchSize: 0
; MemoryBound: 0
; FloatMode: 240
; IeeeMode: 1
; LDSByteSize: 0 bytes/workgroup (compile time only)
; SGPRBlocks: 4
; VGPRBlocks: 15
; NumSGPRsForWavesPerEU: 35
; NumVGPRsForWavesPerEU: 126
; AccumOffset: 128
; Occupancy: 4
; WaveLimiterHint : 1
; COMPUTE_PGM_RSRC2:SCRATCH_EN: 0
; COMPUTE_PGM_RSRC2:USER_SGPR: 2
; COMPUTE_PGM_RSRC2:TRAP_HANDLER: 0
; COMPUTE_PGM_RSRC2:TGID_X_EN: 1
; COMPUTE_PGM_RSRC2:TGID_Y_EN: 0
; COMPUTE_PGM_RSRC2:TGID_Z_EN: 0
; COMPUTE_PGM_RSRC2:TIDIG_COMP_CNT: 0
; COMPUTE_PGM_RSRC3_GFX90A:ACCUM_OFFSET: 31
; COMPUTE_PGM_RSRC3_GFX90A:TG_SPLIT: 0
	.section	.text._ZN9rocsparseL18bsrxmvn_4x4_kernelILj128ELj64E21rocsparse_complex_numIdEliS1_IfES2_S2_EEvT3_20rocsparse_direction_NS_24const_host_device_scalarIT1_EES4_PKS4_PKT2_SD_SA_PKT4_PKT5_S8_PT6_21rocsparse_index_base_b,"axG",@progbits,_ZN9rocsparseL18bsrxmvn_4x4_kernelILj128ELj64E21rocsparse_complex_numIdEliS1_IfES2_S2_EEvT3_20rocsparse_direction_NS_24const_host_device_scalarIT1_EES4_PKS4_PKT2_SD_SA_PKT4_PKT5_S8_PT6_21rocsparse_index_base_b,comdat
	.globl	_ZN9rocsparseL18bsrxmvn_4x4_kernelILj128ELj64E21rocsparse_complex_numIdEliS1_IfES2_S2_EEvT3_20rocsparse_direction_NS_24const_host_device_scalarIT1_EES4_PKS4_PKT2_SD_SA_PKT4_PKT5_S8_PT6_21rocsparse_index_base_b ; -- Begin function _ZN9rocsparseL18bsrxmvn_4x4_kernelILj128ELj64E21rocsparse_complex_numIdEliS1_IfES2_S2_EEvT3_20rocsparse_direction_NS_24const_host_device_scalarIT1_EES4_PKS4_PKT2_SD_SA_PKT4_PKT5_S8_PT6_21rocsparse_index_base_b
	.p2align	8
	.type	_ZN9rocsparseL18bsrxmvn_4x4_kernelILj128ELj64E21rocsparse_complex_numIdEliS1_IfES2_S2_EEvT3_20rocsparse_direction_NS_24const_host_device_scalarIT1_EES4_PKS4_PKT2_SD_SA_PKT4_PKT5_S8_PT6_21rocsparse_index_base_b,@function
_ZN9rocsparseL18bsrxmvn_4x4_kernelILj128ELj64E21rocsparse_complex_numIdEliS1_IfES2_S2_EEvT3_20rocsparse_direction_NS_24const_host_device_scalarIT1_EES4_PKS4_PKT2_SD_SA_PKT4_PKT5_S8_PT6_21rocsparse_index_base_b: ; @_ZN9rocsparseL18bsrxmvn_4x4_kernelILj128ELj64E21rocsparse_complex_numIdEliS1_IfES2_S2_EEvT3_20rocsparse_direction_NS_24const_host_device_scalarIT1_EES4_PKS4_PKT2_SD_SA_PKT4_PKT5_S8_PT6_21rocsparse_index_base_b
; %bb.0:
	s_load_dwordx2 s[4:5], s[0:1], 0x8
	s_load_dwordx2 s[12:13], s[0:1], 0x68
	s_add_u32 s3, s0, 8
	s_addc_u32 s8, s1, 0
	s_add_u32 s9, s0, 0x50
	s_load_dwordx2 s[6:7], s[0:1], 0x50
	s_addc_u32 s10, s1, 0
	s_waitcnt lgkmcnt(0)
	s_bitcmp1_b32 s13, 0
	s_cselect_b32 s5, s8, s5
	s_cselect_b32 s3, s3, s4
	v_mov_b32_e32 v2, s3
	v_mov_b32_e32 v3, s5
	flat_load_dwordx4 v[6:9], v[2:3]
	s_cselect_b32 s3, s10, s7
	s_cselect_b32 s4, s9, s6
	v_mov_b32_e32 v2, s4
	v_mov_b32_e32 v3, s3
	flat_load_dwordx4 v[2:5], v[2:3]
	s_waitcnt vmcnt(0) lgkmcnt(0)
	v_cmp_eq_f64_e32 vcc, 0, v[6:7]
	v_cmp_eq_f64_e64 s[4:5], 0, v[8:9]
	s_and_b64 s[8:9], vcc, s[4:5]
	s_mov_b64 s[4:5], -1
	s_and_saveexec_b64 s[6:7], s[8:9]
; %bb.1:
	v_cmp_neq_f64_e32 vcc, 1.0, v[2:3]
	v_cmp_neq_f64_e64 s[4:5], 0, v[4:5]
	s_or_b64 s[4:5], vcc, s[4:5]
	s_orn2_b64 s[4:5], s[4:5], exec
; %bb.2:
	s_or_b64 exec, exec, s[6:7]
	s_and_saveexec_b64 s[6:7], s[4:5]
	s_cbranch_execz .LBB174_8
; %bb.3:
	s_load_dwordx2 s[4:5], s[0:1], 0x20
	s_load_dwordx2 s[14:15], s[0:1], 0x0
	v_lshrrev_b32_e32 v1, 6, v0
	v_lshl_or_b32 v30, s2, 1, v1
	s_mov_b64 s[2:3], 0
	s_waitcnt lgkmcnt(0)
	s_cmp_lg_u64 s[4:5], 0
	s_cbranch_scc0 .LBB174_9
; %bb.4:
	s_load_dword s6, s[0:1], 0x18
                                        ; implicit-def: $vgpr1
	s_waitcnt lgkmcnt(0)
	v_cmp_gt_i32_e32 vcc, s6, v30
	s_and_saveexec_b64 s[6:7], vcc
	s_xor_b64 s[6:7], exec, s[6:7]
	s_cbranch_execz .LBB174_6
; %bb.5:
	v_ashrrev_i32_e32 v31, 31, v30
	v_lshl_add_u64 v[10:11], v[30:31], 2, s[4:5]
	global_load_dword v1, v[10:11], off
	s_mov_b64 s[2:3], exec
	s_waitcnt vmcnt(0)
	v_subrev_u32_e32 v1, s12, v1
.LBB174_6:
	s_or_b64 exec, exec, s[6:7]
	s_branch .LBB174_10
.LBB174_7:
	v_cmp_gt_i32_e32 vcc, s14, v30
	s_andn2_b64 s[2:3], s[2:3], exec
	s_and_b64 s[4:5], vcc, exec
	s_or_b64 s[2:3], s[2:3], s[4:5]
	s_and_b64 exec, exec, s[2:3]
	s_cbranch_execnz .LBB174_11
.LBB174_8:
	s_endpgm
.LBB174_9:
                                        ; implicit-def: $vgpr1
	s_cbranch_execnz .LBB174_7
.LBB174_10:
	v_mov_b32_e32 v30, v1
	s_and_b64 exec, exec, s[2:3]
	s_cbranch_execz .LBB174_8
.LBB174_11:
	s_load_dwordx8 s[4:11], s[0:1], 0x28
	v_ashrrev_i32_e32 v31, 31, v30
	v_lshlrev_b64 v[10:11], 3, v[30:31]
	v_and_b32_e32 v0, 63, v0
	v_mov_b32_e32 v1, 0
	s_waitcnt lgkmcnt(0)
	v_lshl_add_u64 v[12:13], s[4:5], 0, v[10:11]
	s_cmp_eq_u64 s[6:7], 0
	v_lshl_add_u64 v[10:11], s[6:7], 0, v[10:11]
	global_load_dwordx2 v[46:47], v[12:13], off
	v_lshl_add_u64 v[12:13], v[12:13], 0, 8
	s_cselect_b64 vcc, -1, 0
	v_cndmask_b32_e32 v11, v11, v13, vcc
	v_cndmask_b32_e32 v10, v10, v12, vcc
	global_load_dwordx2 v[10:11], v[10:11], off
	s_load_dwordx2 s[4:5], s[0:1], 0x48
	s_cmp_eq_u32 s15, 1
	s_waitcnt vmcnt(1)
	v_subrev_co_u32_e32 v12, vcc, s12, v46
	s_nop 1
	v_subbrev_co_u32_e32 v13, vcc, 0, v47, vcc
	v_lshl_add_u64 v[36:37], v[12:13], 0, v[0:1]
	s_waitcnt vmcnt(0)
	v_subrev_co_u32_e32 v40, vcc, s12, v10
	s_nop 1
	v_subbrev_co_u32_e32 v41, vcc, 0, v11, vcc
	v_lshlrev_b64 v[10:11], 7, v[36:37]
	v_lshl_add_u64 v[42:43], s[10:11], 0, v[10:11]
	v_cmp_lt_i64_e64 s[2:3], v[36:37], v[40:41]
	s_cbranch_scc1 .LBB174_23
; %bb.12:
	v_mov_b64_e32 v[44:45], 0
	v_mov_b64_e32 v[56:57], 0
	;; [unrolled: 1-line block ×8, first 2 shown]
	s_and_saveexec_b64 s[6:7], s[2:3]
	s_cbranch_execz .LBB174_22
; %bb.13:
	v_or_b32_e32 v1, 64, v0
	v_subrev_co_u32_e32 v10, vcc, s12, v1
	v_not_b32_e32 v13, v47
	s_nop 0
	v_subb_co_u32_e64 v11, s[10:11], 0, 0, vcc
	v_lshl_add_u64 v[10:11], v[10:11], 0, v[46:47]
	v_cmp_gt_i64_e32 vcc, v[10:11], v[40:41]
	v_not_b32_e32 v12, v46
	v_mov_b64_e32 v[18:19], 0
	v_cndmask_b32_e32 v11, v41, v11, vcc
	v_cndmask_b32_e32 v10, v40, v10, vcc
	v_sub_co_u32_e32 v14, vcc, s12, v0
	v_mov_b64_e32 v[32:33], 0
	s_nop 0
	v_subb_co_u32_e64 v15, s[10:11], 0, 0, vcc
	v_lshl_add_u64 v[12:13], v[14:15], 0, v[12:13]
	v_lshl_add_u64 v[14:15], v[12:13], 0, v[10:11]
	v_and_b32_e32 v10, 0xc0, v14
	v_mov_b32_e32 v11, 0
	s_mov_b64 s[10:11], 0xc0
	v_cmp_ne_u64_e32 vcc, s[10:11], v[10:11]
	v_mov_b64_e32 v[58:59], 0
	v_mov_b64_e32 v[34:35], 0
	;; [unrolled: 1-line block ×8, first 2 shown]
	s_and_saveexec_b64 s[10:11], vcc
	s_cbranch_execz .LBB174_17
; %bb.14:
	v_lshrrev_b32_e32 v1, 6, v14
	v_add_u32_e32 v1, 1, v1
	v_and_b32_e32 v1, 3, v1
	v_sub_co_u32_e32 v20, vcc, 0, v1
	v_lshl_add_u64 v[16:17], v[36:37], 2, s[8:9]
	s_nop 0
	v_subb_co_u32_e64 v21, s[16:17], 0, 0, vcc
	s_mov_b64 s[14:15], 0
	v_mov_b64_e32 v[44:45], 0
	s_mov_b64 s[16:17], 0x2000
	s_mov_b64 s[18:19], 0x100
	v_mov_b64_e32 v[50:51], v[36:37]
	v_mov_b64_e32 v[48:49], v[42:43]
	;; [unrolled: 1-line block ×9, first 2 shown]
.LBB174_15:                             ; =>This Inner Loop Header: Depth=1
	global_load_dword v1, v[16:17], off
	global_load_dwordx4 v[22:25], v[48:49], off
	global_load_dwordx4 v[26:29], v[48:49], off offset:16
	global_load_dwordx4 v[10:13], v[48:49], off offset:32
	;; [unrolled: 1-line block ×7, first 2 shown]
	v_lshl_add_u64 v[20:21], v[20:21], 0, 1
	v_cmp_eq_u64_e32 vcc, 0, v[20:21]
	v_lshl_add_u64 v[48:49], v[48:49], 0, s[16:17]
	v_lshl_add_u64 v[50:51], v[50:51], 0, 64
	;; [unrolled: 1-line block ×3, first 2 shown]
	s_or_b64 s[14:15], vcc, s[14:15]
	s_waitcnt vmcnt(8)
	v_subrev_u32_e32 v1, s12, v1
	s_waitcnt vmcnt(7)
	v_cvt_f64_f32_e32 v[52:53], v22
	v_cvt_f64_f32_e32 v[84:85], v23
	s_waitcnt vmcnt(5)
	v_cvt_f64_f32_e32 v[98:99], v10
	v_lshlrev_b32_e32 v10, 2, v1
	v_cvt_f64_f32_e32 v[100:101], v11
	v_ashrrev_i32_e32 v11, 31, v10
	s_waitcnt lgkmcnt(0)
	v_lshl_add_u64 v[110:111], v[10:11], 4, s[4:5]
	v_cvt_f64_f32_e32 v[86:87], v24
	v_cvt_f64_f32_e32 v[88:89], v25
	;; [unrolled: 1-line block ×8, first 2 shown]
	global_load_dwordx4 v[10:13], v[110:111], off
	global_load_dwordx4 v[22:25], v[110:111], off offset:16
	global_load_dwordx4 v[26:29], v[110:111], off offset:32
	global_load_dwordx4 v[80:83], v[110:111], off offset:48
	s_waitcnt vmcnt(8)
	v_cvt_f64_f32_e32 v[106:107], v60
	v_cvt_f64_f32_e32 v[60:61], v61
	s_waitcnt vmcnt(7)
	v_cvt_f64_f32_e32 v[108:109], v64
	v_cvt_f64_f32_e32 v[64:65], v65
	;; [unrolled: 1-line block ×6, first 2 shown]
	s_waitcnt vmcnt(6)
	v_cvt_f64_f32_e32 v[110:111], v68
	v_cvt_f64_f32_e32 v[68:69], v69
	s_waitcnt vmcnt(5)
	v_cvt_f64_f32_e32 v[116:117], v72
	v_cvt_f64_f32_e32 v[72:73], v73
	;; [unrolled: 3-line block ×3, first 2 shown]
	v_cvt_f64_f32_e32 v[112:113], v70
	v_cvt_f64_f32_e32 v[70:71], v71
	v_cvt_f64_f32_e32 v[118:119], v74
	v_cvt_f64_f32_e32 v[74:75], v75
	v_cvt_f64_f32_e32 v[124:125], v78
	v_cvt_f64_f32_e32 v[78:79], v79
	s_waitcnt vmcnt(3)
	v_fmac_f64_e32 v[56:57], v[52:53], v[10:11]
	v_fmac_f64_e32 v[44:45], v[84:85], v[10:11]
	v_fmac_f64_e32 v[54:55], v[98:99], v[10:11]
	v_fmac_f64_e32 v[38:39], v[100:101], v[10:11]
	v_fmac_f64_e32 v[58:59], v[106:107], v[10:11]
	v_fmac_f64_e32 v[34:35], v[60:61], v[10:11]
	v_fmac_f64_e32 v[18:19], v[108:109], v[10:11]
	v_fmac_f64_e32 v[32:33], v[64:65], v[10:11]
	v_fma_f64 v[10:11], -v[84:85], v[12:13], v[56:57]
	v_fmac_f64_e32 v[44:45], v[52:53], v[12:13]
	v_fma_f64 v[52:53], -v[100:101], v[12:13], v[54:55]
	v_fmac_f64_e32 v[38:39], v[98:99], v[12:13]
	v_fma_f64 v[54:55], -v[60:61], v[12:13], v[58:59]
	v_fmac_f64_e32 v[34:35], v[106:107], v[12:13]
	v_fma_f64 v[18:19], -v[64:65], v[12:13], v[18:19]
	v_fmac_f64_e32 v[32:33], v[108:109], v[12:13]
	s_waitcnt vmcnt(2)
	v_fmac_f64_e32 v[10:11], v[86:87], v[22:23]
	v_fmac_f64_e32 v[44:45], v[88:89], v[22:23]
	v_fmac_f64_e32 v[52:53], v[102:103], v[22:23]
	v_fmac_f64_e32 v[38:39], v[104:105], v[22:23]
	v_fmac_f64_e32 v[54:55], v[114:115], v[22:23]
	v_fmac_f64_e32 v[34:35], v[62:63], v[22:23]
	v_fmac_f64_e32 v[18:19], v[120:121], v[22:23]
	v_fmac_f64_e32 v[32:33], v[66:67], v[22:23]
	v_fma_f64 v[10:11], -v[88:89], v[24:25], v[10:11]
	v_fmac_f64_e32 v[44:45], v[86:87], v[24:25]
	v_fma_f64 v[12:13], -v[104:105], v[24:25], v[52:53]
	v_fmac_f64_e32 v[38:39], v[102:103], v[24:25]
	v_fma_f64 v[22:23], -v[62:63], v[24:25], v[54:55]
	v_fmac_f64_e32 v[34:35], v[114:115], v[24:25]
	v_fma_f64 v[18:19], -v[66:67], v[24:25], v[18:19]
	v_fmac_f64_e32 v[32:33], v[120:121], v[24:25]
	;; [unrolled: 17-line block ×4, first 2 shown]
	s_andn2_b64 exec, exec, s[14:15]
	s_cbranch_execnz .LBB174_15
; %bb.16:
	s_or_b64 exec, exec, s[14:15]
.LBB174_17:
	s_or_b64 exec, exec, s[10:11]
	s_mov_b64 s[10:11], 0xbf
	v_cmp_lt_u64_e32 vcc, s[10:11], v[14:15]
	s_and_saveexec_b64 s[10:11], vcc
	s_cbranch_execz .LBB174_21
; %bb.18:
	v_lshl_add_u64 v[10:11], v[50:51], 2, s[8:9]
	s_mov_b64 s[14:15], 0x200
	v_lshl_add_u64 v[52:53], v[10:11], 0, s[14:15]
	s_mov_b64 s[14:15], 0
	s_mov_b64 s[16:17], 0x2000
	s_movk_i32 s13, 0x2000
	s_mov_b64 s[18:19], 0x4000
	s_movk_i32 s28, 0x4000
	;; [unrolled: 2-line block ×3, first 2 shown]
	s_mov_b64 s[22:23], 0x100
	s_mov_b64 s[24:25], 0x400
	;; [unrolled: 1-line block ×3, first 2 shown]
.LBB174_19:                             ; =>This Inner Loop Header: Depth=1
	global_load_dword v1, v[52:53], off offset:-512
	global_load_dwordx4 v[22:25], v[48:49], off offset:48
	global_load_dwordx4 v[26:29], v[48:49], off offset:32
	global_load_dwordx4 v[60:63], v[48:49], off offset:16
	global_load_dwordx4 v[64:67], v[48:49], off
	v_lshl_add_u64 v[50:51], v[50:51], 0, s[22:23]
	s_waitcnt vmcnt(4)
	v_subrev_u32_e32 v1, s12, v1
	v_lshlrev_b32_e32 v10, 2, v1
	v_ashrrev_i32_e32 v11, 31, v10
	s_waitcnt lgkmcnt(0)
	v_lshl_add_u64 v[76:77], v[10:11], 4, s[4:5]
	global_load_dwordx4 v[10:13], v[76:77], off offset:48
	global_load_dwordx4 v[14:17], v[76:77], off offset:32
	global_load_dwordx4 v[68:71], v[76:77], off offset:16
	global_load_dwordx4 v[72:75], v[76:77], off
	s_waitcnt vmcnt(4)
	v_cvt_f64_f32_e32 v[20:21], v64
	v_cvt_f64_f32_e32 v[64:65], v65
	s_waitcnt vmcnt(0)
	v_fmac_f64_e32 v[56:57], v[20:21], v[72:73]
	v_fmac_f64_e32 v[44:45], v[64:65], v[72:73]
	v_fma_f64 v[56:57], -v[64:65], v[74:75], v[56:57]
	v_fmac_f64_e32 v[44:45], v[20:21], v[74:75]
	v_cvt_f64_f32_e32 v[20:21], v66
	v_cvt_f64_f32_e32 v[64:65], v67
	v_fmac_f64_e32 v[56:57], v[20:21], v[68:69]
	v_fmac_f64_e32 v[44:45], v[64:65], v[68:69]
	v_fma_f64 v[56:57], -v[64:65], v[70:71], v[56:57]
	v_fmac_f64_e32 v[44:45], v[20:21], v[70:71]
	v_cvt_f64_f32_e32 v[20:21], v60
	v_cvt_f64_f32_e32 v[60:61], v61
	v_fmac_f64_e32 v[56:57], v[20:21], v[14:15]
	v_fma_f64 v[56:57], -v[60:61], v[16:17], v[56:57]
	v_fmac_f64_e32 v[44:45], v[60:61], v[14:15]
	v_cvt_f64_f32_e32 v[60:61], v62
	v_cvt_f64_f32_e32 v[62:63], v63
	v_fmac_f64_e32 v[56:57], v[60:61], v[10:11]
	v_fmac_f64_e32 v[44:45], v[20:21], v[16:17]
	v_fma_f64 v[20:21], -v[62:63], v[12:13], v[56:57]
	v_cvt_f64_f32_e32 v[56:57], v26
	v_cvt_f64_f32_e32 v[26:27], v27
	v_fmac_f64_e32 v[54:55], v[56:57], v[72:73]
	v_fmac_f64_e32 v[38:39], v[26:27], v[72:73]
	v_fma_f64 v[54:55], -v[26:27], v[74:75], v[54:55]
	v_fmac_f64_e32 v[38:39], v[56:57], v[74:75]
	v_cvt_f64_f32_e32 v[26:27], v28
	v_cvt_f64_f32_e32 v[28:29], v29
	v_fmac_f64_e32 v[54:55], v[26:27], v[68:69]
	v_fmac_f64_e32 v[38:39], v[28:29], v[68:69]
	v_fma_f64 v[54:55], -v[28:29], v[70:71], v[54:55]
	v_fmac_f64_e32 v[38:39], v[26:27], v[70:71]
	;; [unrolled: 6-line block ×3, first 2 shown]
	v_cvt_f64_f32_e32 v[26:27], v24
	v_cvt_f64_f32_e32 v[24:25], v25
	v_fmac_f64_e32 v[44:45], v[62:63], v[10:11]
	v_fmac_f64_e32 v[28:29], v[26:27], v[10:11]
	;; [unrolled: 1-line block ×4, first 2 shown]
	v_fma_f64 v[22:23], -v[24:25], v[12:13], v[28:29]
	v_fmac_f64_e32 v[38:39], v[26:27], v[12:13]
	global_load_dwordx4 v[24:27], v[48:49], off offset:112
	global_load_dwordx4 v[54:57], v[48:49], off offset:96
	;; [unrolled: 1-line block ×4, first 2 shown]
	global_load_dword v1, v[52:53], off offset:-256
	s_waitcnt vmcnt(1)
	v_cvt_f64_f32_e32 v[28:29], v64
	v_cvt_f64_f32_e32 v[64:65], v65
	v_fmac_f64_e32 v[58:59], v[28:29], v[72:73]
	v_fmac_f64_e32 v[34:35], v[64:65], v[72:73]
	v_fma_f64 v[58:59], -v[64:65], v[74:75], v[58:59]
	v_fmac_f64_e32 v[34:35], v[28:29], v[74:75]
	v_cvt_f64_f32_e32 v[28:29], v66
	v_cvt_f64_f32_e32 v[64:65], v67
	v_fmac_f64_e32 v[58:59], v[28:29], v[68:69]
	v_fmac_f64_e32 v[34:35], v[64:65], v[68:69]
	v_fma_f64 v[58:59], -v[64:65], v[70:71], v[58:59]
	v_fmac_f64_e32 v[34:35], v[28:29], v[70:71]
	;; [unrolled: 6-line block ×3, first 2 shown]
	v_cvt_f64_f32_e32 v[60:61], v63
	v_cvt_f64_f32_e32 v[28:29], v62
	v_fmac_f64_e32 v[34:35], v[60:61], v[10:11]
	v_fmac_f64_e32 v[58:59], v[28:29], v[10:11]
	;; [unrolled: 1-line block ×3, first 2 shown]
	v_cvt_f64_f32_e32 v[28:29], v54
	v_cvt_f64_f32_e32 v[54:55], v55
	v_fmac_f64_e32 v[18:19], v[28:29], v[72:73]
	v_fmac_f64_e32 v[32:33], v[54:55], v[72:73]
	v_fma_f64 v[18:19], -v[54:55], v[74:75], v[18:19]
	v_fmac_f64_e32 v[32:33], v[28:29], v[74:75]
	v_cvt_f64_f32_e32 v[28:29], v56
	v_cvt_f64_f32_e32 v[54:55], v57
	v_fmac_f64_e32 v[18:19], v[28:29], v[68:69]
	v_fmac_f64_e32 v[32:33], v[54:55], v[68:69]
	v_fma_f64 v[18:19], -v[54:55], v[70:71], v[18:19]
	v_fmac_f64_e32 v[32:33], v[28:29], v[70:71]
	v_cvt_f64_f32_e32 v[28:29], v24
	v_cvt_f64_f32_e32 v[24:25], v25
	v_fmac_f64_e32 v[18:19], v[28:29], v[14:15]
	v_fma_f64 v[18:19], -v[24:25], v[16:17], v[18:19]
	v_fmac_f64_e32 v[32:33], v[24:25], v[14:15]
	v_cvt_f64_f32_e32 v[14:15], v26
	v_fmac_f64_e32 v[32:33], v[28:29], v[16:17]
	v_cvt_f64_f32_e32 v[16:17], v27
	v_fmac_f64_e32 v[18:19], v[14:15], v[10:11]
	s_waitcnt vmcnt(0)
	v_subrev_u32_e32 v1, s12, v1
	v_fma_f64 v[28:29], -v[16:17], v[12:13], v[18:19]
	v_lshlrev_b32_e32 v18, 2, v1
	v_fma_f64 v[76:77], -v[60:61], v[12:13], v[58:59]
	v_add_co_u32_e32 v58, vcc, s13, v48
	v_ashrrev_i32_e32 v19, 31, v18
	v_fmac_f64_e32 v[32:33], v[16:17], v[10:11]
	v_addc_co_u32_e32 v59, vcc, 0, v49, vcc
	v_lshl_add_u64 v[18:19], v[18:19], 4, s[4:5]
	v_fmac_f64_e32 v[32:33], v[14:15], v[12:13]
	v_lshl_add_u64 v[74:75], v[48:49], 0, s[16:17]
	global_load_dwordx4 v[10:13], v[58:59], off
	global_load_dwordx4 v[14:17], v[74:75], off offset:48
	global_load_dwordx4 v[24:27], v[74:75], off offset:32
	;; [unrolled: 1-line block ×3, first 2 shown]
	s_nop 0
	global_load_dwordx4 v[58:61], v[18:19], off offset:48
	global_load_dwordx4 v[62:65], v[18:19], off offset:32
	;; [unrolled: 1-line block ×3, first 2 shown]
	global_load_dwordx4 v[70:73], v[18:19], off
	s_waitcnt vmcnt(7)
	v_cvt_f64_f32_e32 v[78:79], v10
	v_cvt_f64_f32_e32 v[10:11], v11
	s_waitcnt vmcnt(0)
	v_fmac_f64_e32 v[20:21], v[78:79], v[70:71]
	v_fmac_f64_e32 v[44:45], v[10:11], v[70:71]
	v_fma_f64 v[18:19], -v[10:11], v[72:73], v[20:21]
	v_fmac_f64_e32 v[44:45], v[78:79], v[72:73]
	v_cvt_f64_f32_e32 v[10:11], v12
	v_cvt_f64_f32_e32 v[12:13], v13
	v_fmac_f64_e32 v[18:19], v[10:11], v[66:67]
	v_fmac_f64_e32 v[44:45], v[12:13], v[66:67]
	v_fma_f64 v[18:19], -v[12:13], v[68:69], v[18:19]
	v_fmac_f64_e32 v[44:45], v[10:11], v[68:69]
	v_cvt_f64_f32_e32 v[10:11], v54
	v_cvt_f64_f32_e32 v[12:13], v55
	;; [unrolled: 6-line block ×6, first 2 shown]
	v_fmac_f64_e32 v[20:21], v[12:13], v[62:63]
	v_fma_f64 v[18:19], -v[14:15], v[64:65], v[20:21]
	v_fmac_f64_e32 v[38:39], v[14:15], v[62:63]
	v_cvt_f64_f32_e32 v[14:15], v16
	v_fmac_f64_e32 v[38:39], v[12:13], v[64:65]
	v_cvt_f64_f32_e32 v[16:17], v17
	v_fmac_f64_e32 v[18:19], v[14:15], v[58:59]
	v_fma_f64 v[12:13], -v[16:17], v[60:61], v[18:19]
	v_fmac_f64_e32 v[38:39], v[16:17], v[58:59]
	global_load_dwordx4 v[16:19], v[74:75], off offset:112
	global_load_dwordx4 v[20:23], v[74:75], off offset:96
	;; [unrolled: 1-line block ×4, first 2 shown]
	global_load_dword v1, v[52:53], off
	v_fmac_f64_e32 v[38:39], v[14:15], v[60:61]
	s_waitcnt vmcnt(1)
	v_cvt_f64_f32_e32 v[14:15], v54
	v_cvt_f64_f32_e32 v[54:55], v55
	v_fmac_f64_e32 v[76:77], v[14:15], v[70:71]
	v_fmac_f64_e32 v[34:35], v[54:55], v[70:71]
	v_fma_f64 v[74:75], -v[54:55], v[72:73], v[76:77]
	v_fmac_f64_e32 v[34:35], v[14:15], v[72:73]
	v_cvt_f64_f32_e32 v[14:15], v56
	v_cvt_f64_f32_e32 v[54:55], v57
	v_fmac_f64_e32 v[74:75], v[14:15], v[66:67]
	v_fmac_f64_e32 v[34:35], v[54:55], v[66:67]
	v_fma_f64 v[56:57], -v[54:55], v[68:69], v[74:75]
	v_fmac_f64_e32 v[34:35], v[14:15], v[68:69]
	v_cvt_f64_f32_e32 v[14:15], v24
	v_cvt_f64_f32_e32 v[24:25], v25
	v_fmac_f64_e32 v[56:57], v[14:15], v[62:63]
	v_fmac_f64_e32 v[34:35], v[24:25], v[62:63]
	v_fma_f64 v[54:55], -v[24:25], v[64:65], v[56:57]
	v_fmac_f64_e32 v[34:35], v[14:15], v[64:65]
	v_cvt_f64_f32_e32 v[24:25], v26
	v_cvt_f64_f32_e32 v[26:27], v27
	v_fmac_f64_e32 v[34:35], v[26:27], v[58:59]
	v_fmac_f64_e32 v[54:55], v[24:25], v[58:59]
	;; [unrolled: 1-line block ×3, first 2 shown]
	v_cvt_f64_f32_e32 v[24:25], v20
	v_cvt_f64_f32_e32 v[20:21], v21
	v_fmac_f64_e32 v[28:29], v[24:25], v[70:71]
	v_fmac_f64_e32 v[32:33], v[20:21], v[70:71]
	v_fma_f64 v[14:15], -v[26:27], v[60:61], v[54:55]
	v_fma_f64 v[26:27], -v[20:21], v[72:73], v[28:29]
	v_fmac_f64_e32 v[32:33], v[24:25], v[72:73]
	v_cvt_f64_f32_e32 v[20:21], v22
	v_cvt_f64_f32_e32 v[22:23], v23
	v_fmac_f64_e32 v[26:27], v[20:21], v[66:67]
	v_fmac_f64_e32 v[32:33], v[22:23], v[66:67]
	v_fma_f64 v[24:25], -v[22:23], v[68:69], v[26:27]
	v_fmac_f64_e32 v[32:33], v[20:21], v[68:69]
	v_cvt_f64_f32_e32 v[20:21], v16
	v_cvt_f64_f32_e32 v[16:17], v17
	v_fmac_f64_e32 v[24:25], v[20:21], v[62:63]
	v_fmac_f64_e32 v[32:33], v[16:17], v[62:63]
	v_fma_f64 v[22:23], -v[16:17], v[64:65], v[24:25]
	v_fmac_f64_e32 v[32:33], v[20:21], v[64:65]
	v_cvt_f64_f32_e32 v[20:21], v18
	v_cvt_f64_f32_e32 v[18:19], v19
	s_waitcnt vmcnt(0)
	v_subrev_u32_e32 v1, s12, v1
	v_fmac_f64_e32 v[22:23], v[20:21], v[58:59]
	v_fmac_f64_e32 v[32:33], v[18:19], v[58:59]
	v_lshlrev_b32_e32 v58, 2, v1
	v_add_co_u32_e32 v62, vcc, s28, v48
	v_ashrrev_i32_e32 v59, 31, v58
	s_nop 0
	v_addc_co_u32_e32 v63, vcc, 0, v49, vcc
	v_lshl_add_u64 v[58:59], v[58:59], 4, s[4:5]
	v_fma_f64 v[16:17], -v[18:19], v[60:61], v[22:23]
	v_fmac_f64_e32 v[32:33], v[20:21], v[60:61]
	v_lshl_add_u64 v[60:61], v[48:49], 0, s[18:19]
	global_load_dwordx4 v[18:21], v[62:63], off
	global_load_dwordx4 v[22:25], v[60:61], off offset:48
	global_load_dwordx4 v[54:57], v[60:61], off offset:32
	;; [unrolled: 1-line block ×3, first 2 shown]
	s_nop 0
	global_load_dwordx4 v[62:65], v[58:59], off offset:48
	global_load_dwordx4 v[66:69], v[58:59], off offset:32
	;; [unrolled: 1-line block ×3, first 2 shown]
	global_load_dwordx4 v[74:77], v[58:59], off
	s_waitcnt vmcnt(7)
	v_cvt_f64_f32_e32 v[78:79], v18
	v_cvt_f64_f32_e32 v[18:19], v19
	s_waitcnt vmcnt(0)
	v_fmac_f64_e32 v[10:11], v[78:79], v[74:75]
	v_fmac_f64_e32 v[44:45], v[18:19], v[74:75]
	v_fma_f64 v[10:11], -v[18:19], v[76:77], v[10:11]
	v_fmac_f64_e32 v[44:45], v[78:79], v[76:77]
	v_cvt_f64_f32_e32 v[18:19], v20
	v_cvt_f64_f32_e32 v[20:21], v21
	v_fmac_f64_e32 v[10:11], v[18:19], v[70:71]
	v_fmac_f64_e32 v[44:45], v[20:21], v[70:71]
	v_fma_f64 v[10:11], -v[20:21], v[72:73], v[10:11]
	v_fmac_f64_e32 v[44:45], v[18:19], v[72:73]
	v_cvt_f64_f32_e32 v[18:19], v26
	v_cvt_f64_f32_e32 v[20:21], v27
	v_fmac_f64_e32 v[10:11], v[18:19], v[66:67]
	v_fmac_f64_e32 v[44:45], v[20:21], v[66:67]
	v_fma_f64 v[10:11], -v[20:21], v[68:69], v[10:11]
	v_fmac_f64_e32 v[44:45], v[18:19], v[68:69]
	v_cvt_f64_f32_e32 v[18:19], v28
	v_cvt_f64_f32_e32 v[20:21], v29
	v_fmac_f64_e32 v[10:11], v[18:19], v[62:63]
	v_fmac_f64_e32 v[44:45], v[20:21], v[62:63]
	v_fma_f64 v[26:27], -v[20:21], v[64:65], v[10:11]
	v_fmac_f64_e32 v[44:45], v[18:19], v[64:65]
	v_cvt_f64_f32_e32 v[10:11], v54
	v_cvt_f64_f32_e32 v[18:19], v55
	v_fmac_f64_e32 v[12:13], v[10:11], v[74:75]
	v_fmac_f64_e32 v[38:39], v[18:19], v[74:75]
	v_fma_f64 v[12:13], -v[18:19], v[76:77], v[12:13]
	v_fmac_f64_e32 v[38:39], v[10:11], v[76:77]
	v_cvt_f64_f32_e32 v[10:11], v56
	v_cvt_f64_f32_e32 v[18:19], v57
	v_fmac_f64_e32 v[12:13], v[10:11], v[70:71]
	v_fmac_f64_e32 v[38:39], v[18:19], v[70:71]
	v_fma_f64 v[12:13], -v[18:19], v[72:73], v[12:13]
	v_fmac_f64_e32 v[38:39], v[10:11], v[72:73]
	v_cvt_f64_f32_e32 v[10:11], v22
	v_cvt_f64_f32_e32 v[18:19], v23
	v_fmac_f64_e32 v[12:13], v[10:11], v[66:67]
	v_fmac_f64_e32 v[38:39], v[18:19], v[66:67]
	v_fma_f64 v[12:13], -v[18:19], v[68:69], v[12:13]
	v_fmac_f64_e32 v[38:39], v[10:11], v[68:69]
	v_cvt_f64_f32_e32 v[10:11], v24
	v_cvt_f64_f32_e32 v[18:19], v25
	v_fmac_f64_e32 v[12:13], v[10:11], v[62:63]
	v_fmac_f64_e32 v[38:39], v[18:19], v[62:63]
	v_fma_f64 v[28:29], -v[18:19], v[64:65], v[12:13]
	v_fmac_f64_e32 v[38:39], v[10:11], v[64:65]
	global_load_dwordx4 v[10:13], v[60:61], off offset:112
	global_load_dwordx4 v[18:21], v[60:61], off offset:96
	;; [unrolled: 1-line block ×4, first 2 shown]
	global_load_dword v1, v[52:53], off offset:256
	v_lshl_add_u64 v[52:53], v[52:53], 0, s[24:25]
	s_waitcnt vmcnt(1)
	v_cvt_f64_f32_e32 v[58:59], v54
	v_cvt_f64_f32_e32 v[54:55], v55
	v_fmac_f64_e32 v[14:15], v[58:59], v[74:75]
	v_fmac_f64_e32 v[34:35], v[54:55], v[74:75]
	v_fma_f64 v[14:15], -v[54:55], v[76:77], v[14:15]
	v_fmac_f64_e32 v[34:35], v[58:59], v[76:77]
	v_cvt_f64_f32_e32 v[54:55], v56
	v_cvt_f64_f32_e32 v[56:57], v57
	v_fmac_f64_e32 v[14:15], v[54:55], v[70:71]
	v_fmac_f64_e32 v[34:35], v[56:57], v[70:71]
	v_fma_f64 v[14:15], -v[56:57], v[72:73], v[14:15]
	v_fmac_f64_e32 v[34:35], v[54:55], v[72:73]
	v_cvt_f64_f32_e32 v[54:55], v22
	v_cvt_f64_f32_e32 v[22:23], v23
	v_fmac_f64_e32 v[14:15], v[54:55], v[66:67]
	v_fma_f64 v[14:15], -v[22:23], v[68:69], v[14:15]
	v_fmac_f64_e32 v[34:35], v[22:23], v[66:67]
	v_cvt_f64_f32_e32 v[22:23], v24
	v_cvt_f64_f32_e32 v[24:25], v25
	v_fmac_f64_e32 v[14:15], v[22:23], v[62:63]
	v_fma_f64 v[58:59], -v[24:25], v[64:65], v[14:15]
	v_cvt_f64_f32_e32 v[14:15], v18
	v_cvt_f64_f32_e32 v[18:19], v19
	v_fmac_f64_e32 v[16:17], v[14:15], v[74:75]
	v_fmac_f64_e32 v[32:33], v[18:19], v[74:75]
	v_fma_f64 v[16:17], -v[18:19], v[76:77], v[16:17]
	v_fmac_f64_e32 v[32:33], v[14:15], v[76:77]
	v_cvt_f64_f32_e32 v[14:15], v20
	v_cvt_f64_f32_e32 v[18:19], v21
	v_fmac_f64_e32 v[16:17], v[14:15], v[70:71]
	v_fmac_f64_e32 v[32:33], v[18:19], v[70:71]
	v_fma_f64 v[16:17], -v[18:19], v[72:73], v[16:17]
	v_fmac_f64_e32 v[32:33], v[14:15], v[72:73]
	;; [unrolled: 6-line block ×3, first 2 shown]
	v_cvt_f64_f32_e32 v[10:11], v12
	v_cvt_f64_f32_e32 v[12:13], v13
	v_fmac_f64_e32 v[32:33], v[12:13], v[62:63]
	s_waitcnt vmcnt(0)
	v_subrev_u32_e32 v1, s12, v1
	v_fmac_f64_e32 v[16:17], v[10:11], v[62:63]
	v_fmac_f64_e32 v[32:33], v[10:11], v[64:65]
	v_lshlrev_b32_e32 v10, 2, v1
	v_fmac_f64_e32 v[34:35], v[54:55], v[68:69]
	v_fma_f64 v[60:61], -v[12:13], v[64:65], v[16:17]
	v_add_co_u32_e32 v12, vcc, s29, v48
	v_ashrrev_i32_e32 v11, 31, v10
	v_fmac_f64_e32 v[34:35], v[24:25], v[62:63]
	v_addc_co_u32_e32 v13, vcc, 0, v49, vcc
	v_lshl_add_u64 v[78:79], v[10:11], 4, s[4:5]
	v_fmac_f64_e32 v[34:35], v[22:23], v[64:65]
	v_lshl_add_u64 v[62:63], v[48:49], 0, s[20:21]
	global_load_dwordx4 v[54:57], v[12:13], off
	global_load_dwordx4 v[64:67], v[62:63], off offset:48
	global_load_dwordx4 v[68:71], v[62:63], off offset:32
	;; [unrolled: 1-line block ×3, first 2 shown]
	s_nop 0
	global_load_dwordx4 v[10:13], v[78:79], off offset:48
	global_load_dwordx4 v[14:17], v[78:79], off offset:32
	;; [unrolled: 1-line block ×3, first 2 shown]
	global_load_dwordx4 v[22:25], v[78:79], off
	v_cmp_ge_i64_e32 vcc, v[50:51], v[40:41]
	v_lshl_add_u64 v[48:49], v[48:49], 0, s[26:27]
	s_or_b64 s[14:15], vcc, s[14:15]
	s_waitcnt vmcnt(7)
	v_cvt_f64_f32_e32 v[76:77], v54
	v_cvt_f64_f32_e32 v[54:55], v55
	s_waitcnt vmcnt(0)
	v_fmac_f64_e32 v[26:27], v[76:77], v[22:23]
	v_fmac_f64_e32 v[44:45], v[54:55], v[22:23]
	v_fma_f64 v[26:27], -v[54:55], v[24:25], v[26:27]
	v_fmac_f64_e32 v[44:45], v[76:77], v[24:25]
	v_cvt_f64_f32_e32 v[54:55], v56
	v_cvt_f64_f32_e32 v[56:57], v57
	v_fmac_f64_e32 v[26:27], v[54:55], v[18:19]
	v_fmac_f64_e32 v[44:45], v[56:57], v[18:19]
	v_fma_f64 v[26:27], -v[56:57], v[20:21], v[26:27]
	v_fmac_f64_e32 v[44:45], v[54:55], v[20:21]
	v_cvt_f64_f32_e32 v[54:55], v72
	v_cvt_f64_f32_e32 v[56:57], v73
	;; [unrolled: 6-line block ×7, first 2 shown]
	v_fmac_f64_e32 v[28:29], v[26:27], v[10:11]
	v_fmac_f64_e32 v[38:39], v[64:65], v[10:11]
	v_fma_f64 v[54:55], -v[64:65], v[12:13], v[28:29]
	v_fmac_f64_e32 v[38:39], v[26:27], v[12:13]
	global_load_dwordx4 v[26:29], v[62:63], off offset:112
	global_load_dwordx4 v[64:67], v[62:63], off offset:96
	;; [unrolled: 1-line block ×4, first 2 shown]
	s_waitcnt vmcnt(0)
	v_cvt_f64_f32_e32 v[62:63], v72
	v_cvt_f64_f32_e32 v[72:73], v73
	v_fmac_f64_e32 v[58:59], v[62:63], v[22:23]
	v_fmac_f64_e32 v[34:35], v[72:73], v[22:23]
	v_fma_f64 v[58:59], -v[72:73], v[24:25], v[58:59]
	v_fmac_f64_e32 v[34:35], v[62:63], v[24:25]
	v_cvt_f64_f32_e32 v[62:63], v74
	v_cvt_f64_f32_e32 v[72:73], v75
	v_fmac_f64_e32 v[58:59], v[62:63], v[18:19]
	v_fmac_f64_e32 v[34:35], v[72:73], v[18:19]
	v_fma_f64 v[58:59], -v[72:73], v[20:21], v[58:59]
	v_fmac_f64_e32 v[34:35], v[62:63], v[20:21]
	v_cvt_f64_f32_e32 v[62:63], v68
	v_cvt_f64_f32_e32 v[68:69], v69
	v_fmac_f64_e32 v[58:59], v[62:63], v[14:15]
	v_fmac_f64_e32 v[34:35], v[68:69], v[14:15]
	v_fma_f64 v[58:59], -v[68:69], v[16:17], v[58:59]
	v_fmac_f64_e32 v[34:35], v[62:63], v[16:17]
	v_cvt_f64_f32_e32 v[68:69], v71
	v_cvt_f64_f32_e32 v[62:63], v70
	v_fmac_f64_e32 v[34:35], v[68:69], v[10:11]
	v_fmac_f64_e32 v[58:59], v[62:63], v[10:11]
	;; [unrolled: 1-line block ×3, first 2 shown]
	v_cvt_f64_f32_e32 v[62:63], v64
	v_cvt_f64_f32_e32 v[64:65], v65
	v_fmac_f64_e32 v[60:61], v[62:63], v[22:23]
	v_fmac_f64_e32 v[32:33], v[64:65], v[22:23]
	v_fma_f64 v[60:61], -v[64:65], v[24:25], v[60:61]
	v_fmac_f64_e32 v[32:33], v[62:63], v[24:25]
	v_cvt_f64_f32_e32 v[22:23], v66
	v_cvt_f64_f32_e32 v[24:25], v67
	v_fmac_f64_e32 v[60:61], v[22:23], v[18:19]
	v_fmac_f64_e32 v[32:33], v[24:25], v[18:19]
	v_fma_f64 v[60:61], -v[24:25], v[20:21], v[60:61]
	v_fmac_f64_e32 v[32:33], v[22:23], v[20:21]
	;; [unrolled: 6-line block ×3, first 2 shown]
	v_cvt_f64_f32_e32 v[14:15], v28
	v_cvt_f64_f32_e32 v[16:17], v29
	v_fmac_f64_e32 v[22:23], v[14:15], v[10:11]
	v_fmac_f64_e32 v[32:33], v[16:17], v[10:11]
	v_fma_f64 v[58:59], -v[68:69], v[12:13], v[58:59]
	v_fma_f64 v[18:19], -v[16:17], v[12:13], v[22:23]
	v_fmac_f64_e32 v[32:33], v[14:15], v[12:13]
	s_andn2_b64 exec, exec, s[14:15]
	s_cbranch_execnz .LBB174_19
; %bb.20:
	s_or_b64 exec, exec, s[14:15]
.LBB174_21:
	s_or_b64 exec, exec, s[10:11]
.LBB174_22:
	s_or_b64 exec, exec, s[6:7]
	s_cbranch_execz .LBB174_24
	s_branch .LBB174_35
.LBB174_23:
                                        ; implicit-def: $vgpr44_vgpr45
                                        ; implicit-def: $vgpr56_vgpr57
                                        ; implicit-def: $vgpr38_vgpr39
                                        ; implicit-def: $vgpr54_vgpr55
                                        ; implicit-def: $vgpr34_vgpr35
                                        ; implicit-def: $vgpr58_vgpr59
                                        ; implicit-def: $vgpr32_vgpr33
                                        ; implicit-def: $vgpr18_vgpr19
.LBB174_24:
	v_mov_b64_e32 v[44:45], 0
	v_mov_b64_e32 v[56:57], 0
	;; [unrolled: 1-line block ×8, first 2 shown]
	s_and_saveexec_b64 s[6:7], s[2:3]
	s_cbranch_execz .LBB174_34
; %bb.25:
	v_or_b32_e32 v1, 64, v0
	v_subrev_co_u32_e32 v10, vcc, s12, v1
	v_not_b32_e32 v13, v47
	s_nop 0
	v_subb_co_u32_e64 v11, s[2:3], 0, 0, vcc
	v_lshl_add_u64 v[10:11], v[10:11], 0, v[46:47]
	v_cmp_gt_i64_e32 vcc, v[10:11], v[40:41]
	v_not_b32_e32 v12, v46
	v_mov_b64_e32 v[18:19], 0
	v_cndmask_b32_e32 v11, v41, v11, vcc
	v_cndmask_b32_e32 v10, v40, v10, vcc
	v_sub_co_u32_e32 v14, vcc, s12, v0
	v_mov_b64_e32 v[32:33], 0
	s_nop 0
	v_subb_co_u32_e64 v15, s[2:3], 0, 0, vcc
	v_lshl_add_u64 v[12:13], v[14:15], 0, v[12:13]
	v_lshl_add_u64 v[10:11], v[12:13], 0, v[10:11]
	v_and_b32_e32 v12, 0xc0, v10
	v_mov_b32_e32 v13, 0
	s_mov_b64 s[2:3], 0xc0
	v_cmp_ne_u64_e32 vcc, s[2:3], v[12:13]
	v_mov_b64_e32 v[58:59], 0
	v_mov_b64_e32 v[34:35], 0
	;; [unrolled: 1-line block ×6, first 2 shown]
	s_and_saveexec_b64 s[2:3], vcc
	s_cbranch_execz .LBB174_29
; %bb.26:
	v_lshrrev_b32_e32 v1, 6, v10
	v_add_u32_e32 v1, 1, v1
	v_and_b32_e32 v1, 3, v1
	v_sub_co_u32_e32 v14, vcc, 0, v1
	v_lshl_add_u64 v[12:13], v[36:37], 2, s[8:9]
	s_nop 0
	v_subb_co_u32_e64 v15, s[14:15], 0, 0, vcc
	s_mov_b64 s[10:11], 0
	v_mov_b64_e32 v[44:45], 0
	s_mov_b64 s[14:15], 0x2000
	s_mov_b64 s[16:17], 0x100
	v_mov_b64_e32 v[56:57], 0
	v_mov_b64_e32 v[38:39], 0
	;; [unrolled: 1-line block ×7, first 2 shown]
.LBB174_27:                             ; =>This Inner Loop Header: Depth=1
	global_load_dword v1, v[12:13], off
	global_load_dwordx4 v[20:23], v[42:43], off
	global_load_dwordx4 v[24:27], v[42:43], off offset:16
	global_load_dwordx4 v[46:49], v[42:43], off offset:32
	;; [unrolled: 1-line block ×7, first 2 shown]
	v_lshl_add_u64 v[14:15], v[14:15], 0, 1
	v_cmp_eq_u64_e32 vcc, 0, v[14:15]
	v_lshl_add_u64 v[42:43], v[42:43], 0, s[14:15]
	v_lshl_add_u64 v[36:37], v[36:37], 0, 64
	;; [unrolled: 1-line block ×3, first 2 shown]
	s_or_b64 s[10:11], vcc, s[10:11]
	s_waitcnt vmcnt(8)
	v_subrev_u32_e32 v1, s12, v1
	s_waitcnt vmcnt(7)
	v_cvt_f64_f32_e32 v[16:17], v20
	v_lshlrev_b32_e32 v20, 2, v1
	v_cvt_f64_f32_e32 v[28:29], v21
	v_ashrrev_i32_e32 v21, 31, v20
	s_waitcnt lgkmcnt(0)
	v_lshl_add_u64 v[104:105], v[20:21], 4, s[4:5]
	v_cvt_f64_f32_e32 v[80:81], v22
	v_cvt_f64_f32_e32 v[82:83], v23
	s_waitcnt vmcnt(6)
	v_cvt_f64_f32_e32 v[84:85], v24
	v_cvt_f64_f32_e32 v[86:87], v25
	;; [unrolled: 1-line block ×4, first 2 shown]
	s_waitcnt vmcnt(5)
	v_cvt_f64_f32_e32 v[92:93], v46
	v_cvt_f64_f32_e32 v[94:95], v47
	;; [unrolled: 1-line block ×4, first 2 shown]
	global_load_dwordx4 v[20:23], v[104:105], off
	global_load_dwordx4 v[24:27], v[104:105], off offset:16
	global_load_dwordx4 v[46:49], v[104:105], off offset:32
	global_load_dwordx4 v[76:79], v[104:105], off offset:48
	s_waitcnt vmcnt(8)
	v_cvt_f64_f32_e32 v[100:101], v50
	v_cvt_f64_f32_e32 v[50:51], v51
	v_cvt_f64_f32_e32 v[102:103], v52
	v_cvt_f64_f32_e32 v[52:53], v53
	s_waitcnt vmcnt(7)
	v_cvt_f64_f32_e32 v[104:105], v60
	v_cvt_f64_f32_e32 v[60:61], v61
	v_cvt_f64_f32_e32 v[106:107], v62
	v_cvt_f64_f32_e32 v[62:63], v63
	;; [unrolled: 5-line block ×5, first 2 shown]
	s_waitcnt vmcnt(3)
	v_fmac_f64_e32 v[56:57], v[16:17], v[20:21]
	v_fmac_f64_e32 v[44:45], v[28:29], v[20:21]
	v_fmac_f64_e32 v[54:55], v[80:81], v[20:21]
	v_fmac_f64_e32 v[38:39], v[82:83], v[20:21]
	v_fmac_f64_e32 v[58:59], v[84:85], v[20:21]
	v_fmac_f64_e32 v[34:35], v[86:87], v[20:21]
	v_fmac_f64_e32 v[18:19], v[88:89], v[20:21]
	v_fmac_f64_e32 v[32:33], v[90:91], v[20:21]
	v_fma_f64 v[20:21], -v[28:29], v[22:23], v[56:57]
	v_fmac_f64_e32 v[44:45], v[16:17], v[22:23]
	v_fma_f64 v[16:17], -v[82:83], v[22:23], v[54:55]
	v_fmac_f64_e32 v[38:39], v[80:81], v[22:23]
	v_fma_f64 v[28:29], -v[86:87], v[22:23], v[58:59]
	v_fmac_f64_e32 v[34:35], v[84:85], v[22:23]
	v_fma_f64 v[18:19], -v[90:91], v[22:23], v[18:19]
	v_fmac_f64_e32 v[32:33], v[88:89], v[22:23]
	s_waitcnt vmcnt(2)
	v_fmac_f64_e32 v[20:21], v[92:93], v[24:25]
	v_fmac_f64_e32 v[44:45], v[94:95], v[24:25]
	v_fmac_f64_e32 v[16:17], v[96:97], v[24:25]
	v_fmac_f64_e32 v[38:39], v[98:99], v[24:25]
	v_fmac_f64_e32 v[28:29], v[100:101], v[24:25]
	v_fmac_f64_e32 v[34:35], v[50:51], v[24:25]
	v_fmac_f64_e32 v[18:19], v[102:103], v[24:25]
	v_fmac_f64_e32 v[32:33], v[52:53], v[24:25]
	v_fma_f64 v[20:21], -v[94:95], v[26:27], v[20:21]
	v_fmac_f64_e32 v[44:45], v[92:93], v[26:27]
	v_fma_f64 v[16:17], -v[98:99], v[26:27], v[16:17]
	v_fmac_f64_e32 v[38:39], v[96:97], v[26:27]
	v_fma_f64 v[22:23], -v[50:51], v[26:27], v[28:29]
	v_fmac_f64_e32 v[34:35], v[100:101], v[26:27]
	v_fma_f64 v[18:19], -v[52:53], v[26:27], v[18:19]
	v_fmac_f64_e32 v[32:33], v[102:103], v[26:27]
	;; [unrolled: 17-line block ×4, first 2 shown]
	s_andn2_b64 exec, exec, s[10:11]
	s_cbranch_execnz .LBB174_27
; %bb.28:
	s_or_b64 exec, exec, s[10:11]
.LBB174_29:
	s_or_b64 exec, exec, s[2:3]
	s_mov_b64 s[2:3], 0xbf
	v_cmp_lt_u64_e32 vcc, s[2:3], v[10:11]
	s_and_saveexec_b64 s[2:3], vcc
	s_cbranch_execz .LBB174_33
; %bb.30:
	v_lshl_add_u64 v[10:11], v[36:37], 2, s[8:9]
	s_mov_b64 s[8:9], 0x200
	v_lshl_add_u64 v[22:23], v[10:11], 0, s[8:9]
	s_mov_b64 s[8:9], 0
	s_mov_b64 s[10:11], 0x2000
	s_movk_i32 s13, 0x2000
	s_mov_b64 s[14:15], 0x4000
	s_movk_i32 s24, 0x4000
	;; [unrolled: 2-line block ×3, first 2 shown]
	s_mov_b64 s[18:19], 0x100
	s_mov_b64 s[20:21], 0x400
	;; [unrolled: 1-line block ×3, first 2 shown]
.LBB174_31:                             ; =>This Inner Loop Header: Depth=1
	global_load_dword v1, v[22:23], off offset:-512
	global_load_dwordx4 v[14:17], v[42:43], off offset:48
	global_load_dwordx4 v[24:27], v[42:43], off offset:32
	;; [unrolled: 1-line block ×3, first 2 shown]
	global_load_dwordx4 v[50:53], v[42:43], off
	v_lshl_add_u64 v[36:37], v[36:37], 0, s[18:19]
	s_waitcnt vmcnt(4)
	v_subrev_u32_e32 v1, s12, v1
	v_lshlrev_b32_e32 v10, 2, v1
	v_ashrrev_i32_e32 v11, 31, v10
	s_waitcnt vmcnt(0)
	v_cvt_f64_f32_e32 v[20:21], v50
	v_cvt_f64_f32_e32 v[28:29], v51
	s_waitcnt lgkmcnt(0)
	v_lshl_add_u64 v[50:51], v[10:11], 4, s[4:5]
	global_load_dwordx4 v[10:13], v[50:51], off offset:48
	global_load_dwordx4 v[60:63], v[50:51], off offset:32
	;; [unrolled: 1-line block ×3, first 2 shown]
	global_load_dwordx4 v[68:71], v[50:51], off
	s_waitcnt vmcnt(0)
	v_fmac_f64_e32 v[56:57], v[20:21], v[68:69]
	v_fma_f64 v[50:51], -v[28:29], v[70:71], v[56:57]
	v_fmac_f64_e32 v[44:45], v[28:29], v[68:69]
	v_cvt_f64_f32_e32 v[28:29], v53
	v_fmac_f64_e32 v[44:45], v[20:21], v[70:71]
	v_cvt_f64_f32_e32 v[20:21], v52
	v_fmac_f64_e32 v[38:39], v[28:29], v[68:69]
	v_fmac_f64_e32 v[54:55], v[20:21], v[68:69]
	;; [unrolled: 1-line block ×3, first 2 shown]
	v_cvt_f64_f32_e32 v[20:21], v46
	v_fma_f64 v[52:53], -v[28:29], v[70:71], v[54:55]
	v_cvt_f64_f32_e32 v[28:29], v47
	v_fmac_f64_e32 v[58:59], v[20:21], v[68:69]
	v_fma_f64 v[46:47], -v[28:29], v[70:71], v[58:59]
	v_fmac_f64_e32 v[34:35], v[28:29], v[68:69]
	v_cvt_f64_f32_e32 v[28:29], v49
	v_fmac_f64_e32 v[34:35], v[20:21], v[70:71]
	v_cvt_f64_f32_e32 v[20:21], v48
	v_fmac_f64_e32 v[32:33], v[28:29], v[68:69]
	v_fmac_f64_e32 v[18:19], v[20:21], v[68:69]
	;; [unrolled: 1-line block ×3, first 2 shown]
	v_cvt_f64_f32_e32 v[20:21], v24
	v_cvt_f64_f32_e32 v[24:25], v25
	v_fmac_f64_e32 v[50:51], v[20:21], v[64:65]
	v_fma_f64 v[18:19], -v[28:29], v[70:71], v[18:19]
	v_fma_f64 v[28:29], -v[24:25], v[66:67], v[50:51]
	v_fmac_f64_e32 v[44:45], v[24:25], v[64:65]
	v_cvt_f64_f32_e32 v[24:25], v27
	v_fmac_f64_e32 v[44:45], v[20:21], v[66:67]
	v_cvt_f64_f32_e32 v[20:21], v26
	v_fmac_f64_e32 v[38:39], v[24:25], v[64:65]
	v_fmac_f64_e32 v[52:53], v[20:21], v[64:65]
	;; [unrolled: 1-line block ×3, first 2 shown]
	v_cvt_f64_f32_e32 v[20:21], v14
	v_cvt_f64_f32_e32 v[14:15], v15
	v_fmac_f64_e32 v[46:47], v[20:21], v[64:65]
	v_fma_f64 v[50:51], -v[24:25], v[66:67], v[52:53]
	v_fma_f64 v[52:53], -v[14:15], v[66:67], v[46:47]
	v_fmac_f64_e32 v[34:35], v[14:15], v[64:65]
	v_cvt_f64_f32_e32 v[14:15], v16
	v_cvt_f64_f32_e32 v[16:17], v17
	v_fmac_f64_e32 v[18:19], v[14:15], v[64:65]
	v_fmac_f64_e32 v[32:33], v[16:17], v[64:65]
	;; [unrolled: 1-line block ×3, first 2 shown]
	v_fma_f64 v[54:55], -v[16:17], v[66:67], v[18:19]
	v_fmac_f64_e32 v[32:33], v[14:15], v[66:67]
	global_load_dwordx4 v[14:17], v[42:43], off offset:112
	global_load_dwordx4 v[18:21], v[42:43], off offset:96
	;; [unrolled: 1-line block ×4, first 2 shown]
	global_load_dword v1, v[22:23], off offset:-256
	v_lshl_add_u64 v[68:69], v[42:43], 0, s[10:11]
	s_waitcnt vmcnt(1)
	v_cvt_f64_f32_e32 v[56:57], v46
	v_cvt_f64_f32_e32 v[46:47], v47
	v_fmac_f64_e32 v[28:29], v[56:57], v[60:61]
	v_fma_f64 v[28:29], -v[46:47], v[62:63], v[28:29]
	v_fmac_f64_e32 v[44:45], v[46:47], v[60:61]
	v_cvt_f64_f32_e32 v[46:47], v48
	v_cvt_f64_f32_e32 v[48:49], v49
	v_fmac_f64_e32 v[38:39], v[48:49], v[60:61]
	v_fmac_f64_e32 v[50:51], v[46:47], v[60:61]
	;; [unrolled: 1-line block ×3, first 2 shown]
	v_cvt_f64_f32_e32 v[46:47], v24
	v_cvt_f64_f32_e32 v[24:25], v25
	v_fmac_f64_e32 v[52:53], v[46:47], v[60:61]
	v_fma_f64 v[50:51], -v[48:49], v[62:63], v[50:51]
	v_fma_f64 v[48:49], -v[24:25], v[62:63], v[52:53]
	v_fmac_f64_e32 v[34:35], v[24:25], v[60:61]
	v_cvt_f64_f32_e32 v[24:25], v26
	v_cvt_f64_f32_e32 v[26:27], v27
	v_fmac_f64_e32 v[32:33], v[26:27], v[60:61]
	v_fmac_f64_e32 v[54:55], v[24:25], v[60:61]
	;; [unrolled: 1-line block ×3, first 2 shown]
	v_cvt_f64_f32_e32 v[24:25], v18
	v_fmac_f64_e32 v[44:45], v[56:57], v[62:63]
	v_cvt_f64_f32_e32 v[18:19], v19
	v_fmac_f64_e32 v[28:29], v[24:25], v[10:11]
	v_fma_f64 v[28:29], -v[18:19], v[12:13], v[28:29]
	v_fmac_f64_e32 v[44:45], v[18:19], v[10:11]
	v_cvt_f64_f32_e32 v[18:19], v20
	v_cvt_f64_f32_e32 v[20:21], v21
	v_fmac_f64_e32 v[38:39], v[20:21], v[10:11]
	v_fmac_f64_e32 v[50:51], v[18:19], v[10:11]
	;; [unrolled: 1-line block ×3, first 2 shown]
	v_cvt_f64_f32_e32 v[18:19], v14
	v_fmac_f64_e32 v[34:35], v[46:47], v[62:63]
	v_cvt_f64_f32_e32 v[14:15], v15
	v_fmac_f64_e32 v[48:49], v[18:19], v[10:11]
	v_fma_f64 v[46:47], -v[26:27], v[62:63], v[54:55]
	v_fma_f64 v[64:65], -v[14:15], v[12:13], v[48:49]
	v_fmac_f64_e32 v[34:35], v[14:15], v[10:11]
	v_cvt_f64_f32_e32 v[14:15], v16
	v_cvt_f64_f32_e32 v[16:17], v17
	v_fmac_f64_e32 v[46:47], v[14:15], v[10:11]
	s_waitcnt vmcnt(0)
	v_subrev_u32_e32 v1, s12, v1
	v_fma_f64 v[66:67], -v[16:17], v[12:13], v[46:47]
	v_lshlrev_b32_e32 v46, 2, v1
	v_add_co_u32_e32 v48, vcc, s13, v42
	v_ashrrev_i32_e32 v47, 31, v46
	v_fmac_f64_e32 v[32:33], v[16:17], v[10:11]
	v_addc_co_u32_e32 v49, vcc, 0, v43, vcc
	v_lshl_add_u64 v[72:73], v[46:47], 4, s[4:5]
	v_fmac_f64_e32 v[44:45], v[24:25], v[12:13]
	v_fma_f64 v[62:63], -v[20:21], v[12:13], v[50:51]
	v_fmac_f64_e32 v[34:35], v[18:19], v[12:13]
	v_fmac_f64_e32 v[32:33], v[14:15], v[12:13]
	global_load_dwordx4 v[10:13], v[48:49], off
	global_load_dwordx4 v[14:17], v[68:69], off offset:48
	global_load_dwordx4 v[18:21], v[68:69], off offset:32
	;; [unrolled: 1-line block ×3, first 2 shown]
	s_nop 0
	global_load_dwordx4 v[46:49], v[72:73], off offset:48
	global_load_dwordx4 v[50:53], v[72:73], off offset:32
	;; [unrolled: 1-line block ×3, first 2 shown]
	global_load_dwordx4 v[58:61], v[72:73], off
	s_waitcnt vmcnt(7)
	v_cvt_f64_f32_e32 v[70:71], v10
	v_cvt_f64_f32_e32 v[10:11], v11
	s_waitcnt vmcnt(0)
	v_fmac_f64_e32 v[28:29], v[70:71], v[58:59]
	v_fma_f64 v[28:29], -v[10:11], v[60:61], v[28:29]
	v_fmac_f64_e32 v[44:45], v[10:11], v[58:59]
	v_cvt_f64_f32_e32 v[10:11], v12
	v_cvt_f64_f32_e32 v[12:13], v13
	v_fmac_f64_e32 v[62:63], v[10:11], v[58:59]
	v_fmac_f64_e32 v[38:39], v[12:13], v[58:59]
	v_fma_f64 v[62:63], -v[12:13], v[60:61], v[62:63]
	v_fmac_f64_e32 v[38:39], v[10:11], v[60:61]
	v_cvt_f64_f32_e32 v[10:11], v24
	v_cvt_f64_f32_e32 v[12:13], v25
	v_fmac_f64_e32 v[64:65], v[10:11], v[58:59]
	;; [unrolled: 6-line block ×3, first 2 shown]
	v_fmac_f64_e32 v[32:33], v[12:13], v[58:59]
	v_fmac_f64_e32 v[44:45], v[70:71], v[60:61]
	v_fma_f64 v[26:27], -v[12:13], v[60:61], v[66:67]
	v_fmac_f64_e32 v[32:33], v[10:11], v[60:61]
	v_cvt_f64_f32_e32 v[10:11], v18
	v_cvt_f64_f32_e32 v[12:13], v19
	v_fmac_f64_e32 v[28:29], v[10:11], v[54:55]
	v_fmac_f64_e32 v[44:45], v[12:13], v[54:55]
	v_fma_f64 v[28:29], -v[12:13], v[56:57], v[28:29]
	v_fmac_f64_e32 v[44:45], v[10:11], v[56:57]
	v_cvt_f64_f32_e32 v[10:11], v20
	v_cvt_f64_f32_e32 v[12:13], v21
	;; [unrolled: 6-line block ×4, first 2 shown]
	v_fmac_f64_e32 v[26:27], v[10:11], v[54:55]
	v_fmac_f64_e32 v[32:33], v[12:13], v[54:55]
	v_fma_f64 v[62:63], -v[12:13], v[56:57], v[26:27]
	v_fmac_f64_e32 v[32:33], v[10:11], v[56:57]
	global_load_dwordx4 v[14:17], v[68:69], off offset:112
	global_load_dwordx4 v[10:13], v[68:69], off offset:96
	;; [unrolled: 1-line block ×4, first 2 shown]
	global_load_dword v1, v[22:23], off
	v_lshl_add_u64 v[70:71], v[42:43], 0, s[14:15]
	s_waitcnt vmcnt(1)
	v_cvt_f64_f32_e32 v[54:55], v24
	v_cvt_f64_f32_e32 v[24:25], v25
	v_fmac_f64_e32 v[28:29], v[54:55], v[50:51]
	v_fma_f64 v[28:29], -v[24:25], v[52:53], v[28:29]
	v_fmac_f64_e32 v[44:45], v[24:25], v[50:51]
	v_cvt_f64_f32_e32 v[24:25], v26
	v_cvt_f64_f32_e32 v[26:27], v27
	v_fmac_f64_e32 v[38:39], v[26:27], v[50:51]
	v_fmac_f64_e32 v[58:59], v[24:25], v[50:51]
	;; [unrolled: 1-line block ×3, first 2 shown]
	v_cvt_f64_f32_e32 v[24:25], v18
	v_cvt_f64_f32_e32 v[18:19], v19
	v_fmac_f64_e32 v[60:61], v[24:25], v[50:51]
	v_fmac_f64_e32 v[44:45], v[54:55], v[52:53]
	v_fma_f64 v[54:55], -v[26:27], v[52:53], v[58:59]
	v_fma_f64 v[26:27], -v[18:19], v[52:53], v[60:61]
	v_fmac_f64_e32 v[34:35], v[18:19], v[50:51]
	v_cvt_f64_f32_e32 v[18:19], v20
	v_cvt_f64_f32_e32 v[20:21], v21
	v_fmac_f64_e32 v[62:63], v[18:19], v[50:51]
	v_fmac_f64_e32 v[32:33], v[20:21], v[50:51]
	;; [unrolled: 1-line block ×3, first 2 shown]
	v_fma_f64 v[24:25], -v[20:21], v[52:53], v[62:63]
	v_fmac_f64_e32 v[32:33], v[18:19], v[52:53]
	v_cvt_f64_f32_e32 v[18:19], v10
	v_cvt_f64_f32_e32 v[20:21], v11
	v_fmac_f64_e32 v[28:29], v[18:19], v[46:47]
	v_fmac_f64_e32 v[44:45], v[20:21], v[46:47]
	v_fma_f64 v[10:11], -v[20:21], v[48:49], v[28:29]
	v_fmac_f64_e32 v[44:45], v[18:19], v[48:49]
	v_cvt_f64_f32_e32 v[18:19], v12
	v_cvt_f64_f32_e32 v[20:21], v13
	v_fmac_f64_e32 v[54:55], v[18:19], v[46:47]
	v_fmac_f64_e32 v[38:39], v[20:21], v[46:47]
	v_fma_f64 v[12:13], -v[20:21], v[48:49], v[54:55]
	v_fmac_f64_e32 v[38:39], v[18:19], v[48:49]
	v_cvt_f64_f32_e32 v[18:19], v14
	v_cvt_f64_f32_e32 v[20:21], v15
	s_waitcnt vmcnt(0)
	v_subrev_u32_e32 v1, s12, v1
	v_fmac_f64_e32 v[26:27], v[18:19], v[46:47]
	v_fmac_f64_e32 v[34:35], v[20:21], v[46:47]
	v_lshlrev_b32_e32 v28, 2, v1
	v_fma_f64 v[14:15], -v[20:21], v[48:49], v[26:27]
	v_fmac_f64_e32 v[34:35], v[18:19], v[48:49]
	v_cvt_f64_f32_e32 v[18:19], v16
	v_cvt_f64_f32_e32 v[20:21], v17
	v_add_co_u32_e32 v54, vcc, s24, v42
	v_ashrrev_i32_e32 v29, 31, v28
	v_fmac_f64_e32 v[24:25], v[18:19], v[46:47]
	v_fmac_f64_e32 v[32:33], v[20:21], v[46:47]
	v_addc_co_u32_e32 v55, vcc, 0, v43, vcc
	v_lshl_add_u64 v[28:29], v[28:29], 4, s[4:5]
	v_fma_f64 v[16:17], -v[20:21], v[48:49], v[24:25]
	v_fmac_f64_e32 v[32:33], v[18:19], v[48:49]
	global_load_dwordx4 v[18:21], v[54:55], off
	global_load_dwordx4 v[24:27], v[70:71], off offset:48
	global_load_dwordx4 v[46:49], v[70:71], off offset:32
	;; [unrolled: 1-line block ×3, first 2 shown]
	s_nop 0
	global_load_dwordx4 v[54:57], v[28:29], off offset:48
	global_load_dwordx4 v[58:61], v[28:29], off offset:32
	;; [unrolled: 1-line block ×3, first 2 shown]
	global_load_dwordx4 v[66:69], v[28:29], off
	s_waitcnt vmcnt(7)
	v_cvt_f64_f32_e32 v[72:73], v18
	v_cvt_f64_f32_e32 v[18:19], v19
	s_waitcnt vmcnt(0)
	v_fmac_f64_e32 v[10:11], v[72:73], v[66:67]
	v_fma_f64 v[10:11], -v[18:19], v[68:69], v[10:11]
	v_fmac_f64_e32 v[44:45], v[18:19], v[66:67]
	v_cvt_f64_f32_e32 v[18:19], v20
	v_cvt_f64_f32_e32 v[20:21], v21
	v_fmac_f64_e32 v[12:13], v[18:19], v[66:67]
	v_fmac_f64_e32 v[38:39], v[20:21], v[66:67]
	v_fma_f64 v[12:13], -v[20:21], v[68:69], v[12:13]
	v_fmac_f64_e32 v[38:39], v[18:19], v[68:69]
	v_cvt_f64_f32_e32 v[18:19], v50
	v_cvt_f64_f32_e32 v[20:21], v51
	v_fmac_f64_e32 v[14:15], v[18:19], v[66:67]
	;; [unrolled: 6-line block ×3, first 2 shown]
	v_fmac_f64_e32 v[32:33], v[20:21], v[66:67]
	v_fmac_f64_e32 v[44:45], v[72:73], v[68:69]
	v_fma_f64 v[16:17], -v[20:21], v[68:69], v[16:17]
	v_fmac_f64_e32 v[32:33], v[18:19], v[68:69]
	v_cvt_f64_f32_e32 v[18:19], v46
	v_cvt_f64_f32_e32 v[20:21], v47
	v_fmac_f64_e32 v[10:11], v[18:19], v[62:63]
	v_fmac_f64_e32 v[44:45], v[20:21], v[62:63]
	v_fma_f64 v[28:29], -v[20:21], v[64:65], v[10:11]
	v_fmac_f64_e32 v[44:45], v[18:19], v[64:65]
	v_cvt_f64_f32_e32 v[10:11], v48
	v_cvt_f64_f32_e32 v[18:19], v49
	;; [unrolled: 6-line block ×4, first 2 shown]
	v_fmac_f64_e32 v[16:17], v[10:11], v[62:63]
	v_fmac_f64_e32 v[32:33], v[12:13], v[62:63]
	v_fma_f64 v[50:51], -v[12:13], v[64:65], v[16:17]
	v_fmac_f64_e32 v[32:33], v[10:11], v[64:65]
	global_load_dwordx4 v[10:13], v[70:71], off offset:112
	global_load_dwordx4 v[14:17], v[70:71], off offset:96
	;; [unrolled: 1-line block ×4, first 2 shown]
	global_load_dword v1, v[22:23], off offset:256
	v_lshl_add_u64 v[22:23], v[22:23], 0, s[20:21]
	s_waitcnt vmcnt(1)
	v_cvt_f64_f32_e32 v[52:53], v24
	v_cvt_f64_f32_e32 v[24:25], v25
	v_fmac_f64_e32 v[28:29], v[52:53], v[58:59]
	v_fma_f64 v[28:29], -v[24:25], v[60:61], v[28:29]
	v_fmac_f64_e32 v[44:45], v[24:25], v[58:59]
	v_cvt_f64_f32_e32 v[24:25], v26
	v_cvt_f64_f32_e32 v[26:27], v27
	v_fmac_f64_e32 v[38:39], v[26:27], v[58:59]
	v_fmac_f64_e32 v[46:47], v[24:25], v[58:59]
	;; [unrolled: 1-line block ×3, first 2 shown]
	v_cvt_f64_f32_e32 v[24:25], v18
	v_cvt_f64_f32_e32 v[18:19], v19
	v_fmac_f64_e32 v[48:49], v[24:25], v[58:59]
	v_fma_f64 v[46:47], -v[26:27], v[60:61], v[46:47]
	v_fma_f64 v[26:27], -v[18:19], v[60:61], v[48:49]
	v_fmac_f64_e32 v[34:35], v[18:19], v[58:59]
	v_cvt_f64_f32_e32 v[18:19], v20
	v_cvt_f64_f32_e32 v[20:21], v21
	v_fmac_f64_e32 v[50:51], v[18:19], v[58:59]
	v_fma_f64 v[48:49], -v[20:21], v[60:61], v[50:51]
	v_fmac_f64_e32 v[32:33], v[20:21], v[58:59]
	v_cvt_f64_f32_e32 v[20:21], v14
	v_fmac_f64_e32 v[44:45], v[52:53], v[60:61]
	v_cvt_f64_f32_e32 v[14:15], v15
	v_fmac_f64_e32 v[28:29], v[20:21], v[54:55]
	v_fmac_f64_e32 v[32:33], v[18:19], v[60:61]
	v_fma_f64 v[18:19], -v[14:15], v[56:57], v[28:29]
	v_fmac_f64_e32 v[44:45], v[14:15], v[54:55]
	v_cvt_f64_f32_e32 v[14:15], v16
	v_cvt_f64_f32_e32 v[16:17], v17
	v_fmac_f64_e32 v[38:39], v[16:17], v[54:55]
	v_fmac_f64_e32 v[46:47], v[14:15], v[54:55]
	;; [unrolled: 1-line block ×3, first 2 shown]
	v_cvt_f64_f32_e32 v[14:15], v10
	v_fmac_f64_e32 v[34:35], v[24:25], v[60:61]
	v_cvt_f64_f32_e32 v[10:11], v11
	v_fmac_f64_e32 v[26:27], v[14:15], v[54:55]
	v_fma_f64 v[24:25], -v[10:11], v[56:57], v[26:27]
	v_fmac_f64_e32 v[34:35], v[10:11], v[54:55]
	v_cvt_f64_f32_e32 v[10:11], v12
	v_cvt_f64_f32_e32 v[12:13], v13
	v_fmac_f64_e32 v[48:49], v[10:11], v[54:55]
	v_fma_f64 v[26:27], -v[12:13], v[56:57], v[48:49]
	v_fmac_f64_e32 v[32:33], v[12:13], v[54:55]
	v_add_co_u32_e32 v12, vcc, s25, v42
	v_fmac_f64_e32 v[44:45], v[20:21], v[56:57]
	s_nop 0
	v_addc_co_u32_e32 v13, vcc, 0, v43, vcc
	v_fma_f64 v[20:21], -v[16:17], v[56:57], v[46:47]
	v_fmac_f64_e32 v[34:35], v[14:15], v[56:57]
	v_fmac_f64_e32 v[32:33], v[10:11], v[56:57]
	v_lshl_add_u64 v[48:49], v[42:43], 0, s[16:17]
	global_load_dwordx4 v[50:53], v[12:13], off
	global_load_dwordx4 v[54:57], v[48:49], off offset:48
	global_load_dwordx4 v[58:61], v[48:49], off offset:32
	;; [unrolled: 1-line block ×3, first 2 shown]
	s_waitcnt vmcnt(4)
	v_subrev_u32_e32 v1, s12, v1
	v_lshlrev_b32_e32 v10, 2, v1
	v_ashrrev_i32_e32 v11, 31, v10
	v_cmp_ge_i64_e32 vcc, v[36:37], v[40:41]
	v_lshl_add_u64 v[42:43], v[42:43], 0, s[22:23]
	s_or_b64 s[8:9], vcc, s[8:9]
	s_waitcnt vmcnt(3)
	v_cvt_f64_f32_e32 v[28:29], v50
	v_cvt_f64_f32_e32 v[46:47], v51
	v_lshl_add_u64 v[50:51], v[10:11], 4, s[4:5]
	global_load_dwordx4 v[10:13], v[50:51], off offset:48
	global_load_dwordx4 v[14:17], v[50:51], off offset:32
	;; [unrolled: 1-line block ×3, first 2 shown]
	global_load_dwordx4 v[70:73], v[50:51], off
	s_waitcnt vmcnt(0)
	v_fmac_f64_e32 v[18:19], v[28:29], v[70:71]
	v_fmac_f64_e32 v[44:45], v[46:47], v[70:71]
	v_fma_f64 v[18:19], -v[46:47], v[72:73], v[18:19]
	v_fmac_f64_e32 v[44:45], v[28:29], v[72:73]
	v_cvt_f64_f32_e32 v[28:29], v52
	v_cvt_f64_f32_e32 v[46:47], v53
	v_fmac_f64_e32 v[20:21], v[28:29], v[70:71]
	v_fmac_f64_e32 v[38:39], v[46:47], v[70:71]
	v_fma_f64 v[20:21], -v[46:47], v[72:73], v[20:21]
	v_fmac_f64_e32 v[38:39], v[28:29], v[72:73]
	v_cvt_f64_f32_e32 v[28:29], v62
	v_cvt_f64_f32_e32 v[46:47], v63
	;; [unrolled: 6-line block ×7, first 2 shown]
	v_fmac_f64_e32 v[50:51], v[18:19], v[66:67]
	v_fmac_f64_e32 v[32:33], v[20:21], v[66:67]
	v_fma_f64 v[24:25], -v[20:21], v[68:69], v[50:51]
	v_fmac_f64_e32 v[32:33], v[18:19], v[68:69]
	global_load_dwordx4 v[18:21], v[48:49], off offset:112
	global_load_dwordx4 v[50:53], v[48:49], off offset:96
	;; [unrolled: 1-line block ×4, first 2 shown]
	s_waitcnt vmcnt(0)
	v_cvt_f64_f32_e32 v[48:49], v58
	v_cvt_f64_f32_e32 v[58:59], v59
	v_fmac_f64_e32 v[46:47], v[48:49], v[14:15]
	v_fma_f64 v[46:47], -v[58:59], v[16:17], v[46:47]
	v_fmac_f64_e32 v[44:45], v[58:59], v[14:15]
	v_cvt_f64_f32_e32 v[58:59], v61
	v_fmac_f64_e32 v[44:45], v[48:49], v[16:17]
	v_cvt_f64_f32_e32 v[48:49], v60
	v_fmac_f64_e32 v[38:39], v[58:59], v[14:15]
	v_fmac_f64_e32 v[28:29], v[48:49], v[14:15]
	;; [unrolled: 1-line block ×3, first 2 shown]
	v_cvt_f64_f32_e32 v[48:49], v54
	v_cvt_f64_f32_e32 v[54:55], v55
	v_fmac_f64_e32 v[26:27], v[48:49], v[14:15]
	v_fmac_f64_e32 v[34:35], v[54:55], v[14:15]
	v_fma_f64 v[26:27], -v[54:55], v[16:17], v[26:27]
	v_fmac_f64_e32 v[34:35], v[48:49], v[16:17]
	v_cvt_f64_f32_e32 v[48:49], v56
	v_cvt_f64_f32_e32 v[54:55], v57
	v_fmac_f64_e32 v[24:25], v[48:49], v[14:15]
	v_fmac_f64_e32 v[32:33], v[54:55], v[14:15]
	v_fma_f64 v[28:29], -v[58:59], v[16:17], v[28:29]
	v_fma_f64 v[24:25], -v[54:55], v[16:17], v[24:25]
	v_fmac_f64_e32 v[32:33], v[48:49], v[16:17]
	v_cvt_f64_f32_e32 v[14:15], v50
	v_cvt_f64_f32_e32 v[16:17], v51
	v_fmac_f64_e32 v[46:47], v[14:15], v[10:11]
	v_fmac_f64_e32 v[44:45], v[16:17], v[10:11]
	v_fma_f64 v[56:57], -v[16:17], v[12:13], v[46:47]
	v_fmac_f64_e32 v[44:45], v[14:15], v[12:13]
	v_cvt_f64_f32_e32 v[14:15], v52
	v_cvt_f64_f32_e32 v[16:17], v53
	v_fmac_f64_e32 v[28:29], v[14:15], v[10:11]
	v_fmac_f64_e32 v[38:39], v[16:17], v[10:11]
	;; [unrolled: 6-line block ×4, first 2 shown]
	v_fma_f64 v[18:19], -v[16:17], v[12:13], v[24:25]
	v_fmac_f64_e32 v[32:33], v[14:15], v[12:13]
	s_andn2_b64 exec, exec, s[8:9]
	s_cbranch_execnz .LBB174_31
; %bb.32:
	s_or_b64 exec, exec, s[8:9]
.LBB174_33:
	s_or_b64 exec, exec, s[2:3]
.LBB174_34:
	s_or_b64 exec, exec, s[6:7]
.LBB174_35:
	v_mov_b32_dpp v24, v38 row_shr:1 row_mask:0xf bank_mask:0xf
	v_mov_b32_dpp v25, v39 row_shr:1 row_mask:0xf bank_mask:0xf
	v_mov_b32_dpp v10, v56 row_shr:1 row_mask:0xf bank_mask:0xf
	v_mov_b32_dpp v11, v57 row_shr:1 row_mask:0xf bank_mask:0xf
	v_mov_b32_dpp v14, v44 row_shr:1 row_mask:0xf bank_mask:0xf
	v_mov_b32_dpp v15, v45 row_shr:1 row_mask:0xf bank_mask:0xf
	v_mov_b32_dpp v20, v54 row_shr:1 row_mask:0xf bank_mask:0xf
	v_mov_b32_dpp v21, v55 row_shr:1 row_mask:0xf bank_mask:0xf
	v_add_f64 v[24:25], v[38:39], v[24:25]
	v_mov_b32_dpp v28, v58 row_shr:1 row_mask:0xf bank_mask:0xf
	v_mov_b32_dpp v29, v59 row_shr:1 row_mask:0xf bank_mask:0xf
	;; [unrolled: 1-line block ×8, first 2 shown]
	v_add_f64 v[10:11], v[56:57], v[10:11]
	v_add_f64 v[14:15], v[44:45], v[14:15]
	v_add_f64 v[20:21], v[54:55], v[20:21]
	v_add_f64 v[28:29], v[58:59], v[28:29]
	v_add_f64 v[34:35], v[34:35], v[38:39]
	v_add_f64 v[18:19], v[18:19], v[40:41]
	v_add_f64 v[32:33], v[32:33], v[42:43]
	v_mov_b32_dpp v12, v10 row_shr:2 row_mask:0xf bank_mask:0xf
	v_mov_b32_dpp v13, v11 row_shr:2 row_mask:0xf bank_mask:0xf
	v_mov_b32_dpp v16, v14 row_shr:2 row_mask:0xf bank_mask:0xf
	v_mov_b32_dpp v17, v15 row_shr:2 row_mask:0xf bank_mask:0xf
	v_mov_b32_dpp v22, v20 row_shr:2 row_mask:0xf bank_mask:0xf
	v_mov_b32_dpp v23, v21 row_shr:2 row_mask:0xf bank_mask:0xf
	v_mov_b32_dpp v26, v24 row_shr:2 row_mask:0xf bank_mask:0xf
	v_mov_b32_dpp v27, v25 row_shr:2 row_mask:0xf bank_mask:0xf
	v_mov_b32_dpp v36, v28 row_shr:2 row_mask:0xf bank_mask:0xf
	v_mov_b32_dpp v37, v29 row_shr:2 row_mask:0xf bank_mask:0xf
	v_mov_b32_dpp v38, v34 row_shr:2 row_mask:0xf bank_mask:0xf
	v_mov_b32_dpp v39, v35 row_shr:2 row_mask:0xf bank_mask:0xf
	v_mov_b32_dpp v40, v18 row_shr:2 row_mask:0xf bank_mask:0xf
	v_mov_b32_dpp v41, v19 row_shr:2 row_mask:0xf bank_mask:0xf
	v_mov_b32_dpp v42, v32 row_shr:2 row_mask:0xf bank_mask:0xf
	v_mov_b32_dpp v43, v33 row_shr:2 row_mask:0xf bank_mask:0xf
	v_add_f64 v[10:11], v[10:11], v[12:13]
	v_add_f64 v[14:15], v[14:15], v[16:17]
	v_add_f64 v[20:21], v[20:21], v[22:23]
	v_add_f64 v[24:25], v[24:25], v[26:27]
	v_add_f64 v[28:29], v[28:29], v[36:37]
	v_add_f64 v[34:35], v[34:35], v[38:39]
	v_add_f64 v[18:19], v[18:19], v[40:41]
	v_add_f64 v[32:33], v[32:33], v[42:43]
	v_mov_b32_dpp v12, v10 row_shr:4 row_mask:0xf bank_mask:0xe
	v_mov_b32_dpp v13, v11 row_shr:4 row_mask:0xf bank_mask:0xe
	v_mov_b32_dpp v16, v14 row_shr:4 row_mask:0xf bank_mask:0xe
	v_mov_b32_dpp v17, v15 row_shr:4 row_mask:0xf bank_mask:0xe
	v_mov_b32_dpp v22, v20 row_shr:4 row_mask:0xf bank_mask:0xe
	v_mov_b32_dpp v23, v21 row_shr:4 row_mask:0xf bank_mask:0xe
	v_mov_b32_dpp v26, v24 row_shr:4 row_mask:0xf bank_mask:0xe
	v_mov_b32_dpp v27, v25 row_shr:4 row_mask:0xf bank_mask:0xe
	v_mov_b32_dpp v36, v28 row_shr:4 row_mask:0xf bank_mask:0xe
	v_mov_b32_dpp v37, v29 row_shr:4 row_mask:0xf bank_mask:0xe
	v_mov_b32_dpp v38, v34 row_shr:4 row_mask:0xf bank_mask:0xe
	v_mov_b32_dpp v39, v35 row_shr:4 row_mask:0xf bank_mask:0xe
	v_mov_b32_dpp v40, v18 row_shr:4 row_mask:0xf bank_mask:0xe
	v_mov_b32_dpp v41, v19 row_shr:4 row_mask:0xf bank_mask:0xe
	v_mov_b32_dpp v42, v32 row_shr:4 row_mask:0xf bank_mask:0xe
	v_mov_b32_dpp v43, v33 row_shr:4 row_mask:0xf bank_mask:0xe
	v_add_f64 v[10:11], v[10:11], v[12:13]
	;; [unrolled: 24-line block ×3, first 2 shown]
	v_add_f64 v[14:15], v[14:15], v[16:17]
	v_add_f64 v[20:21], v[20:21], v[22:23]
	;; [unrolled: 1-line block ×7, first 2 shown]
	v_mov_b32_dpp v12, v10 row_bcast:15 row_mask:0xa bank_mask:0xf
	v_mov_b32_dpp v13, v11 row_bcast:15 row_mask:0xa bank_mask:0xf
	v_mov_b32_dpp v16, v14 row_bcast:15 row_mask:0xa bank_mask:0xf
	v_mov_b32_dpp v17, v15 row_bcast:15 row_mask:0xa bank_mask:0xf
	v_mov_b32_dpp v22, v20 row_bcast:15 row_mask:0xa bank_mask:0xf
	v_mov_b32_dpp v23, v21 row_bcast:15 row_mask:0xa bank_mask:0xf
	v_mov_b32_dpp v26, v24 row_bcast:15 row_mask:0xa bank_mask:0xf
	v_mov_b32_dpp v27, v25 row_bcast:15 row_mask:0xa bank_mask:0xf
	v_mov_b32_dpp v36, v28 row_bcast:15 row_mask:0xa bank_mask:0xf
	v_mov_b32_dpp v37, v29 row_bcast:15 row_mask:0xa bank_mask:0xf
	v_mov_b32_dpp v38, v34 row_bcast:15 row_mask:0xa bank_mask:0xf
	v_mov_b32_dpp v39, v35 row_bcast:15 row_mask:0xa bank_mask:0xf
	v_mov_b32_dpp v40, v18 row_bcast:15 row_mask:0xa bank_mask:0xf
	v_mov_b32_dpp v41, v19 row_bcast:15 row_mask:0xa bank_mask:0xf
	v_mov_b32_dpp v42, v32 row_bcast:15 row_mask:0xa bank_mask:0xf
	v_mov_b32_dpp v43, v33 row_bcast:15 row_mask:0xa bank_mask:0xf
	v_add_f64 v[10:11], v[10:11], v[12:13]
	v_add_f64 v[14:15], v[14:15], v[16:17]
	;; [unrolled: 1-line block ×8, first 2 shown]
	v_mov_b32_dpp v12, v10 row_bcast:31 row_mask:0xc bank_mask:0xf
	v_mov_b32_dpp v13, v11 row_bcast:31 row_mask:0xc bank_mask:0xf
	;; [unrolled: 1-line block ×16, first 2 shown]
	v_cmp_eq_u32_e32 vcc, 63, v0
	s_and_b64 exec, exec, vcc
	s_cbranch_execz .LBB174_8
; %bb.36:
	s_load_dwordx2 s[2:3], s[0:1], 0x60
	v_add_f64 v[0:1], v[10:11], v[12:13]
	v_add_f64 v[10:11], v[14:15], v[16:17]
	;; [unrolled: 1-line block ×8, first 2 shown]
	v_cmp_eq_f64_e32 vcc, 0, v[2:3]
	v_cmp_eq_f64_e64 s[0:1], 0, v[4:5]
	v_mul_f64 v[22:23], v[10:11], -v[8:9]
	v_mul_f64 v[24:25], v[6:7], v[10:11]
	v_mul_f64 v[18:19], v[12:13], -v[8:9]
	v_mul_f64 v[20:21], v[6:7], v[12:13]
	;; [unrolled: 2-line block ×4, first 2 shown]
	s_and_b64 s[0:1], vcc, s[0:1]
	v_fmac_f64_e32 v[22:23], v[6:7], v[0:1]
	v_fmac_f64_e32 v[24:25], v[8:9], v[0:1]
	v_lshlrev_b32_e32 v0, 2, v30
	v_fmac_f64_e32 v[18:19], v[6:7], v[44:45]
	v_fmac_f64_e32 v[20:21], v[8:9], v[44:45]
	;; [unrolled: 1-line block ×6, first 2 shown]
	s_waitcnt lgkmcnt(0)
	s_and_saveexec_b64 s[4:5], s[0:1]
	s_xor_b64 s[0:1], exec, s[4:5]
	s_cbranch_execz .LBB174_38
; %bb.37:
	v_ashrrev_i32_e32 v1, 31, v0
	v_lshl_add_u64 v[0:1], v[0:1], 4, s[2:3]
	global_store_dwordx4 v[0:1], v[22:25], off
	global_store_dwordx4 v[0:1], v[18:21], off offset:16
	global_store_dwordx4 v[0:1], v[14:17], off offset:32
	;; [unrolled: 1-line block ×3, first 2 shown]
                                        ; implicit-def: $vgpr4_vgpr5
                                        ; implicit-def: $vgpr22_vgpr23
                                        ; implicit-def: $vgpr0
                                        ; implicit-def: $vgpr18_vgpr19
                                        ; implicit-def: $vgpr14_vgpr15
                                        ; implicit-def: $vgpr10_vgpr11
.LBB174_38:
	s_andn2_saveexec_b64 s[0:1], s[0:1]
	s_cbranch_execz .LBB174_8
; %bb.39:
	v_ashrrev_i32_e32 v1, 31, v0
	v_lshl_add_u64 v[0:1], v[0:1], 4, s[2:3]
	global_load_dwordx4 v[6:9], v[0:1], off
	global_load_dwordx4 v[26:29], v[0:1], off offset:16
	global_load_dwordx4 v[30:33], v[0:1], off offset:32
	;; [unrolled: 1-line block ×3, first 2 shown]
	s_waitcnt vmcnt(3)
	v_fmac_f64_e32 v[22:23], v[2:3], v[6:7]
	v_fmac_f64_e32 v[24:25], v[4:5], v[6:7]
	s_waitcnt vmcnt(2)
	v_fmac_f64_e32 v[18:19], v[2:3], v[26:27]
	v_fmac_f64_e32 v[20:21], v[4:5], v[26:27]
	;; [unrolled: 3-line block ×4, first 2 shown]
	v_fma_f64 v[22:23], -v[4:5], v[8:9], v[22:23]
	v_fmac_f64_e32 v[24:25], v[2:3], v[8:9]
	v_fma_f64 v[18:19], -v[4:5], v[28:29], v[18:19]
	v_fmac_f64_e32 v[20:21], v[2:3], v[28:29]
	;; [unrolled: 2-line block ×4, first 2 shown]
	global_store_dwordx4 v[0:1], v[22:25], off
	global_store_dwordx4 v[0:1], v[18:21], off offset:16
	global_store_dwordx4 v[0:1], v[14:17], off offset:32
	;; [unrolled: 1-line block ×3, first 2 shown]
	s_endpgm
	.section	.rodata,"a",@progbits
	.p2align	6, 0x0
	.amdhsa_kernel _ZN9rocsparseL18bsrxmvn_4x4_kernelILj128ELj64E21rocsparse_complex_numIdEliS1_IfES2_S2_EEvT3_20rocsparse_direction_NS_24const_host_device_scalarIT1_EES4_PKS4_PKT2_SD_SA_PKT4_PKT5_S8_PT6_21rocsparse_index_base_b
		.amdhsa_group_segment_fixed_size 0
		.amdhsa_private_segment_fixed_size 0
		.amdhsa_kernarg_size 112
		.amdhsa_user_sgpr_count 2
		.amdhsa_user_sgpr_dispatch_ptr 0
		.amdhsa_user_sgpr_queue_ptr 0
		.amdhsa_user_sgpr_kernarg_segment_ptr 1
		.amdhsa_user_sgpr_dispatch_id 0
		.amdhsa_user_sgpr_kernarg_preload_length 0
		.amdhsa_user_sgpr_kernarg_preload_offset 0
		.amdhsa_user_sgpr_private_segment_size 0
		.amdhsa_uses_dynamic_stack 0
		.amdhsa_enable_private_segment 0
		.amdhsa_system_sgpr_workgroup_id_x 1
		.amdhsa_system_sgpr_workgroup_id_y 0
		.amdhsa_system_sgpr_workgroup_id_z 0
		.amdhsa_system_sgpr_workgroup_info 0
		.amdhsa_system_vgpr_workitem_id 0
		.amdhsa_next_free_vgpr 126
		.amdhsa_next_free_sgpr 30
		.amdhsa_accum_offset 128
		.amdhsa_reserve_vcc 1
		.amdhsa_float_round_mode_32 0
		.amdhsa_float_round_mode_16_64 0
		.amdhsa_float_denorm_mode_32 3
		.amdhsa_float_denorm_mode_16_64 3
		.amdhsa_dx10_clamp 1
		.amdhsa_ieee_mode 1
		.amdhsa_fp16_overflow 0
		.amdhsa_tg_split 0
		.amdhsa_exception_fp_ieee_invalid_op 0
		.amdhsa_exception_fp_denorm_src 0
		.amdhsa_exception_fp_ieee_div_zero 0
		.amdhsa_exception_fp_ieee_overflow 0
		.amdhsa_exception_fp_ieee_underflow 0
		.amdhsa_exception_fp_ieee_inexact 0
		.amdhsa_exception_int_div_zero 0
	.end_amdhsa_kernel
	.section	.text._ZN9rocsparseL18bsrxmvn_4x4_kernelILj128ELj64E21rocsparse_complex_numIdEliS1_IfES2_S2_EEvT3_20rocsparse_direction_NS_24const_host_device_scalarIT1_EES4_PKS4_PKT2_SD_SA_PKT4_PKT5_S8_PT6_21rocsparse_index_base_b,"axG",@progbits,_ZN9rocsparseL18bsrxmvn_4x4_kernelILj128ELj64E21rocsparse_complex_numIdEliS1_IfES2_S2_EEvT3_20rocsparse_direction_NS_24const_host_device_scalarIT1_EES4_PKS4_PKT2_SD_SA_PKT4_PKT5_S8_PT6_21rocsparse_index_base_b,comdat
.Lfunc_end174:
	.size	_ZN9rocsparseL18bsrxmvn_4x4_kernelILj128ELj64E21rocsparse_complex_numIdEliS1_IfES2_S2_EEvT3_20rocsparse_direction_NS_24const_host_device_scalarIT1_EES4_PKS4_PKT2_SD_SA_PKT4_PKT5_S8_PT6_21rocsparse_index_base_b, .Lfunc_end174-_ZN9rocsparseL18bsrxmvn_4x4_kernelILj128ELj64E21rocsparse_complex_numIdEliS1_IfES2_S2_EEvT3_20rocsparse_direction_NS_24const_host_device_scalarIT1_EES4_PKS4_PKT2_SD_SA_PKT4_PKT5_S8_PT6_21rocsparse_index_base_b
                                        ; -- End function
	.set _ZN9rocsparseL18bsrxmvn_4x4_kernelILj128ELj64E21rocsparse_complex_numIdEliS1_IfES2_S2_EEvT3_20rocsparse_direction_NS_24const_host_device_scalarIT1_EES4_PKS4_PKT2_SD_SA_PKT4_PKT5_S8_PT6_21rocsparse_index_base_b.num_vgpr, 126
	.set _ZN9rocsparseL18bsrxmvn_4x4_kernelILj128ELj64E21rocsparse_complex_numIdEliS1_IfES2_S2_EEvT3_20rocsparse_direction_NS_24const_host_device_scalarIT1_EES4_PKS4_PKT2_SD_SA_PKT4_PKT5_S8_PT6_21rocsparse_index_base_b.num_agpr, 0
	.set _ZN9rocsparseL18bsrxmvn_4x4_kernelILj128ELj64E21rocsparse_complex_numIdEliS1_IfES2_S2_EEvT3_20rocsparse_direction_NS_24const_host_device_scalarIT1_EES4_PKS4_PKT2_SD_SA_PKT4_PKT5_S8_PT6_21rocsparse_index_base_b.numbered_sgpr, 30
	.set _ZN9rocsparseL18bsrxmvn_4x4_kernelILj128ELj64E21rocsparse_complex_numIdEliS1_IfES2_S2_EEvT3_20rocsparse_direction_NS_24const_host_device_scalarIT1_EES4_PKS4_PKT2_SD_SA_PKT4_PKT5_S8_PT6_21rocsparse_index_base_b.num_named_barrier, 0
	.set _ZN9rocsparseL18bsrxmvn_4x4_kernelILj128ELj64E21rocsparse_complex_numIdEliS1_IfES2_S2_EEvT3_20rocsparse_direction_NS_24const_host_device_scalarIT1_EES4_PKS4_PKT2_SD_SA_PKT4_PKT5_S8_PT6_21rocsparse_index_base_b.private_seg_size, 0
	.set _ZN9rocsparseL18bsrxmvn_4x4_kernelILj128ELj64E21rocsparse_complex_numIdEliS1_IfES2_S2_EEvT3_20rocsparse_direction_NS_24const_host_device_scalarIT1_EES4_PKS4_PKT2_SD_SA_PKT4_PKT5_S8_PT6_21rocsparse_index_base_b.uses_vcc, 1
	.set _ZN9rocsparseL18bsrxmvn_4x4_kernelILj128ELj64E21rocsparse_complex_numIdEliS1_IfES2_S2_EEvT3_20rocsparse_direction_NS_24const_host_device_scalarIT1_EES4_PKS4_PKT2_SD_SA_PKT4_PKT5_S8_PT6_21rocsparse_index_base_b.uses_flat_scratch, 0
	.set _ZN9rocsparseL18bsrxmvn_4x4_kernelILj128ELj64E21rocsparse_complex_numIdEliS1_IfES2_S2_EEvT3_20rocsparse_direction_NS_24const_host_device_scalarIT1_EES4_PKS4_PKT2_SD_SA_PKT4_PKT5_S8_PT6_21rocsparse_index_base_b.has_dyn_sized_stack, 0
	.set _ZN9rocsparseL18bsrxmvn_4x4_kernelILj128ELj64E21rocsparse_complex_numIdEliS1_IfES2_S2_EEvT3_20rocsparse_direction_NS_24const_host_device_scalarIT1_EES4_PKS4_PKT2_SD_SA_PKT4_PKT5_S8_PT6_21rocsparse_index_base_b.has_recursion, 0
	.set _ZN9rocsparseL18bsrxmvn_4x4_kernelILj128ELj64E21rocsparse_complex_numIdEliS1_IfES2_S2_EEvT3_20rocsparse_direction_NS_24const_host_device_scalarIT1_EES4_PKS4_PKT2_SD_SA_PKT4_PKT5_S8_PT6_21rocsparse_index_base_b.has_indirect_call, 0
	.section	.AMDGPU.csdata,"",@progbits
; Kernel info:
; codeLenInByte = 9104
; TotalNumSgprs: 36
; NumVgprs: 126
; NumAgprs: 0
; TotalNumVgprs: 126
; ScratchSize: 0
; MemoryBound: 0
; FloatMode: 240
; IeeeMode: 1
; LDSByteSize: 0 bytes/workgroup (compile time only)
; SGPRBlocks: 4
; VGPRBlocks: 15
; NumSGPRsForWavesPerEU: 36
; NumVGPRsForWavesPerEU: 126
; AccumOffset: 128
; Occupancy: 4
; WaveLimiterHint : 1
; COMPUTE_PGM_RSRC2:SCRATCH_EN: 0
; COMPUTE_PGM_RSRC2:USER_SGPR: 2
; COMPUTE_PGM_RSRC2:TRAP_HANDLER: 0
; COMPUTE_PGM_RSRC2:TGID_X_EN: 1
; COMPUTE_PGM_RSRC2:TGID_Y_EN: 0
; COMPUTE_PGM_RSRC2:TGID_Z_EN: 0
; COMPUTE_PGM_RSRC2:TIDIG_COMP_CNT: 0
; COMPUTE_PGM_RSRC3_GFX90A:ACCUM_OFFSET: 31
; COMPUTE_PGM_RSRC3_GFX90A:TG_SPLIT: 0
	.section	.text._ZN9rocsparseL18bsrxmvn_4x4_kernelILj128ELj4E21rocsparse_complex_numIdEllS1_IfES2_S2_EEvT3_20rocsparse_direction_NS_24const_host_device_scalarIT1_EES4_PKS4_PKT2_SD_SA_PKT4_PKT5_S8_PT6_21rocsparse_index_base_b,"axG",@progbits,_ZN9rocsparseL18bsrxmvn_4x4_kernelILj128ELj4E21rocsparse_complex_numIdEllS1_IfES2_S2_EEvT3_20rocsparse_direction_NS_24const_host_device_scalarIT1_EES4_PKS4_PKT2_SD_SA_PKT4_PKT5_S8_PT6_21rocsparse_index_base_b,comdat
	.globl	_ZN9rocsparseL18bsrxmvn_4x4_kernelILj128ELj4E21rocsparse_complex_numIdEllS1_IfES2_S2_EEvT3_20rocsparse_direction_NS_24const_host_device_scalarIT1_EES4_PKS4_PKT2_SD_SA_PKT4_PKT5_S8_PT6_21rocsparse_index_base_b ; -- Begin function _ZN9rocsparseL18bsrxmvn_4x4_kernelILj128ELj4E21rocsparse_complex_numIdEllS1_IfES2_S2_EEvT3_20rocsparse_direction_NS_24const_host_device_scalarIT1_EES4_PKS4_PKT2_SD_SA_PKT4_PKT5_S8_PT6_21rocsparse_index_base_b
	.p2align	8
	.type	_ZN9rocsparseL18bsrxmvn_4x4_kernelILj128ELj4E21rocsparse_complex_numIdEllS1_IfES2_S2_EEvT3_20rocsparse_direction_NS_24const_host_device_scalarIT1_EES4_PKS4_PKT2_SD_SA_PKT4_PKT5_S8_PT6_21rocsparse_index_base_b,@function
_ZN9rocsparseL18bsrxmvn_4x4_kernelILj128ELj4E21rocsparse_complex_numIdEllS1_IfES2_S2_EEvT3_20rocsparse_direction_NS_24const_host_device_scalarIT1_EES4_PKS4_PKT2_SD_SA_PKT4_PKT5_S8_PT6_21rocsparse_index_base_b: ; @_ZN9rocsparseL18bsrxmvn_4x4_kernelILj128ELj4E21rocsparse_complex_numIdEllS1_IfES2_S2_EEvT3_20rocsparse_direction_NS_24const_host_device_scalarIT1_EES4_PKS4_PKT2_SD_SA_PKT4_PKT5_S8_PT6_21rocsparse_index_base_b
; %bb.0:
	s_load_dwordx2 s[4:5], s[0:1], 0x10
	s_load_dwordx2 s[6:7], s[0:1], 0x70
	s_add_u32 s3, s0, 16
	s_addc_u32 s10, s1, 0
	s_add_u32 s11, s0, 0x58
	s_load_dwordx2 s[8:9], s[0:1], 0x58
	s_addc_u32 s12, s1, 0
	s_waitcnt lgkmcnt(0)
	s_bitcmp1_b32 s7, 0
	s_cselect_b32 s5, s10, s5
	s_cselect_b32 s3, s3, s4
	v_mov_b32_e32 v2, s3
	v_mov_b32_e32 v3, s5
	flat_load_dwordx4 v[6:9], v[2:3]
	s_cselect_b32 s3, s12, s9
	s_cselect_b32 s4, s11, s8
	v_mov_b32_e32 v2, s4
	v_mov_b32_e32 v3, s3
	flat_load_dwordx4 v[2:5], v[2:3]
	s_waitcnt vmcnt(0) lgkmcnt(0)
	v_cmp_eq_f64_e32 vcc, 0, v[6:7]
	v_cmp_eq_f64_e64 s[4:5], 0, v[8:9]
	s_and_b64 s[10:11], vcc, s[4:5]
	s_mov_b64 s[4:5], -1
	s_and_saveexec_b64 s[8:9], s[10:11]
; %bb.1:
	v_cmp_neq_f64_e32 vcc, 1.0, v[2:3]
	v_cmp_neq_f64_e64 s[4:5], 0, v[4:5]
	s_or_b64 s[4:5], vcc, s[4:5]
	s_orn2_b64 s[4:5], s[4:5], exec
; %bb.2:
	s_or_b64 exec, exec, s[8:9]
	s_and_saveexec_b64 s[8:9], s[4:5]
	s_cbranch_execz .LBB175_8
; %bb.3:
	s_load_dwordx2 s[4:5], s[0:1], 0x28
	v_lshrrev_b32_e32 v1, 2, v0
	v_lshl_or_b32 v10, s2, 5, v1
	v_mov_b32_e32 v11, 0
	s_mov_b64 s[2:3], 0
	s_waitcnt lgkmcnt(0)
	s_cmp_lg_u64 s[4:5], 0
	s_cbranch_scc0 .LBB175_9
; %bb.4:
	s_load_dwordx2 s[8:9], s[0:1], 0x20
                                        ; implicit-def: $vgpr26_vgpr27
                                        ; implicit-def: $vgpr28_vgpr29
	s_waitcnt lgkmcnt(0)
	v_cmp_gt_i64_e32 vcc, s[8:9], v[10:11]
	s_and_saveexec_b64 s[8:9], vcc
	s_xor_b64 s[8:9], exec, s[8:9]
	s_cbranch_execz .LBB175_6
; %bb.5:
	v_lshl_add_u64 v[12:13], v[10:11], 3, s[4:5]
	global_load_dwordx2 v[12:13], v[12:13], off
	s_mov_b32 s7, 0
	s_mov_b64 s[2:3], exec
	v_mov_b64_e32 v[28:29], s[6:7]
	s_waitcnt vmcnt(0)
	v_subrev_co_u32_e32 v26, vcc, s6, v12
	s_nop 1
	v_subbrev_co_u32_e32 v27, vcc, 0, v13, vcc
.LBB175_6:
	s_or_b64 exec, exec, s[8:9]
.LBB175_7:
	s_and_b64 exec, exec, s[2:3]
	s_cbranch_execnz .LBB175_13
.LBB175_8:
	s_endpgm
.LBB175_9:
                                        ; implicit-def: $vgpr26_vgpr27
                                        ; implicit-def: $vgpr28_vgpr29
	s_cbranch_execz .LBB175_7
; %bb.10:
	s_load_dwordx2 s[4:5], s[0:1], 0x0
	s_waitcnt lgkmcnt(0)
	v_cmp_gt_i64_e32 vcc, s[4:5], v[10:11]
	s_and_saveexec_b64 s[4:5], vcc
; %bb.11:
	s_mov_b32 s7, 0
	s_or_b64 s[2:3], s[2:3], exec
; %bb.12:
	s_or_b64 exec, exec, s[4:5]
	v_mov_b64_e32 v[28:29], s[6:7]
	v_mov_b64_e32 v[26:27], v[10:11]
	s_and_b64 exec, exec, s[2:3]
	s_cbranch_execz .LBB175_8
.LBB175_13:
	s_load_dwordx8 s[4:11], s[0:1], 0x30
	v_lshlrev_b64 v[10:11], 3, v[26:27]
	v_and_b32_e32 v0, 3, v0
	v_mov_b32_e32 v1, 0
	s_waitcnt lgkmcnt(0)
	v_lshl_add_u64 v[12:13], s[4:5], 0, v[10:11]
	s_cmp_eq_u64 s[6:7], 0
	v_lshl_add_u64 v[10:11], s[6:7], 0, v[10:11]
	global_load_dwordx2 v[44:45], v[12:13], off
	v_lshl_add_u64 v[12:13], v[12:13], 0, 8
	s_cselect_b64 vcc, -1, 0
	v_cndmask_b32_e32 v11, v11, v13, vcc
	v_cndmask_b32_e32 v10, v10, v12, vcc
	global_load_dwordx2 v[10:11], v[10:11], off
	s_load_dword s2, s[0:1], 0x8
	s_load_dwordx2 s[4:5], s[0:1], 0x50
	s_waitcnt lgkmcnt(0)
	s_cmp_eq_u32 s2, 1
	s_waitcnt vmcnt(1)
	v_sub_co_u32_e32 v12, vcc, v44, v28
	s_nop 1
	v_subb_co_u32_e32 v13, vcc, v45, v29, vcc
	v_lshl_add_u64 v[30:31], v[12:13], 0, v[0:1]
	s_waitcnt vmcnt(0)
	v_sub_co_u32_e32 v32, vcc, v10, v28
	s_nop 1
	v_subb_co_u32_e32 v33, vcc, v11, v29, vcc
	v_lshlrev_b64 v[10:11], 7, v[30:31]
	v_lshl_add_u64 v[34:35], s[10:11], 0, v[10:11]
	v_cmp_lt_i64_e64 s[2:3], v[30:31], v[32:33]
	s_cbranch_scc1 .LBB175_25
; %bb.14:
	v_mov_b64_e32 v[38:39], 0
	v_mov_b64_e32 v[52:53], 0
	;; [unrolled: 1-line block ×8, first 2 shown]
	s_and_saveexec_b64 s[6:7], s[2:3]
	s_cbranch_execz .LBB175_24
; %bb.15:
	v_or_b32_e32 v1, 4, v0
	v_sub_co_u32_e32 v10, vcc, v1, v28
	v_not_b32_e32 v13, v45
	s_nop 0
	v_subb_co_u32_e32 v11, vcc, 0, v29, vcc
	v_lshl_add_u64 v[10:11], v[10:11], 0, v[44:45]
	v_cmp_gt_i64_e32 vcc, v[10:11], v[32:33]
	v_not_b32_e32 v12, v44
	v_mov_b64_e32 v[20:21], 0
	v_cndmask_b32_e32 v11, v33, v11, vcc
	v_cndmask_b32_e32 v10, v32, v10, vcc
	v_sub_co_u32_e32 v14, vcc, v28, v0
	v_mov_b64_e32 v[36:37], 0
	s_nop 0
	v_subbrev_co_u32_e32 v15, vcc, 0, v29, vcc
	v_lshl_add_u64 v[12:13], v[14:15], 0, v[12:13]
	v_lshl_add_u64 v[14:15], v[12:13], 0, v[10:11]
	v_and_b32_e32 v10, 12, v14
	v_mov_b32_e32 v11, 0
	v_cmp_ne_u64_e32 vcc, 12, v[10:11]
	v_mov_b64_e32 v[54:55], 0
	v_mov_b64_e32 v[40:41], 0
	;; [unrolled: 1-line block ×8, first 2 shown]
	s_and_saveexec_b64 s[10:11], vcc
	s_cbranch_execz .LBB175_19
; %bb.16:
	v_lshrrev_b32_e32 v1, 2, v14
	v_add_u32_e32 v1, 1, v1
	v_and_b32_e32 v1, 3, v1
	v_sub_co_u32_e32 v18, vcc, 0, v1
	v_lshl_add_u64 v[16:17], v[30:31], 3, s[8:9]
	s_nop 0
	v_subb_co_u32_e64 v19, s[14:15], 0, 0, vcc
	s_mov_b64 s[12:13], 0
	v_mov_b64_e32 v[38:39], 0
	s_mov_b64 s[14:15], 0x200
	v_mov_b64_e32 v[48:49], v[30:31]
	v_mov_b64_e32 v[46:47], v[34:35]
	;; [unrolled: 1-line block ×9, first 2 shown]
.LBB175_17:                             ; =>This Inner Loop Header: Depth=1
	global_load_dwordx2 v[50:51], v[16:17], off
	global_load_dwordx4 v[22:25], v[46:47], off
	global_load_dwordx4 v[10:13], v[46:47], off offset:32
	global_load_dwordx4 v[58:61], v[46:47], off offset:64
	;; [unrolled: 1-line block ×7, first 2 shown]
	v_lshl_add_u64 v[18:19], v[18:19], 0, 1
	v_cmp_eq_u64_e32 vcc, 0, v[18:19]
	s_or_b64 s[12:13], vcc, s[12:13]
	v_lshl_add_u64 v[46:47], v[46:47], 0, s[14:15]
	v_lshl_add_u64 v[48:49], v[48:49], 0, 4
	;; [unrolled: 1-line block ×3, first 2 shown]
	s_waitcnt vmcnt(8)
	v_sub_co_u32_e32 v50, vcc, v50, v28
	s_nop 1
	v_subb_co_u32_e32 v51, vcc, v51, v29, vcc
	s_waitcnt vmcnt(7)
	v_cvt_f64_f32_e32 v[90:91], v22
	v_cvt_f64_f32_e32 v[92:93], v23
	v_lshlrev_b64 v[22:23], 6, v[50:51]
	v_lshl_add_u64 v[50:51], s[4:5], 0, v[22:23]
	v_cvt_f64_f32_e32 v[94:95], v24
	v_cvt_f64_f32_e32 v[96:97], v25
	s_waitcnt vmcnt(3)
	v_cvt_f64_f32_e32 v[104:105], v66
	v_cvt_f64_f32_e32 v[106:107], v67
	;; [unrolled: 1-line block ×4, first 2 shown]
	global_load_dwordx4 v[22:25], v[50:51], off
	global_load_dwordx4 v[66:69], v[50:51], off offset:16
	global_load_dwordx4 v[82:85], v[50:51], off offset:32
	global_load_dwordx4 v[86:89], v[50:51], off offset:48
	v_cvt_f64_f32_e32 v[98:99], v10
	v_cvt_f64_f32_e32 v[10:11], v11
	;; [unrolled: 1-line block ×12, first 2 shown]
	s_waitcnt vmcnt(6)
	v_cvt_f64_f32_e32 v[50:51], v70
	v_cvt_f64_f32_e32 v[70:71], v71
	s_waitcnt vmcnt(5)
	v_cvt_f64_f32_e32 v[120:121], v74
	v_cvt_f64_f32_e32 v[74:75], v75
	s_waitcnt vmcnt(4)
	v_cvt_f64_f32_e32 v[124:125], v78
	v_cvt_f64_f32_e32 v[78:79], v79
	v_cvt_f64_f32_e32 v[114:115], v72
	v_cvt_f64_f32_e32 v[72:73], v73
	;; [unrolled: 1-line block ×6, first 2 shown]
	s_waitcnt vmcnt(3)
	v_fmac_f64_e32 v[52:53], v[90:91], v[22:23]
	v_fmac_f64_e32 v[38:39], v[92:93], v[22:23]
	v_fmac_f64_e32 v[56:57], v[98:99], v[22:23]
	v_fmac_f64_e32 v[42:43], v[10:11], v[22:23]
	v_fmac_f64_e32 v[54:55], v[100:101], v[22:23]
	v_fmac_f64_e32 v[40:41], v[58:59], v[22:23]
	v_fmac_f64_e32 v[20:21], v[102:103], v[22:23]
	v_fmac_f64_e32 v[36:37], v[62:63], v[22:23]
	v_fma_f64 v[22:23], -v[92:93], v[24:25], v[52:53]
	v_fmac_f64_e32 v[38:39], v[90:91], v[24:25]
	v_fma_f64 v[10:11], -v[10:11], v[24:25], v[56:57]
	v_fmac_f64_e32 v[42:43], v[98:99], v[24:25]
	v_fma_f64 v[52:53], -v[58:59], v[24:25], v[54:55]
	v_fmac_f64_e32 v[40:41], v[100:101], v[24:25]
	v_fma_f64 v[20:21], -v[62:63], v[24:25], v[20:21]
	v_fmac_f64_e32 v[36:37], v[102:103], v[24:25]
	s_waitcnt vmcnt(2)
	v_fmac_f64_e32 v[22:23], v[94:95], v[66:67]
	v_fmac_f64_e32 v[38:39], v[96:97], v[66:67]
	v_fmac_f64_e32 v[10:11], v[112:113], v[66:67]
	v_fmac_f64_e32 v[42:43], v[12:13], v[66:67]
	v_fmac_f64_e32 v[52:53], v[116:117], v[66:67]
	v_fmac_f64_e32 v[40:41], v[60:61], v[66:67]
	v_fmac_f64_e32 v[20:21], v[118:119], v[66:67]
	v_fmac_f64_e32 v[36:37], v[64:65], v[66:67]
	v_fma_f64 v[22:23], -v[96:97], v[68:69], v[22:23]
	v_fmac_f64_e32 v[38:39], v[94:95], v[68:69]
	v_fma_f64 v[10:11], -v[12:13], v[68:69], v[10:11]
	v_fmac_f64_e32 v[42:43], v[112:113], v[68:69]
	v_fma_f64 v[12:13], -v[60:61], v[68:69], v[52:53]
	v_fmac_f64_e32 v[40:41], v[116:117], v[68:69]
	v_fma_f64 v[20:21], -v[64:65], v[68:69], v[20:21]
	v_fmac_f64_e32 v[36:37], v[118:119], v[68:69]
	s_waitcnt vmcnt(1)
	v_fmac_f64_e32 v[22:23], v[104:105], v[82:83]
	v_fmac_f64_e32 v[38:39], v[106:107], v[82:83]
	v_fmac_f64_e32 v[10:11], v[50:51], v[82:83]
	v_fmac_f64_e32 v[42:43], v[70:71], v[82:83]
	v_fmac_f64_e32 v[12:13], v[120:121], v[82:83]
	v_fmac_f64_e32 v[40:41], v[74:75], v[82:83]
	v_fmac_f64_e32 v[20:21], v[124:125], v[82:83]
	v_fmac_f64_e32 v[36:37], v[78:79], v[82:83]
	v_fma_f64 v[22:23], -v[106:107], v[84:85], v[22:23]
	v_fmac_f64_e32 v[38:39], v[104:105], v[84:85]
	v_fma_f64 v[10:11], -v[70:71], v[84:85], v[10:11]
	v_fmac_f64_e32 v[42:43], v[50:51], v[84:85]
	v_fma_f64 v[12:13], -v[74:75], v[84:85], v[12:13]
	v_fmac_f64_e32 v[40:41], v[120:121], v[84:85]
	v_fma_f64 v[20:21], -v[78:79], v[84:85], v[20:21]
	v_fmac_f64_e32 v[36:37], v[124:125], v[84:85]
	s_waitcnt vmcnt(0)
	v_fmac_f64_e32 v[22:23], v[108:109], v[86:87]
	v_fmac_f64_e32 v[38:39], v[110:111], v[86:87]
	v_fmac_f64_e32 v[10:11], v[114:115], v[86:87]
	v_fmac_f64_e32 v[42:43], v[72:73], v[86:87]
	v_fmac_f64_e32 v[12:13], v[122:123], v[86:87]
	v_fmac_f64_e32 v[40:41], v[76:77], v[86:87]
	v_fmac_f64_e32 v[20:21], v[126:127], v[86:87]
	v_fmac_f64_e32 v[36:37], v[80:81], v[86:87]
	v_fma_f64 v[52:53], -v[110:111], v[88:89], v[22:23]
	v_fmac_f64_e32 v[38:39], v[108:109], v[88:89]
	v_fma_f64 v[56:57], -v[72:73], v[88:89], v[10:11]
	v_fmac_f64_e32 v[42:43], v[114:115], v[88:89]
	v_fma_f64 v[54:55], -v[76:77], v[88:89], v[12:13]
	v_fmac_f64_e32 v[40:41], v[122:123], v[88:89]
	v_fma_f64 v[20:21], -v[80:81], v[88:89], v[20:21]
	v_fmac_f64_e32 v[36:37], v[126:127], v[88:89]
	s_andn2_b64 exec, exec, s[12:13]
	s_cbranch_execnz .LBB175_17
; %bb.18:
	s_or_b64 exec, exec, s[12:13]
.LBB175_19:
	s_or_b64 exec, exec, s[10:11]
	v_cmp_lt_u64_e32 vcc, 11, v[14:15]
	s_and_saveexec_b64 s[10:11], vcc
	s_cbranch_execz .LBB175_23
; %bb.20:
	v_lshl_add_u64 v[10:11], v[48:49], 3, s[8:9]
	v_lshl_add_u64 v[50:51], v[10:11], 0, 64
	s_mov_b64 s[12:13], 0
	s_mov_b64 s[14:15], 0x800
	;; [unrolled: 1-line block ×3, first 2 shown]
.LBB175_21:                             ; =>This Inner Loop Header: Depth=1
	global_load_dwordx2 v[10:11], v[50:51], off offset:-64
	global_load_dwordx4 v[22:25], v[46:47], off offset:48
	global_load_dwordx4 v[58:61], v[46:47], off offset:32
	global_load_dwordx4 v[62:65], v[46:47], off offset:16
	global_load_dwordx4 v[16:19], v[46:47], off
	v_lshl_add_u64 v[48:49], v[48:49], 0, 16
	s_waitcnt vmcnt(4)
	v_sub_co_u32_e32 v10, vcc, v10, v28
	s_nop 1
	v_subb_co_u32_e32 v11, vcc, v11, v29, vcc
	v_lshlrev_b64 v[10:11], 6, v[10:11]
	v_lshl_add_u64 v[78:79], s[4:5], 0, v[10:11]
	s_waitcnt vmcnt(0)
	v_cvt_f64_f32_e32 v[74:75], v16
	v_cvt_f64_f32_e32 v[76:77], v17
	global_load_dwordx4 v[10:13], v[78:79], off offset:48
	global_load_dwordx4 v[14:17], v[78:79], off offset:32
	;; [unrolled: 1-line block ×3, first 2 shown]
	global_load_dwordx4 v[70:73], v[78:79], off
	s_waitcnt vmcnt(0)
	v_fmac_f64_e32 v[52:53], v[74:75], v[70:71]
	v_fmac_f64_e32 v[38:39], v[76:77], v[70:71]
	v_fma_f64 v[52:53], -v[76:77], v[72:73], v[52:53]
	v_fmac_f64_e32 v[38:39], v[74:75], v[72:73]
	v_cvt_f64_f32_e32 v[74:75], v18
	v_cvt_f64_f32_e32 v[18:19], v19
	v_fmac_f64_e32 v[52:53], v[74:75], v[66:67]
	v_fma_f64 v[52:53], -v[18:19], v[68:69], v[52:53]
	v_fmac_f64_e32 v[38:39], v[18:19], v[66:67]
	v_cvt_f64_f32_e32 v[18:19], v62
	v_fmac_f64_e32 v[38:39], v[74:75], v[68:69]
	v_cvt_f64_f32_e32 v[62:63], v63
	v_fmac_f64_e32 v[52:53], v[18:19], v[14:15]
	v_fma_f64 v[52:53], -v[62:63], v[16:17], v[52:53]
	v_fmac_f64_e32 v[38:39], v[62:63], v[14:15]
	v_cvt_f64_f32_e32 v[62:63], v64
	v_cvt_f64_f32_e32 v[64:65], v65
	v_fmac_f64_e32 v[52:53], v[62:63], v[10:11]
	v_fmac_f64_e32 v[38:39], v[18:19], v[16:17]
	v_fma_f64 v[18:19], -v[64:65], v[12:13], v[52:53]
	v_cvt_f64_f32_e32 v[52:53], v58
	v_cvt_f64_f32_e32 v[58:59], v59
	v_fmac_f64_e32 v[56:57], v[52:53], v[70:71]
	v_fmac_f64_e32 v[42:43], v[58:59], v[70:71]
	v_fma_f64 v[56:57], -v[58:59], v[72:73], v[56:57]
	v_fmac_f64_e32 v[42:43], v[52:53], v[72:73]
	v_cvt_f64_f32_e32 v[52:53], v60
	v_cvt_f64_f32_e32 v[58:59], v61
	v_fmac_f64_e32 v[56:57], v[52:53], v[66:67]
	v_fmac_f64_e32 v[42:43], v[58:59], v[66:67]
	v_fma_f64 v[56:57], -v[58:59], v[68:69], v[56:57]
	v_fmac_f64_e32 v[42:43], v[52:53], v[68:69]
	;; [unrolled: 6-line block ×3, first 2 shown]
	v_cvt_f64_f32_e32 v[52:53], v24
	v_fmac_f64_e32 v[38:39], v[64:65], v[10:11]
	v_cvt_f64_f32_e32 v[24:25], v25
	v_fmac_f64_e32 v[56:57], v[52:53], v[10:11]
	v_fmac_f64_e32 v[38:39], v[62:63], v[12:13]
	v_fma_f64 v[22:23], -v[24:25], v[12:13], v[56:57]
	global_load_dwordx4 v[56:59], v[46:47], off offset:112
	global_load_dwordx4 v[60:63], v[46:47], off offset:96
	;; [unrolled: 1-line block ×4, first 2 shown]
	v_fmac_f64_e32 v[42:43], v[24:25], v[10:11]
	v_fmac_f64_e32 v[42:43], v[52:53], v[12:13]
	s_waitcnt vmcnt(0)
	v_cvt_f64_f32_e32 v[24:25], v78
	v_cvt_f64_f32_e32 v[52:53], v79
	v_fmac_f64_e32 v[54:55], v[24:25], v[70:71]
	v_fmac_f64_e32 v[40:41], v[52:53], v[70:71]
	v_fma_f64 v[54:55], -v[52:53], v[72:73], v[54:55]
	v_fmac_f64_e32 v[40:41], v[24:25], v[72:73]
	v_cvt_f64_f32_e32 v[24:25], v80
	v_cvt_f64_f32_e32 v[52:53], v81
	v_fmac_f64_e32 v[54:55], v[24:25], v[66:67]
	v_fmac_f64_e32 v[40:41], v[52:53], v[66:67]
	v_fma_f64 v[54:55], -v[52:53], v[68:69], v[54:55]
	v_fmac_f64_e32 v[40:41], v[24:25], v[68:69]
	;; [unrolled: 6-line block ×7, first 2 shown]
	v_cvt_f64_f32_e32 v[14:15], v58
	v_cvt_f64_f32_e32 v[16:17], v59
	v_fmac_f64_e32 v[20:21], v[14:15], v[10:11]
	v_fmac_f64_e32 v[36:37], v[16:17], v[10:11]
	global_load_dwordx2 v[10:11], v[50:51], off offset:-32
	v_fma_f64 v[24:25], -v[16:17], v[12:13], v[20:21]
	v_fmac_f64_e32 v[36:37], v[14:15], v[12:13]
	global_load_dwordx4 v[12:15], v[46:47], off offset:560
	global_load_dwordx4 v[52:55], v[46:47], off offset:544
	;; [unrolled: 1-line block ×4, first 2 shown]
	s_waitcnt vmcnt(4)
	v_sub_co_u32_e32 v10, vcc, v10, v28
	s_nop 1
	v_subb_co_u32_e32 v11, vcc, v11, v29, vcc
	v_lshlrev_b64 v[10:11], 6, v[10:11]
	v_lshl_add_u64 v[10:11], s[4:5], 0, v[10:11]
	global_load_dwordx4 v[64:67], v[10:11], off offset:48
	global_load_dwordx4 v[68:71], v[10:11], off offset:32
	;; [unrolled: 1-line block ×3, first 2 shown]
	global_load_dwordx4 v[76:79], v[10:11], off
	s_waitcnt vmcnt(4)
	v_cvt_f64_f32_e32 v[16:17], v60
	v_cvt_f64_f32_e32 v[20:21], v61
	s_waitcnt vmcnt(0)
	v_fmac_f64_e32 v[18:19], v[16:17], v[76:77]
	v_fmac_f64_e32 v[38:39], v[20:21], v[76:77]
	v_fma_f64 v[10:11], -v[20:21], v[78:79], v[18:19]
	v_fmac_f64_e32 v[38:39], v[16:17], v[78:79]
	v_cvt_f64_f32_e32 v[16:17], v62
	v_cvt_f64_f32_e32 v[18:19], v63
	v_fmac_f64_e32 v[10:11], v[16:17], v[72:73]
	v_fmac_f64_e32 v[38:39], v[18:19], v[72:73]
	v_fma_f64 v[10:11], -v[18:19], v[74:75], v[10:11]
	v_fmac_f64_e32 v[38:39], v[16:17], v[74:75]
	v_cvt_f64_f32_e32 v[16:17], v56
	v_cvt_f64_f32_e32 v[18:19], v57
	;; [unrolled: 6-line block ×7, first 2 shown]
	v_fmac_f64_e32 v[18:19], v[16:17], v[64:65]
	v_fmac_f64_e32 v[42:43], v[14:15], v[64:65]
	v_fma_f64 v[12:13], -v[14:15], v[66:67], v[18:19]
	v_fmac_f64_e32 v[42:43], v[16:17], v[66:67]
	global_load_dwordx4 v[16:19], v[46:47], off offset:624
	global_load_dwordx4 v[20:23], v[46:47], off offset:608
	;; [unrolled: 1-line block ×4, first 2 shown]
	s_waitcnt vmcnt(0)
	v_cvt_f64_f32_e32 v[14:15], v56
	v_cvt_f64_f32_e32 v[56:57], v57
	v_fmac_f64_e32 v[80:81], v[14:15], v[76:77]
	v_fmac_f64_e32 v[40:41], v[56:57], v[76:77]
	v_fma_f64 v[60:61], -v[56:57], v[78:79], v[80:81]
	v_fmac_f64_e32 v[40:41], v[14:15], v[78:79]
	v_cvt_f64_f32_e32 v[14:15], v58
	v_cvt_f64_f32_e32 v[56:57], v59
	v_fmac_f64_e32 v[60:61], v[14:15], v[72:73]
	v_fmac_f64_e32 v[40:41], v[56:57], v[72:73]
	v_fma_f64 v[58:59], -v[56:57], v[74:75], v[60:61]
	v_fmac_f64_e32 v[40:41], v[14:15], v[74:75]
	;; [unrolled: 6-line block ×3, first 2 shown]
	v_cvt_f64_f32_e32 v[52:53], v54
	v_cvt_f64_f32_e32 v[54:55], v55
	v_fmac_f64_e32 v[40:41], v[54:55], v[64:65]
	v_fmac_f64_e32 v[56:57], v[52:53], v[64:65]
	;; [unrolled: 1-line block ×3, first 2 shown]
	v_cvt_f64_f32_e32 v[52:53], v20
	v_cvt_f64_f32_e32 v[20:21], v21
	v_fmac_f64_e32 v[24:25], v[52:53], v[76:77]
	v_fmac_f64_e32 v[36:37], v[20:21], v[76:77]
	v_fma_f64 v[24:25], -v[20:21], v[78:79], v[24:25]
	v_fmac_f64_e32 v[36:37], v[52:53], v[78:79]
	v_cvt_f64_f32_e32 v[20:21], v22
	v_cvt_f64_f32_e32 v[22:23], v23
	v_fmac_f64_e32 v[24:25], v[20:21], v[72:73]
	v_fmac_f64_e32 v[36:37], v[22:23], v[72:73]
	v_fma_f64 v[24:25], -v[22:23], v[74:75], v[24:25]
	v_fmac_f64_e32 v[36:37], v[20:21], v[74:75]
	v_cvt_f64_f32_e32 v[20:21], v16
	v_cvt_f64_f32_e32 v[16:17], v17
	v_fmac_f64_e32 v[24:25], v[20:21], v[68:69]
	v_fmac_f64_e32 v[36:37], v[16:17], v[68:69]
	v_fma_f64 v[22:23], -v[16:17], v[70:71], v[24:25]
	v_fmac_f64_e32 v[36:37], v[20:21], v[70:71]
	v_cvt_f64_f32_e32 v[20:21], v18
	v_cvt_f64_f32_e32 v[18:19], v19
	v_fmac_f64_e32 v[22:23], v[20:21], v[64:65]
	v_fma_f64 v[16:17], -v[18:19], v[66:67], v[22:23]
	v_fmac_f64_e32 v[36:37], v[18:19], v[64:65]
	global_load_dwordx2 v[18:19], v[50:51], off
	v_fma_f64 v[14:15], -v[54:55], v[66:67], v[56:57]
	v_fmac_f64_e32 v[36:37], v[20:21], v[66:67]
	s_waitcnt vmcnt(0)
	v_sub_co_u32_e32 v60, vcc, v18, v28
	s_nop 1
	v_subb_co_u32_e32 v61, vcc, v19, v29, vcc
	v_lshlrev_b64 v[60:61], 6, v[60:61]
	global_load_dwordx4 v[18:21], v[46:47], off offset:1072
	global_load_dwordx4 v[22:25], v[46:47], off offset:1056
	;; [unrolled: 1-line block ×4, first 2 shown]
	v_lshl_add_u64 v[78:79], s[4:5], 0, v[60:61]
	global_load_dwordx4 v[60:63], v[78:79], off offset:48
	global_load_dwordx4 v[64:67], v[78:79], off offset:32
	;; [unrolled: 1-line block ×3, first 2 shown]
	global_load_dwordx4 v[72:75], v[78:79], off
	s_waitcnt vmcnt(4)
	v_cvt_f64_f32_e32 v[76:77], v56
	v_cvt_f64_f32_e32 v[56:57], v57
	s_waitcnt vmcnt(0)
	v_fmac_f64_e32 v[10:11], v[76:77], v[72:73]
	v_fmac_f64_e32 v[38:39], v[56:57], v[72:73]
	v_fma_f64 v[10:11], -v[56:57], v[74:75], v[10:11]
	v_fmac_f64_e32 v[38:39], v[76:77], v[74:75]
	v_cvt_f64_f32_e32 v[56:57], v58
	v_cvt_f64_f32_e32 v[58:59], v59
	v_fmac_f64_e32 v[10:11], v[56:57], v[68:69]
	v_fmac_f64_e32 v[38:39], v[58:59], v[68:69]
	v_fma_f64 v[10:11], -v[58:59], v[70:71], v[10:11]
	v_fmac_f64_e32 v[38:39], v[56:57], v[70:71]
	v_cvt_f64_f32_e32 v[56:57], v52
	v_cvt_f64_f32_e32 v[52:53], v53
	;; [unrolled: 6-line block ×3, first 2 shown]
	v_fmac_f64_e32 v[10:11], v[56:57], v[60:61]
	v_fma_f64 v[52:53], -v[54:55], v[62:63], v[10:11]
	v_cvt_f64_f32_e32 v[10:11], v22
	v_cvt_f64_f32_e32 v[22:23], v23
	v_fmac_f64_e32 v[12:13], v[10:11], v[72:73]
	v_fmac_f64_e32 v[42:43], v[22:23], v[72:73]
	v_fma_f64 v[12:13], -v[22:23], v[74:75], v[12:13]
	v_fmac_f64_e32 v[42:43], v[10:11], v[74:75]
	v_cvt_f64_f32_e32 v[10:11], v24
	v_cvt_f64_f32_e32 v[22:23], v25
	v_fmac_f64_e32 v[12:13], v[10:11], v[68:69]
	v_fmac_f64_e32 v[42:43], v[22:23], v[68:69]
	v_fma_f64 v[12:13], -v[22:23], v[70:71], v[12:13]
	v_fmac_f64_e32 v[42:43], v[10:11], v[70:71]
	;; [unrolled: 6-line block ×3, first 2 shown]
	v_cvt_f64_f32_e32 v[10:11], v20
	v_cvt_f64_f32_e32 v[18:19], v21
	v_fmac_f64_e32 v[38:39], v[54:55], v[60:61]
	v_fmac_f64_e32 v[12:13], v[10:11], v[60:61]
	;; [unrolled: 1-line block ×4, first 2 shown]
	v_fma_f64 v[56:57], -v[18:19], v[62:63], v[12:13]
	v_fmac_f64_e32 v[42:43], v[10:11], v[62:63]
	global_load_dwordx4 v[10:13], v[46:47], off offset:1136
	global_load_dwordx4 v[18:21], v[46:47], off offset:1120
	;; [unrolled: 1-line block ×4, first 2 shown]
	s_waitcnt vmcnt(0)
	v_cvt_f64_f32_e32 v[54:55], v76
	v_cvt_f64_f32_e32 v[58:59], v77
	v_fmac_f64_e32 v[14:15], v[54:55], v[72:73]
	v_fmac_f64_e32 v[40:41], v[58:59], v[72:73]
	v_fma_f64 v[14:15], -v[58:59], v[74:75], v[14:15]
	v_fmac_f64_e32 v[40:41], v[54:55], v[74:75]
	v_cvt_f64_f32_e32 v[54:55], v78
	v_cvt_f64_f32_e32 v[58:59], v79
	v_fmac_f64_e32 v[14:15], v[54:55], v[68:69]
	v_fmac_f64_e32 v[40:41], v[58:59], v[68:69]
	v_fma_f64 v[14:15], -v[58:59], v[70:71], v[14:15]
	v_fmac_f64_e32 v[40:41], v[54:55], v[70:71]
	v_cvt_f64_f32_e32 v[54:55], v22
	v_cvt_f64_f32_e32 v[22:23], v23
	v_fmac_f64_e32 v[14:15], v[54:55], v[64:65]
	v_fma_f64 v[14:15], -v[22:23], v[66:67], v[14:15]
	v_fmac_f64_e32 v[40:41], v[22:23], v[64:65]
	v_cvt_f64_f32_e32 v[22:23], v24
	v_cvt_f64_f32_e32 v[24:25], v25
	v_fmac_f64_e32 v[14:15], v[22:23], v[60:61]
	v_fmac_f64_e32 v[40:41], v[54:55], v[66:67]
	v_fma_f64 v[54:55], -v[24:25], v[62:63], v[14:15]
	v_cvt_f64_f32_e32 v[14:15], v18
	v_cvt_f64_f32_e32 v[18:19], v19
	v_fmac_f64_e32 v[16:17], v[14:15], v[72:73]
	v_fmac_f64_e32 v[36:37], v[18:19], v[72:73]
	v_fma_f64 v[16:17], -v[18:19], v[74:75], v[16:17]
	v_fmac_f64_e32 v[36:37], v[14:15], v[74:75]
	v_cvt_f64_f32_e32 v[14:15], v20
	v_cvt_f64_f32_e32 v[18:19], v21
	v_fmac_f64_e32 v[16:17], v[14:15], v[68:69]
	v_fmac_f64_e32 v[36:37], v[18:19], v[68:69]
	v_fma_f64 v[16:17], -v[18:19], v[70:71], v[16:17]
	v_fmac_f64_e32 v[36:37], v[14:15], v[70:71]
	;; [unrolled: 6-line block ×3, first 2 shown]
	v_cvt_f64_f32_e32 v[10:11], v12
	v_cvt_f64_f32_e32 v[12:13], v13
	v_fmac_f64_e32 v[36:37], v[12:13], v[60:61]
	v_fmac_f64_e32 v[16:17], v[10:11], v[60:61]
	;; [unrolled: 1-line block ×3, first 2 shown]
	global_load_dwordx2 v[10:11], v[50:51], off offset:32
	v_fmac_f64_e32 v[40:41], v[24:25], v[60:61]
	v_fmac_f64_e32 v[40:41], v[22:23], v[62:63]
	v_fma_f64 v[58:59], -v[12:13], v[62:63], v[16:17]
	global_load_dwordx4 v[60:63], v[46:47], off offset:1584
	global_load_dwordx4 v[64:67], v[46:47], off offset:1568
	;; [unrolled: 1-line block ×4, first 2 shown]
	v_lshl_add_u64 v[50:51], v[50:51], 0, s[16:17]
	s_waitcnt vmcnt(4)
	v_sub_co_u32_e32 v10, vcc, v10, v28
	s_nop 1
	v_subb_co_u32_e32 v11, vcc, v11, v29, vcc
	v_lshlrev_b64 v[10:11], 6, v[10:11]
	v_lshl_add_u64 v[78:79], s[4:5], 0, v[10:11]
	global_load_dwordx4 v[10:13], v[78:79], off offset:48
	global_load_dwordx4 v[14:17], v[78:79], off offset:32
	global_load_dwordx4 v[18:21], v[78:79], off offset:16
	global_load_dwordx4 v[22:25], v[78:79], off
	s_waitcnt vmcnt(4)
	v_cvt_f64_f32_e32 v[76:77], v72
	v_cvt_f64_f32_e32 v[72:73], v73
	v_cmp_ge_i64_e32 vcc, v[48:49], v[32:33]
	s_or_b64 s[12:13], vcc, s[12:13]
	s_waitcnt vmcnt(0)
	v_fmac_f64_e32 v[52:53], v[76:77], v[22:23]
	v_fmac_f64_e32 v[38:39], v[72:73], v[22:23]
	v_fma_f64 v[52:53], -v[72:73], v[24:25], v[52:53]
	v_fmac_f64_e32 v[38:39], v[76:77], v[24:25]
	v_cvt_f64_f32_e32 v[72:73], v74
	v_cvt_f64_f32_e32 v[74:75], v75
	v_fmac_f64_e32 v[52:53], v[72:73], v[18:19]
	v_fmac_f64_e32 v[38:39], v[74:75], v[18:19]
	v_fma_f64 v[52:53], -v[74:75], v[20:21], v[52:53]
	v_fmac_f64_e32 v[38:39], v[72:73], v[20:21]
	v_cvt_f64_f32_e32 v[72:73], v68
	v_cvt_f64_f32_e32 v[68:69], v69
	;; [unrolled: 6-line block ×3, first 2 shown]
	v_fmac_f64_e32 v[38:39], v[70:71], v[10:11]
	v_fmac_f64_e32 v[52:53], v[68:69], v[10:11]
	v_fmac_f64_e32 v[38:39], v[68:69], v[12:13]
	v_cvt_f64_f32_e32 v[68:69], v64
	v_cvt_f64_f32_e32 v[64:65], v65
	v_fmac_f64_e32 v[56:57], v[68:69], v[22:23]
	v_fmac_f64_e32 v[42:43], v[64:65], v[22:23]
	v_fma_f64 v[56:57], -v[64:65], v[24:25], v[56:57]
	v_fmac_f64_e32 v[42:43], v[68:69], v[24:25]
	v_cvt_f64_f32_e32 v[64:65], v66
	v_cvt_f64_f32_e32 v[66:67], v67
	v_fmac_f64_e32 v[56:57], v[64:65], v[18:19]
	v_fmac_f64_e32 v[42:43], v[66:67], v[18:19]
	v_fma_f64 v[56:57], -v[66:67], v[20:21], v[56:57]
	v_fmac_f64_e32 v[42:43], v[64:65], v[20:21]
	;; [unrolled: 6-line block ×3, first 2 shown]
	v_cvt_f64_f32_e32 v[60:61], v62
	v_cvt_f64_f32_e32 v[62:63], v63
	v_fmac_f64_e32 v[56:57], v[60:61], v[10:11]
	v_fmac_f64_e32 v[42:43], v[62:63], v[10:11]
	v_fma_f64 v[52:53], -v[70:71], v[12:13], v[52:53]
	v_fma_f64 v[56:57], -v[62:63], v[12:13], v[56:57]
	v_fmac_f64_e32 v[42:43], v[60:61], v[12:13]
	global_load_dwordx4 v[60:63], v[46:47], off offset:1648
	global_load_dwordx4 v[64:67], v[46:47], off offset:1632
	;; [unrolled: 1-line block ×4, first 2 shown]
	v_lshl_add_u64 v[46:47], v[46:47], 0, s[14:15]
	s_waitcnt vmcnt(0)
	v_cvt_f64_f32_e32 v[76:77], v72
	v_cvt_f64_f32_e32 v[72:73], v73
	v_fmac_f64_e32 v[54:55], v[76:77], v[22:23]
	v_fmac_f64_e32 v[40:41], v[72:73], v[22:23]
	v_fma_f64 v[54:55], -v[72:73], v[24:25], v[54:55]
	v_fmac_f64_e32 v[40:41], v[76:77], v[24:25]
	v_cvt_f64_f32_e32 v[72:73], v74
	v_cvt_f64_f32_e32 v[74:75], v75
	v_fmac_f64_e32 v[54:55], v[72:73], v[18:19]
	v_fmac_f64_e32 v[40:41], v[74:75], v[18:19]
	v_fma_f64 v[54:55], -v[74:75], v[20:21], v[54:55]
	v_fmac_f64_e32 v[40:41], v[72:73], v[20:21]
	;; [unrolled: 6-line block ×3, first 2 shown]
	v_cvt_f64_f32_e32 v[68:69], v70
	v_cvt_f64_f32_e32 v[70:71], v71
	v_fmac_f64_e32 v[40:41], v[70:71], v[10:11]
	v_fmac_f64_e32 v[54:55], v[68:69], v[10:11]
	;; [unrolled: 1-line block ×3, first 2 shown]
	v_cvt_f64_f32_e32 v[68:69], v64
	v_cvt_f64_f32_e32 v[64:65], v65
	v_fmac_f64_e32 v[58:59], v[68:69], v[22:23]
	v_fmac_f64_e32 v[36:37], v[64:65], v[22:23]
	v_fma_f64 v[58:59], -v[64:65], v[24:25], v[58:59]
	v_fmac_f64_e32 v[36:37], v[68:69], v[24:25]
	v_cvt_f64_f32_e32 v[22:23], v66
	v_cvt_f64_f32_e32 v[24:25], v67
	v_fmac_f64_e32 v[58:59], v[22:23], v[18:19]
	v_fmac_f64_e32 v[36:37], v[24:25], v[18:19]
	v_fma_f64 v[58:59], -v[24:25], v[20:21], v[58:59]
	v_fmac_f64_e32 v[36:37], v[22:23], v[20:21]
	;; [unrolled: 6-line block ×3, first 2 shown]
	v_cvt_f64_f32_e32 v[14:15], v62
	v_cvt_f64_f32_e32 v[16:17], v63
	v_fmac_f64_e32 v[22:23], v[14:15], v[10:11]
	v_fmac_f64_e32 v[36:37], v[16:17], v[10:11]
	v_fma_f64 v[54:55], -v[70:71], v[12:13], v[54:55]
	v_fma_f64 v[20:21], -v[16:17], v[12:13], v[22:23]
	v_fmac_f64_e32 v[36:37], v[14:15], v[12:13]
	s_andn2_b64 exec, exec, s[12:13]
	s_cbranch_execnz .LBB175_21
; %bb.22:
	s_or_b64 exec, exec, s[12:13]
.LBB175_23:
	s_or_b64 exec, exec, s[10:11]
.LBB175_24:
	s_or_b64 exec, exec, s[6:7]
	s_cbranch_execz .LBB175_26
	s_branch .LBB175_37
.LBB175_25:
                                        ; implicit-def: $vgpr38_vgpr39
                                        ; implicit-def: $vgpr52_vgpr53
                                        ; implicit-def: $vgpr42_vgpr43
                                        ; implicit-def: $vgpr56_vgpr57
                                        ; implicit-def: $vgpr40_vgpr41
                                        ; implicit-def: $vgpr54_vgpr55
                                        ; implicit-def: $vgpr36_vgpr37
                                        ; implicit-def: $vgpr20_vgpr21
.LBB175_26:
	v_mov_b64_e32 v[38:39], 0
	v_mov_b64_e32 v[52:53], 0
	;; [unrolled: 1-line block ×8, first 2 shown]
	s_and_saveexec_b64 s[6:7], s[2:3]
	s_cbranch_execz .LBB175_36
; %bb.27:
	v_or_b32_e32 v1, 4, v0
	v_sub_co_u32_e32 v10, vcc, v1, v28
	v_not_b32_e32 v13, v45
	s_nop 0
	v_subb_co_u32_e32 v11, vcc, 0, v29, vcc
	v_lshl_add_u64 v[10:11], v[10:11], 0, v[44:45]
	v_cmp_gt_i64_e32 vcc, v[10:11], v[32:33]
	v_not_b32_e32 v12, v44
	v_mov_b64_e32 v[20:21], 0
	v_cndmask_b32_e32 v11, v33, v11, vcc
	v_cndmask_b32_e32 v10, v32, v10, vcc
	v_sub_co_u32_e32 v14, vcc, v28, v0
	v_mov_b64_e32 v[36:37], 0
	s_nop 0
	v_subbrev_co_u32_e32 v15, vcc, 0, v29, vcc
	v_lshl_add_u64 v[12:13], v[14:15], 0, v[12:13]
	v_lshl_add_u64 v[10:11], v[12:13], 0, v[10:11]
	v_and_b32_e32 v12, 12, v10
	v_mov_b32_e32 v13, 0
	v_cmp_ne_u64_e32 vcc, 12, v[12:13]
	v_mov_b64_e32 v[54:55], 0
	v_mov_b64_e32 v[40:41], 0
	v_mov_b64_e32 v[56:57], 0
	v_mov_b64_e32 v[42:43], 0
	v_mov_b64_e32 v[52:53], 0
	v_mov_b64_e32 v[38:39], 0
	s_and_saveexec_b64 s[2:3], vcc
	s_cbranch_execz .LBB175_31
; %bb.28:
	v_lshrrev_b32_e32 v1, 2, v10
	v_add_u32_e32 v1, 1, v1
	v_and_b32_e32 v1, 3, v1
	v_sub_co_u32_e32 v14, vcc, 0, v1
	v_lshl_add_u64 v[12:13], v[30:31], 3, s[8:9]
	s_nop 0
	v_subb_co_u32_e64 v15, s[12:13], 0, 0, vcc
	s_mov_b64 s[10:11], 0
	v_mov_b64_e32 v[38:39], 0
	s_mov_b64 s[12:13], 0x200
	v_mov_b64_e32 v[52:53], 0
	v_mov_b64_e32 v[42:43], 0
	;; [unrolled: 1-line block ×7, first 2 shown]
.LBB175_29:                             ; =>This Inner Loop Header: Depth=1
	global_load_dwordx2 v[74:75], v[12:13], off
	global_load_dwordx4 v[16:19], v[34:35], off
	global_load_dwordx4 v[22:25], v[34:35], off offset:16
	global_load_dwordx4 v[44:47], v[34:35], off offset:32
	;; [unrolled: 1-line block ×7, first 2 shown]
	v_lshl_add_u64 v[14:15], v[14:15], 0, 1
	v_cmp_eq_u64_e32 vcc, 0, v[14:15]
	s_or_b64 s[10:11], vcc, s[10:11]
	v_lshl_add_u64 v[34:35], v[34:35], 0, s[12:13]
	v_lshl_add_u64 v[30:31], v[30:31], 0, 4
	;; [unrolled: 1-line block ×3, first 2 shown]
	s_waitcnt vmcnt(8)
	v_sub_co_u32_e32 v74, vcc, v74, v28
	s_nop 1
	v_subb_co_u32_e32 v75, vcc, v75, v29, vcc
	s_waitcnt vmcnt(7)
	v_cvt_f64_f32_e32 v[78:79], v16
	v_cvt_f64_f32_e32 v[80:81], v17
	v_lshlrev_b64 v[16:17], 6, v[74:75]
	v_lshl_add_u64 v[106:107], s[4:5], 0, v[16:17]
	v_cvt_f64_f32_e32 v[82:83], v18
	v_cvt_f64_f32_e32 v[84:85], v19
	s_waitcnt vmcnt(6)
	v_cvt_f64_f32_e32 v[86:87], v22
	v_cvt_f64_f32_e32 v[88:89], v23
	;; [unrolled: 1-line block ×4, first 2 shown]
	s_waitcnt vmcnt(5)
	v_cvt_f64_f32_e32 v[94:95], v44
	v_cvt_f64_f32_e32 v[96:97], v45
	;; [unrolled: 1-line block ×4, first 2 shown]
	global_load_dwordx4 v[16:19], v[106:107], off
	global_load_dwordx4 v[22:25], v[106:107], off offset:16
	global_load_dwordx4 v[44:47], v[106:107], off offset:32
	global_load_dwordx4 v[74:77], v[106:107], off offset:48
	s_waitcnt vmcnt(8)
	v_cvt_f64_f32_e32 v[102:103], v48
	v_cvt_f64_f32_e32 v[48:49], v49
	v_cvt_f64_f32_e32 v[104:105], v50
	v_cvt_f64_f32_e32 v[50:51], v51
	s_waitcnt vmcnt(7)
	v_cvt_f64_f32_e32 v[106:107], v58
	v_cvt_f64_f32_e32 v[58:59], v59
	v_cvt_f64_f32_e32 v[108:109], v60
	v_cvt_f64_f32_e32 v[60:61], v61
	s_waitcnt vmcnt(6)
	v_cvt_f64_f32_e32 v[110:111], v62
	v_cvt_f64_f32_e32 v[62:63], v63
	v_cvt_f64_f32_e32 v[112:113], v64
	v_cvt_f64_f32_e32 v[64:65], v65
	s_waitcnt vmcnt(5)
	v_cvt_f64_f32_e32 v[114:115], v66
	v_cvt_f64_f32_e32 v[66:67], v67
	v_cvt_f64_f32_e32 v[116:117], v68
	v_cvt_f64_f32_e32 v[68:69], v69
	s_waitcnt vmcnt(4)
	v_cvt_f64_f32_e32 v[118:119], v70
	v_cvt_f64_f32_e32 v[70:71], v71
	v_cvt_f64_f32_e32 v[120:121], v72
	v_cvt_f64_f32_e32 v[72:73], v73
	s_waitcnt vmcnt(3)
	v_fmac_f64_e32 v[52:53], v[78:79], v[16:17]
	v_fmac_f64_e32 v[38:39], v[80:81], v[16:17]
	v_fmac_f64_e32 v[56:57], v[82:83], v[16:17]
	v_fmac_f64_e32 v[42:43], v[84:85], v[16:17]
	v_fmac_f64_e32 v[54:55], v[86:87], v[16:17]
	v_fmac_f64_e32 v[40:41], v[88:89], v[16:17]
	v_fmac_f64_e32 v[20:21], v[90:91], v[16:17]
	v_fmac_f64_e32 v[36:37], v[92:93], v[16:17]
	v_fma_f64 v[16:17], -v[80:81], v[18:19], v[52:53]
	v_fmac_f64_e32 v[38:39], v[78:79], v[18:19]
	v_fma_f64 v[52:53], -v[84:85], v[18:19], v[56:57]
	v_fmac_f64_e32 v[42:43], v[82:83], v[18:19]
	v_fma_f64 v[54:55], -v[88:89], v[18:19], v[54:55]
	v_fmac_f64_e32 v[40:41], v[86:87], v[18:19]
	v_fma_f64 v[20:21], -v[92:93], v[18:19], v[20:21]
	v_fmac_f64_e32 v[36:37], v[90:91], v[18:19]
	s_waitcnt vmcnt(2)
	v_fmac_f64_e32 v[16:17], v[94:95], v[22:23]
	v_fmac_f64_e32 v[38:39], v[96:97], v[22:23]
	v_fmac_f64_e32 v[52:53], v[98:99], v[22:23]
	v_fmac_f64_e32 v[42:43], v[100:101], v[22:23]
	v_fmac_f64_e32 v[54:55], v[102:103], v[22:23]
	v_fmac_f64_e32 v[40:41], v[48:49], v[22:23]
	v_fmac_f64_e32 v[20:21], v[104:105], v[22:23]
	v_fmac_f64_e32 v[36:37], v[50:51], v[22:23]
	v_fma_f64 v[16:17], -v[96:97], v[24:25], v[16:17]
	v_fmac_f64_e32 v[38:39], v[94:95], v[24:25]
	v_fma_f64 v[18:19], -v[100:101], v[24:25], v[52:53]
	v_fmac_f64_e32 v[42:43], v[98:99], v[24:25]
	v_fma_f64 v[22:23], -v[48:49], v[24:25], v[54:55]
	v_fmac_f64_e32 v[40:41], v[102:103], v[24:25]
	v_fma_f64 v[20:21], -v[50:51], v[24:25], v[20:21]
	v_fmac_f64_e32 v[36:37], v[104:105], v[24:25]
	;; [unrolled: 17-line block ×4, first 2 shown]
	s_andn2_b64 exec, exec, s[10:11]
	s_cbranch_execnz .LBB175_29
; %bb.30:
	s_or_b64 exec, exec, s[10:11]
.LBB175_31:
	s_or_b64 exec, exec, s[2:3]
	v_cmp_lt_u64_e32 vcc, 11, v[10:11]
	s_and_saveexec_b64 s[2:3], vcc
	s_cbranch_execz .LBB175_35
; %bb.32:
	v_lshl_add_u64 v[10:11], v[30:31], 3, s[8:9]
	v_lshl_add_u64 v[18:19], v[10:11], 0, 64
	s_mov_b64 s[8:9], 0
	s_mov_b64 s[10:11], 0x800
	;; [unrolled: 1-line block ×3, first 2 shown]
.LBB175_33:                             ; =>This Inner Loop Header: Depth=1
	global_load_dwordx2 v[10:11], v[18:19], off offset:-64
	global_load_dwordx4 v[14:17], v[34:35], off offset:48
	global_load_dwordx4 v[22:25], v[34:35], off offset:32
	;; [unrolled: 1-line block ×3, first 2 shown]
	global_load_dwordx4 v[48:51], v[34:35], off
	v_lshl_add_u64 v[30:31], v[30:31], 0, 16
	s_waitcnt vmcnt(4)
	v_sub_co_u32_e32 v10, vcc, v10, v28
	s_nop 1
	v_subb_co_u32_e32 v11, vcc, v11, v29, vcc
	v_lshlrev_b64 v[10:11], 6, v[10:11]
	v_lshl_add_u64 v[72:73], s[4:5], 0, v[10:11]
	global_load_dwordx4 v[10:13], v[72:73], off offset:48
	global_load_dwordx4 v[58:61], v[72:73], off offset:32
	;; [unrolled: 1-line block ×3, first 2 shown]
	global_load_dwordx4 v[66:69], v[72:73], off
	s_waitcnt vmcnt(4)
	v_cvt_f64_f32_e32 v[70:71], v48
	v_cvt_f64_f32_e32 v[48:49], v49
	s_waitcnt vmcnt(0)
	v_fmac_f64_e32 v[52:53], v[70:71], v[66:67]
	v_fma_f64 v[52:53], -v[48:49], v[68:69], v[52:53]
	v_fmac_f64_e32 v[38:39], v[48:49], v[66:67]
	v_cvt_f64_f32_e32 v[48:49], v50
	v_cvt_f64_f32_e32 v[50:51], v51
	v_fmac_f64_e32 v[42:43], v[50:51], v[66:67]
	v_fmac_f64_e32 v[56:57], v[48:49], v[66:67]
	;; [unrolled: 1-line block ×3, first 2 shown]
	v_cvt_f64_f32_e32 v[48:49], v44
	v_cvt_f64_f32_e32 v[44:45], v45
	v_fmac_f64_e32 v[54:55], v[48:49], v[66:67]
	v_fma_f64 v[56:57], -v[50:51], v[68:69], v[56:57]
	v_fma_f64 v[50:51], -v[44:45], v[68:69], v[54:55]
	v_fmac_f64_e32 v[40:41], v[44:45], v[66:67]
	v_cvt_f64_f32_e32 v[44:45], v46
	v_cvt_f64_f32_e32 v[46:47], v47
	v_fmac_f64_e32 v[36:37], v[46:47], v[66:67]
	v_fmac_f64_e32 v[20:21], v[44:45], v[66:67]
	;; [unrolled: 1-line block ×3, first 2 shown]
	v_cvt_f64_f32_e32 v[44:45], v22
	v_fmac_f64_e32 v[38:39], v[70:71], v[68:69]
	v_cvt_f64_f32_e32 v[22:23], v23
	v_fmac_f64_e32 v[52:53], v[44:45], v[62:63]
	v_fma_f64 v[52:53], -v[22:23], v[64:65], v[52:53]
	v_fmac_f64_e32 v[38:39], v[22:23], v[62:63]
	v_cvt_f64_f32_e32 v[22:23], v24
	v_cvt_f64_f32_e32 v[24:25], v25
	v_fmac_f64_e32 v[42:43], v[24:25], v[62:63]
	v_fmac_f64_e32 v[56:57], v[22:23], v[62:63]
	;; [unrolled: 1-line block ×3, first 2 shown]
	v_cvt_f64_f32_e32 v[22:23], v14
	v_fmac_f64_e32 v[40:41], v[48:49], v[68:69]
	v_cvt_f64_f32_e32 v[14:15], v15
	v_fmac_f64_e32 v[50:51], v[22:23], v[62:63]
	v_fma_f64 v[20:21], -v[46:47], v[68:69], v[20:21]
	v_fma_f64 v[54:55], -v[24:25], v[64:65], v[56:57]
	;; [unrolled: 1-line block ×3, first 2 shown]
	v_fmac_f64_e32 v[40:41], v[14:15], v[62:63]
	v_cvt_f64_f32_e32 v[14:15], v16
	v_cvt_f64_f32_e32 v[16:17], v17
	v_fmac_f64_e32 v[20:21], v[14:15], v[62:63]
	v_fmac_f64_e32 v[36:37], v[16:17], v[62:63]
	;; [unrolled: 1-line block ×4, first 2 shown]
	v_fma_f64 v[56:57], -v[16:17], v[64:65], v[20:21]
	v_fmac_f64_e32 v[36:37], v[14:15], v[64:65]
	global_load_dwordx4 v[14:17], v[34:35], off offset:112
	global_load_dwordx4 v[20:23], v[34:35], off offset:96
	;; [unrolled: 1-line block ×4, first 2 shown]
	s_waitcnt vmcnt(0)
	v_cvt_f64_f32_e32 v[62:63], v48
	v_cvt_f64_f32_e32 v[48:49], v49
	v_fmac_f64_e32 v[52:53], v[62:63], v[58:59]
	v_fma_f64 v[52:53], -v[48:49], v[60:61], v[52:53]
	v_fmac_f64_e32 v[38:39], v[48:49], v[58:59]
	v_cvt_f64_f32_e32 v[48:49], v50
	v_cvt_f64_f32_e32 v[50:51], v51
	v_fmac_f64_e32 v[42:43], v[50:51], v[58:59]
	v_fmac_f64_e32 v[54:55], v[48:49], v[58:59]
	;; [unrolled: 1-line block ×3, first 2 shown]
	v_cvt_f64_f32_e32 v[48:49], v44
	v_cvt_f64_f32_e32 v[44:45], v45
	v_fmac_f64_e32 v[24:25], v[48:49], v[58:59]
	v_fma_f64 v[24:25], -v[44:45], v[60:61], v[24:25]
	v_fmac_f64_e32 v[40:41], v[44:45], v[58:59]
	v_cvt_f64_f32_e32 v[44:45], v46
	v_cvt_f64_f32_e32 v[46:47], v47
	v_fmac_f64_e32 v[36:37], v[46:47], v[58:59]
	v_fmac_f64_e32 v[56:57], v[44:45], v[58:59]
	;; [unrolled: 1-line block ×3, first 2 shown]
	v_cvt_f64_f32_e32 v[44:45], v20
	v_fmac_f64_e32 v[38:39], v[62:63], v[60:61]
	v_cvt_f64_f32_e32 v[20:21], v21
	v_fmac_f64_e32 v[52:53], v[44:45], v[10:11]
	v_fma_f64 v[64:65], -v[20:21], v[12:13], v[52:53]
	v_fmac_f64_e32 v[38:39], v[20:21], v[10:11]
	v_cvt_f64_f32_e32 v[20:21], v22
	v_cvt_f64_f32_e32 v[22:23], v23
	v_fma_f64 v[54:55], -v[50:51], v[60:61], v[54:55]
	v_fmac_f64_e32 v[42:43], v[22:23], v[10:11]
	v_fmac_f64_e32 v[54:55], v[20:21], v[10:11]
	;; [unrolled: 1-line block ×3, first 2 shown]
	v_cvt_f64_f32_e32 v[20:21], v14
	v_fmac_f64_e32 v[40:41], v[48:49], v[60:61]
	v_cvt_f64_f32_e32 v[14:15], v15
	v_fmac_f64_e32 v[24:25], v[20:21], v[10:11]
	v_fma_f64 v[48:49], -v[46:47], v[60:61], v[56:57]
	v_fma_f64 v[24:25], -v[14:15], v[12:13], v[24:25]
	v_fmac_f64_e32 v[40:41], v[14:15], v[10:11]
	v_cvt_f64_f32_e32 v[14:15], v16
	v_cvt_f64_f32_e32 v[16:17], v17
	v_fmac_f64_e32 v[48:49], v[14:15], v[10:11]
	v_fmac_f64_e32 v[36:37], v[16:17], v[10:11]
	global_load_dwordx2 v[10:11], v[18:19], off offset:-32
	v_fma_f64 v[68:69], -v[16:17], v[12:13], v[48:49]
	v_fmac_f64_e32 v[38:39], v[44:45], v[12:13]
	v_fma_f64 v[66:67], -v[22:23], v[12:13], v[54:55]
	v_fmac_f64_e32 v[40:41], v[20:21], v[12:13]
	v_fmac_f64_e32 v[36:37], v[14:15], v[12:13]
	s_waitcnt vmcnt(0)
	v_sub_co_u32_e32 v48, vcc, v10, v28
	s_nop 1
	v_subb_co_u32_e32 v49, vcc, v11, v29, vcc
	v_lshlrev_b64 v[48:49], 6, v[48:49]
	global_load_dwordx4 v[10:13], v[34:35], off offset:560
	global_load_dwordx4 v[14:17], v[34:35], off offset:544
	;; [unrolled: 1-line block ×4, first 2 shown]
	v_lshl_add_u64 v[72:73], s[4:5], 0, v[48:49]
	global_load_dwordx4 v[48:51], v[72:73], off offset:48
	global_load_dwordx4 v[52:55], v[72:73], off offset:32
	;; [unrolled: 1-line block ×3, first 2 shown]
	global_load_dwordx4 v[60:63], v[72:73], off
	s_waitcnt vmcnt(4)
	v_cvt_f64_f32_e32 v[70:71], v44
	v_cvt_f64_f32_e32 v[44:45], v45
	s_waitcnt vmcnt(0)
	v_fmac_f64_e32 v[64:65], v[70:71], v[60:61]
	v_fma_f64 v[64:65], -v[44:45], v[62:63], v[64:65]
	v_fmac_f64_e32 v[38:39], v[44:45], v[60:61]
	v_cvt_f64_f32_e32 v[44:45], v46
	v_cvt_f64_f32_e32 v[46:47], v47
	v_fmac_f64_e32 v[42:43], v[46:47], v[60:61]
	v_fmac_f64_e32 v[66:67], v[44:45], v[60:61]
	v_fmac_f64_e32 v[42:43], v[44:45], v[62:63]
	v_cvt_f64_f32_e32 v[44:45], v20
	v_cvt_f64_f32_e32 v[20:21], v21
	v_fmac_f64_e32 v[24:25], v[44:45], v[60:61]
	v_fma_f64 v[24:25], -v[20:21], v[62:63], v[24:25]
	v_fmac_f64_e32 v[40:41], v[20:21], v[60:61]
	v_cvt_f64_f32_e32 v[20:21], v22
	v_cvt_f64_f32_e32 v[22:23], v23
	v_fmac_f64_e32 v[36:37], v[22:23], v[60:61]
	v_fmac_f64_e32 v[68:69], v[20:21], v[60:61]
	;; [unrolled: 1-line block ×3, first 2 shown]
	v_cvt_f64_f32_e32 v[20:21], v14
	v_fmac_f64_e32 v[38:39], v[70:71], v[62:63]
	v_cvt_f64_f32_e32 v[14:15], v15
	v_fmac_f64_e32 v[64:65], v[20:21], v[56:57]
	v_fma_f64 v[60:61], -v[14:15], v[58:59], v[64:65]
	v_fmac_f64_e32 v[38:39], v[14:15], v[56:57]
	v_cvt_f64_f32_e32 v[14:15], v16
	v_cvt_f64_f32_e32 v[16:17], v17
	v_fma_f64 v[66:67], -v[46:47], v[62:63], v[66:67]
	v_fmac_f64_e32 v[42:43], v[16:17], v[56:57]
	v_fmac_f64_e32 v[66:67], v[14:15], v[56:57]
	;; [unrolled: 1-line block ×3, first 2 shown]
	v_cvt_f64_f32_e32 v[14:15], v10
	v_fmac_f64_e32 v[40:41], v[44:45], v[62:63]
	v_cvt_f64_f32_e32 v[10:11], v11
	v_fmac_f64_e32 v[24:25], v[14:15], v[56:57]
	v_fma_f64 v[44:45], -v[22:23], v[62:63], v[68:69]
	v_fma_f64 v[24:25], -v[10:11], v[58:59], v[24:25]
	v_fmac_f64_e32 v[40:41], v[10:11], v[56:57]
	v_cvt_f64_f32_e32 v[10:11], v12
	v_cvt_f64_f32_e32 v[12:13], v13
	v_fmac_f64_e32 v[44:45], v[10:11], v[56:57]
	v_fmac_f64_e32 v[36:37], v[12:13], v[56:57]
	;; [unrolled: 1-line block ×3, first 2 shown]
	v_fma_f64 v[62:63], -v[16:17], v[58:59], v[66:67]
	v_fmac_f64_e32 v[40:41], v[14:15], v[58:59]
	v_fma_f64 v[64:65], -v[12:13], v[58:59], v[44:45]
	v_fmac_f64_e32 v[36:37], v[10:11], v[58:59]
	global_load_dwordx4 v[14:17], v[34:35], off offset:624
	global_load_dwordx4 v[10:13], v[34:35], off offset:608
	;; [unrolled: 1-line block ×4, first 2 shown]
	s_waitcnt vmcnt(0)
	v_cvt_f64_f32_e32 v[56:57], v44
	v_cvt_f64_f32_e32 v[44:45], v45
	v_fmac_f64_e32 v[60:61], v[56:57], v[52:53]
	v_fma_f64 v[58:59], -v[44:45], v[54:55], v[60:61]
	v_fmac_f64_e32 v[38:39], v[44:45], v[52:53]
	v_cvt_f64_f32_e32 v[44:45], v46
	v_cvt_f64_f32_e32 v[46:47], v47
	v_fmac_f64_e32 v[42:43], v[46:47], v[52:53]
	v_fmac_f64_e32 v[62:63], v[44:45], v[52:53]
	;; [unrolled: 1-line block ×3, first 2 shown]
	v_cvt_f64_f32_e32 v[44:45], v20
	v_cvt_f64_f32_e32 v[20:21], v21
	v_fmac_f64_e32 v[24:25], v[44:45], v[52:53]
	v_fma_f64 v[24:25], -v[20:21], v[54:55], v[24:25]
	v_fmac_f64_e32 v[40:41], v[20:21], v[52:53]
	v_cvt_f64_f32_e32 v[20:21], v22
	v_cvt_f64_f32_e32 v[22:23], v23
	v_fmac_f64_e32 v[36:37], v[22:23], v[52:53]
	v_fmac_f64_e32 v[64:65], v[20:21], v[52:53]
	;; [unrolled: 1-line block ×3, first 2 shown]
	v_cvt_f64_f32_e32 v[20:21], v10
	v_fmac_f64_e32 v[38:39], v[56:57], v[54:55]
	v_fmac_f64_e32 v[40:41], v[44:45], v[54:55]
	v_fma_f64 v[44:45], -v[22:23], v[54:55], v[64:65]
	v_cvt_f64_f32_e32 v[22:23], v11
	v_fmac_f64_e32 v[58:59], v[20:21], v[48:49]
	v_fma_f64 v[10:11], -v[22:23], v[50:51], v[58:59]
	v_fmac_f64_e32 v[38:39], v[22:23], v[48:49]
	v_cvt_f64_f32_e32 v[22:23], v13
	v_fma_f64 v[56:57], -v[46:47], v[54:55], v[62:63]
	v_fmac_f64_e32 v[38:39], v[20:21], v[50:51]
	v_cvt_f64_f32_e32 v[20:21], v12
	v_fmac_f64_e32 v[42:43], v[22:23], v[48:49]
	v_fmac_f64_e32 v[56:57], v[20:21], v[48:49]
	;; [unrolled: 1-line block ×3, first 2 shown]
	v_cvt_f64_f32_e32 v[20:21], v14
	v_fma_f64 v[12:13], -v[22:23], v[50:51], v[56:57]
	v_cvt_f64_f32_e32 v[22:23], v15
	v_fmac_f64_e32 v[24:25], v[20:21], v[48:49]
	v_fma_f64 v[14:15], -v[22:23], v[50:51], v[24:25]
	v_fmac_f64_e32 v[40:41], v[22:23], v[48:49]
	v_cvt_f64_f32_e32 v[22:23], v17
	v_fmac_f64_e32 v[40:41], v[20:21], v[50:51]
	v_cvt_f64_f32_e32 v[20:21], v16
	v_fmac_f64_e32 v[36:37], v[22:23], v[48:49]
	v_fmac_f64_e32 v[44:45], v[20:21], v[48:49]
	v_fmac_f64_e32 v[36:37], v[20:21], v[50:51]
	global_load_dwordx2 v[20:21], v[18:19], off
	v_fma_f64 v[16:17], -v[22:23], v[50:51], v[44:45]
	s_waitcnt vmcnt(0)
	v_sub_co_u32_e32 v24, vcc, v20, v28
	s_nop 1
	v_subb_co_u32_e32 v25, vcc, v21, v29, vcc
	v_lshlrev_b64 v[24:25], 6, v[24:25]
	global_load_dwordx4 v[20:23], v[34:35], off offset:1072
	global_load_dwordx4 v[44:47], v[34:35], off offset:1056
	;; [unrolled: 1-line block ×4, first 2 shown]
	v_lshl_add_u64 v[24:25], s[4:5], 0, v[24:25]
	global_load_dwordx4 v[56:59], v[24:25], off offset:48
	global_load_dwordx4 v[60:63], v[24:25], off offset:32
	;; [unrolled: 1-line block ×3, first 2 shown]
	global_load_dwordx4 v[68:71], v[24:25], off
	s_waitcnt vmcnt(4)
	v_cvt_f64_f32_e32 v[72:73], v52
	v_cvt_f64_f32_e32 v[52:53], v53
	s_waitcnt vmcnt(0)
	v_fmac_f64_e32 v[10:11], v[72:73], v[68:69]
	v_fma_f64 v[10:11], -v[52:53], v[70:71], v[10:11]
	v_fmac_f64_e32 v[38:39], v[52:53], v[68:69]
	v_cvt_f64_f32_e32 v[52:53], v55
	v_cvt_f64_f32_e32 v[24:25], v54
	v_fmac_f64_e32 v[42:43], v[52:53], v[68:69]
	v_fmac_f64_e32 v[12:13], v[24:25], v[68:69]
	v_fmac_f64_e32 v[42:43], v[24:25], v[70:71]
	v_cvt_f64_f32_e32 v[24:25], v48
	v_cvt_f64_f32_e32 v[48:49], v49
	v_fmac_f64_e32 v[14:15], v[24:25], v[68:69]
	v_fma_f64 v[14:15], -v[48:49], v[70:71], v[14:15]
	v_fmac_f64_e32 v[40:41], v[48:49], v[68:69]
	v_cvt_f64_f32_e32 v[48:49], v51
	v_fmac_f64_e32 v[40:41], v[24:25], v[70:71]
	v_cvt_f64_f32_e32 v[24:25], v50
	v_fmac_f64_e32 v[36:37], v[48:49], v[68:69]
	v_fmac_f64_e32 v[38:39], v[72:73], v[70:71]
	;; [unrolled: 1-line block ×4, first 2 shown]
	v_cvt_f64_f32_e32 v[24:25], v44
	v_cvt_f64_f32_e32 v[44:45], v45
	v_fmac_f64_e32 v[10:11], v[24:25], v[64:65]
	v_fmac_f64_e32 v[38:39], v[44:45], v[64:65]
	v_fma_f64 v[12:13], -v[52:53], v[70:71], v[12:13]
	v_fma_f64 v[16:17], -v[48:49], v[70:71], v[16:17]
	;; [unrolled: 1-line block ×3, first 2 shown]
	v_fmac_f64_e32 v[38:39], v[24:25], v[66:67]
	v_cvt_f64_f32_e32 v[10:11], v46
	v_cvt_f64_f32_e32 v[24:25], v47
	v_fmac_f64_e32 v[12:13], v[10:11], v[64:65]
	v_fmac_f64_e32 v[42:43], v[24:25], v[64:65]
	v_fma_f64 v[50:51], -v[24:25], v[66:67], v[12:13]
	v_fmac_f64_e32 v[42:43], v[10:11], v[66:67]
	v_cvt_f64_f32_e32 v[10:11], v20
	v_cvt_f64_f32_e32 v[12:13], v21
	v_fmac_f64_e32 v[14:15], v[10:11], v[64:65]
	v_fmac_f64_e32 v[40:41], v[12:13], v[64:65]
	v_fma_f64 v[24:25], -v[12:13], v[66:67], v[14:15]
	;; [unrolled: 6-line block ×3, first 2 shown]
	v_fmac_f64_e32 v[36:37], v[10:11], v[66:67]
	global_load_dwordx4 v[10:13], v[34:35], off offset:1136
	global_load_dwordx4 v[14:17], v[34:35], off offset:1120
	;; [unrolled: 1-line block ×4, first 2 shown]
	s_waitcnt vmcnt(0)
	v_cvt_f64_f32_e32 v[54:55], v44
	v_cvt_f64_f32_e32 v[44:45], v45
	v_fmac_f64_e32 v[48:49], v[54:55], v[60:61]
	v_fma_f64 v[48:49], -v[44:45], v[62:63], v[48:49]
	v_fmac_f64_e32 v[38:39], v[44:45], v[60:61]
	v_cvt_f64_f32_e32 v[44:45], v46
	v_cvt_f64_f32_e32 v[46:47], v47
	v_fmac_f64_e32 v[42:43], v[46:47], v[60:61]
	v_fmac_f64_e32 v[50:51], v[44:45], v[60:61]
	v_fmac_f64_e32 v[42:43], v[44:45], v[62:63]
	v_cvt_f64_f32_e32 v[44:45], v20
	v_cvt_f64_f32_e32 v[20:21], v21
	v_fmac_f64_e32 v[24:25], v[44:45], v[60:61]
	v_fma_f64 v[50:51], -v[46:47], v[62:63], v[50:51]
	v_fma_f64 v[46:47], -v[20:21], v[62:63], v[24:25]
	v_fmac_f64_e32 v[40:41], v[20:21], v[60:61]
	v_cvt_f64_f32_e32 v[20:21], v22
	v_cvt_f64_f32_e32 v[22:23], v23
	v_fmac_f64_e32 v[36:37], v[22:23], v[60:61]
	v_fmac_f64_e32 v[52:53], v[20:21], v[60:61]
	;; [unrolled: 1-line block ×3, first 2 shown]
	v_cvt_f64_f32_e32 v[20:21], v14
	v_fmac_f64_e32 v[38:39], v[54:55], v[62:63]
	v_cvt_f64_f32_e32 v[14:15], v15
	v_fmac_f64_e32 v[48:49], v[20:21], v[56:57]
	v_fmac_f64_e32 v[40:41], v[44:45], v[62:63]
	v_fma_f64 v[44:45], -v[14:15], v[58:59], v[48:49]
	v_fmac_f64_e32 v[38:39], v[14:15], v[56:57]
	v_cvt_f64_f32_e32 v[14:15], v16
	v_cvt_f64_f32_e32 v[16:17], v17
	v_fmac_f64_e32 v[42:43], v[16:17], v[56:57]
	v_fmac_f64_e32 v[50:51], v[14:15], v[56:57]
	;; [unrolled: 1-line block ×3, first 2 shown]
	v_cvt_f64_f32_e32 v[14:15], v10
	v_cvt_f64_f32_e32 v[10:11], v11
	v_fmac_f64_e32 v[46:47], v[14:15], v[56:57]
	v_fma_f64 v[52:53], -v[22:23], v[62:63], v[52:53]
	v_fma_f64 v[22:23], -v[10:11], v[58:59], v[46:47]
	v_fmac_f64_e32 v[40:41], v[10:11], v[56:57]
	v_cvt_f64_f32_e32 v[10:11], v12
	v_cvt_f64_f32_e32 v[12:13], v13
	v_fmac_f64_e32 v[36:37], v[12:13], v[56:57]
	v_fmac_f64_e32 v[52:53], v[10:11], v[56:57]
	;; [unrolled: 1-line block ×3, first 2 shown]
	global_load_dwordx2 v[10:11], v[18:19], off offset:32
	v_fmac_f64_e32 v[38:39], v[20:21], v[58:59]
	v_fma_f64 v[24:25], -v[16:17], v[58:59], v[50:51]
	v_fmac_f64_e32 v[40:41], v[14:15], v[58:59]
	v_fma_f64 v[20:21], -v[12:13], v[58:59], v[52:53]
	global_load_dwordx4 v[46:49], v[34:35], off offset:1584
	global_load_dwordx4 v[50:53], v[34:35], off offset:1568
	;; [unrolled: 1-line block ×4, first 2 shown]
	v_lshl_add_u64 v[18:19], v[18:19], 0, s[12:13]
	s_waitcnt vmcnt(4)
	v_sub_co_u32_e32 v10, vcc, v10, v28
	s_nop 1
	v_subb_co_u32_e32 v11, vcc, v11, v29, vcc
	v_lshlrev_b64 v[10:11], 6, v[10:11]
	v_lshl_add_u64 v[72:73], s[4:5], 0, v[10:11]
	global_load_dwordx4 v[10:13], v[72:73], off offset:48
	global_load_dwordx4 v[14:17], v[72:73], off offset:32
	;; [unrolled: 1-line block ×3, first 2 shown]
	global_load_dwordx4 v[66:69], v[72:73], off
	s_waitcnt vmcnt(4)
	v_cvt_f64_f32_e32 v[70:71], v58
	v_cvt_f64_f32_e32 v[58:59], v59
	v_cmp_ge_i64_e32 vcc, v[30:31], v[32:33]
	s_or_b64 s[8:9], vcc, s[8:9]
	s_waitcnt vmcnt(0)
	v_fmac_f64_e32 v[44:45], v[70:71], v[66:67]
	v_fma_f64 v[44:45], -v[58:59], v[68:69], v[44:45]
	v_fmac_f64_e32 v[38:39], v[58:59], v[66:67]
	v_cvt_f64_f32_e32 v[58:59], v60
	v_cvt_f64_f32_e32 v[60:61], v61
	v_fmac_f64_e32 v[42:43], v[60:61], v[66:67]
	v_fmac_f64_e32 v[24:25], v[58:59], v[66:67]
	;; [unrolled: 1-line block ×3, first 2 shown]
	v_cvt_f64_f32_e32 v[58:59], v54
	v_cvt_f64_f32_e32 v[54:55], v55
	v_fmac_f64_e32 v[22:23], v[58:59], v[66:67]
	v_fma_f64 v[22:23], -v[54:55], v[68:69], v[22:23]
	v_fmac_f64_e32 v[40:41], v[54:55], v[66:67]
	v_cvt_f64_f32_e32 v[54:55], v56
	v_cvt_f64_f32_e32 v[56:57], v57
	v_fmac_f64_e32 v[36:37], v[56:57], v[66:67]
	v_fmac_f64_e32 v[20:21], v[54:55], v[66:67]
	;; [unrolled: 1-line block ×3, first 2 shown]
	v_cvt_f64_f32_e32 v[54:55], v50
	v_fmac_f64_e32 v[38:39], v[70:71], v[68:69]
	v_cvt_f64_f32_e32 v[50:51], v51
	v_fmac_f64_e32 v[44:45], v[54:55], v[62:63]
	v_fma_f64 v[20:21], -v[56:57], v[68:69], v[20:21]
	v_fma_f64 v[56:57], -v[50:51], v[64:65], v[44:45]
	v_fmac_f64_e32 v[38:39], v[50:51], v[62:63]
	v_cvt_f64_f32_e32 v[50:51], v53
	v_fma_f64 v[24:25], -v[60:61], v[68:69], v[24:25]
	v_cvt_f64_f32_e32 v[44:45], v52
	v_fmac_f64_e32 v[42:43], v[50:51], v[62:63]
	v_fmac_f64_e32 v[40:41], v[58:59], v[68:69]
	;; [unrolled: 1-line block ×4, first 2 shown]
	v_cvt_f64_f32_e32 v[44:45], v46
	v_cvt_f64_f32_e32 v[46:47], v47
	v_fmac_f64_e32 v[22:23], v[44:45], v[62:63]
	v_fmac_f64_e32 v[40:41], v[46:47], v[62:63]
	v_fma_f64 v[58:59], -v[46:47], v[64:65], v[22:23]
	v_fmac_f64_e32 v[40:41], v[44:45], v[64:65]
	v_cvt_f64_f32_e32 v[22:23], v48
	v_cvt_f64_f32_e32 v[44:45], v49
	v_fmac_f64_e32 v[20:21], v[22:23], v[62:63]
	v_fmac_f64_e32 v[36:37], v[44:45], v[62:63]
	;; [unrolled: 1-line block ×3, first 2 shown]
	v_fma_f64 v[24:25], -v[50:51], v[64:65], v[24:25]
	v_fma_f64 v[60:61], -v[44:45], v[64:65], v[20:21]
	v_fmac_f64_e32 v[36:37], v[22:23], v[64:65]
	global_load_dwordx4 v[20:23], v[34:35], off offset:1648
	global_load_dwordx4 v[44:47], v[34:35], off offset:1632
	;; [unrolled: 1-line block ×4, first 2 shown]
	v_lshl_add_u64 v[34:35], v[34:35], 0, s[10:11]
	s_waitcnt vmcnt(0)
	v_cvt_f64_f32_e32 v[62:63], v52
	v_cvt_f64_f32_e32 v[52:53], v53
	v_fmac_f64_e32 v[56:57], v[62:63], v[14:15]
	v_fma_f64 v[56:57], -v[52:53], v[16:17], v[56:57]
	v_fmac_f64_e32 v[38:39], v[52:53], v[14:15]
	v_cvt_f64_f32_e32 v[52:53], v54
	v_cvt_f64_f32_e32 v[54:55], v55
	v_fmac_f64_e32 v[42:43], v[54:55], v[14:15]
	v_fmac_f64_e32 v[24:25], v[52:53], v[14:15]
	;; [unrolled: 1-line block ×3, first 2 shown]
	v_cvt_f64_f32_e32 v[52:53], v48
	v_cvt_f64_f32_e32 v[48:49], v49
	v_fmac_f64_e32 v[58:59], v[52:53], v[14:15]
	v_fma_f64 v[24:25], -v[54:55], v[16:17], v[24:25]
	v_fma_f64 v[54:55], -v[48:49], v[16:17], v[58:59]
	v_fmac_f64_e32 v[40:41], v[48:49], v[14:15]
	v_cvt_f64_f32_e32 v[48:49], v50
	v_cvt_f64_f32_e32 v[50:51], v51
	v_fmac_f64_e32 v[60:61], v[48:49], v[14:15]
	v_fmac_f64_e32 v[36:37], v[50:51], v[14:15]
	;; [unrolled: 1-line block ×4, first 2 shown]
	v_fma_f64 v[58:59], -v[50:51], v[16:17], v[60:61]
	v_fmac_f64_e32 v[36:37], v[48:49], v[16:17]
	v_cvt_f64_f32_e32 v[14:15], v44
	v_cvt_f64_f32_e32 v[16:17], v45
	v_fmac_f64_e32 v[56:57], v[14:15], v[10:11]
	v_fmac_f64_e32 v[38:39], v[16:17], v[10:11]
	v_fma_f64 v[52:53], -v[16:17], v[12:13], v[56:57]
	v_fmac_f64_e32 v[38:39], v[14:15], v[12:13]
	v_cvt_f64_f32_e32 v[14:15], v46
	v_cvt_f64_f32_e32 v[16:17], v47
	v_fmac_f64_e32 v[24:25], v[14:15], v[10:11]
	v_fmac_f64_e32 v[42:43], v[16:17], v[10:11]
	;; [unrolled: 6-line block ×4, first 2 shown]
	v_fma_f64 v[20:21], -v[16:17], v[12:13], v[58:59]
	v_fmac_f64_e32 v[36:37], v[14:15], v[12:13]
	s_andn2_b64 exec, exec, s[8:9]
	s_cbranch_execnz .LBB175_33
; %bb.34:
	s_or_b64 exec, exec, s[8:9]
.LBB175_35:
	s_or_b64 exec, exec, s[2:3]
.LBB175_36:
	s_or_b64 exec, exec, s[6:7]
.LBB175_37:
	v_mov_b32_dpp v24, v42 row_shr:1 row_mask:0xf bank_mask:0xf
	v_mov_b32_dpp v25, v43 row_shr:1 row_mask:0xf bank_mask:0xf
	;; [unrolled: 1-line block ×10, first 2 shown]
	v_add_f64 v[24:25], v[42:43], v[24:25]
	v_mov_b32_dpp v30, v54 row_shr:1 row_mask:0xf bank_mask:0xf
	v_mov_b32_dpp v31, v55 row_shr:1 row_mask:0xf bank_mask:0xf
	v_add_f64 v[34:35], v[40:41], v[34:35]
	v_mov_b32_dpp v40, v20 row_shr:1 row_mask:0xf bank_mask:0xf
	v_mov_b32_dpp v41, v21 row_shr:1 row_mask:0xf bank_mask:0xf
	;; [unrolled: 1-line block ×4, first 2 shown]
	v_add_f64 v[10:11], v[52:53], v[10:11]
	v_add_f64 v[14:15], v[38:39], v[14:15]
	;; [unrolled: 1-line block ×6, first 2 shown]
	v_mov_b32_dpp v12, v10 row_shr:2 row_mask:0xf bank_mask:0xf
	v_mov_b32_dpp v13, v11 row_shr:2 row_mask:0xf bank_mask:0xf
	;; [unrolled: 1-line block ×16, first 2 shown]
	v_cmp_eq_u32_e32 vcc, 3, v0
	s_and_b64 exec, exec, vcc
	s_cbranch_execz .LBB175_8
; %bb.38:
	s_load_dwordx2 s[2:3], s[0:1], 0x68
	v_add_f64 v[0:1], v[10:11], v[12:13]
	v_add_f64 v[10:11], v[14:15], v[16:17]
	;; [unrolled: 1-line block ×8, first 2 shown]
	v_cmp_eq_f64_e32 vcc, 0, v[2:3]
	v_cmp_eq_f64_e64 s[0:1], 0, v[4:5]
	v_mul_f64 v[22:23], v[10:11], -v[8:9]
	v_mul_f64 v[24:25], v[6:7], v[10:11]
	v_mul_f64 v[18:19], v[12:13], -v[8:9]
	v_mul_f64 v[20:21], v[6:7], v[12:13]
	;; [unrolled: 2-line block ×4, first 2 shown]
	s_and_b64 s[0:1], vcc, s[0:1]
	v_fmac_f64_e32 v[22:23], v[6:7], v[0:1]
	v_fmac_f64_e32 v[24:25], v[8:9], v[0:1]
	v_lshlrev_b64 v[0:1], 6, v[26:27]
	v_fmac_f64_e32 v[18:19], v[6:7], v[44:45]
	v_fmac_f64_e32 v[20:21], v[8:9], v[44:45]
	v_fmac_f64_e32 v[14:15], v[6:7], v[28:29]
	v_fmac_f64_e32 v[16:17], v[8:9], v[28:29]
	v_fmac_f64_e32 v[10:11], v[6:7], v[30:31]
	v_fmac_f64_e32 v[12:13], v[8:9], v[30:31]
	s_and_saveexec_b64 s[4:5], s[0:1]
	s_xor_b64 s[0:1], exec, s[4:5]
	s_cbranch_execz .LBB175_40
; %bb.39:
	s_waitcnt lgkmcnt(0)
	v_lshl_add_u64 v[0:1], s[2:3], 0, v[0:1]
	global_store_dwordx4 v[0:1], v[22:25], off
	global_store_dwordx4 v[0:1], v[18:21], off offset:16
	global_store_dwordx4 v[0:1], v[14:17], off offset:32
	;; [unrolled: 1-line block ×3, first 2 shown]
                                        ; implicit-def: $vgpr4_vgpr5
                                        ; implicit-def: $vgpr22_vgpr23
                                        ; implicit-def: $vgpr0_vgpr1
                                        ; implicit-def: $vgpr18_vgpr19
                                        ; implicit-def: $vgpr14_vgpr15
                                        ; implicit-def: $vgpr10_vgpr11
.LBB175_40:
	s_andn2_saveexec_b64 s[0:1], s[0:1]
	s_cbranch_execz .LBB175_8
; %bb.41:
	s_waitcnt lgkmcnt(0)
	v_lshl_add_u64 v[0:1], s[2:3], 0, v[0:1]
	global_load_dwordx4 v[6:9], v[0:1], off
	global_load_dwordx4 v[26:29], v[0:1], off offset:16
	global_load_dwordx4 v[30:33], v[0:1], off offset:32
	;; [unrolled: 1-line block ×3, first 2 shown]
	s_waitcnt vmcnt(3)
	v_fmac_f64_e32 v[22:23], v[2:3], v[6:7]
	v_fmac_f64_e32 v[24:25], v[4:5], v[6:7]
	s_waitcnt vmcnt(2)
	v_fmac_f64_e32 v[18:19], v[2:3], v[26:27]
	v_fmac_f64_e32 v[20:21], v[4:5], v[26:27]
	;; [unrolled: 3-line block ×4, first 2 shown]
	v_fma_f64 v[22:23], -v[4:5], v[8:9], v[22:23]
	v_fmac_f64_e32 v[24:25], v[2:3], v[8:9]
	v_fma_f64 v[18:19], -v[4:5], v[28:29], v[18:19]
	v_fmac_f64_e32 v[20:21], v[2:3], v[28:29]
	;; [unrolled: 2-line block ×4, first 2 shown]
	global_store_dwordx4 v[0:1], v[22:25], off
	global_store_dwordx4 v[0:1], v[18:21], off offset:16
	global_store_dwordx4 v[0:1], v[14:17], off offset:32
	;; [unrolled: 1-line block ×3, first 2 shown]
	s_endpgm
	.section	.rodata,"a",@progbits
	.p2align	6, 0x0
	.amdhsa_kernel _ZN9rocsparseL18bsrxmvn_4x4_kernelILj128ELj4E21rocsparse_complex_numIdEllS1_IfES2_S2_EEvT3_20rocsparse_direction_NS_24const_host_device_scalarIT1_EES4_PKS4_PKT2_SD_SA_PKT4_PKT5_S8_PT6_21rocsparse_index_base_b
		.amdhsa_group_segment_fixed_size 0
		.amdhsa_private_segment_fixed_size 0
		.amdhsa_kernarg_size 120
		.amdhsa_user_sgpr_count 2
		.amdhsa_user_sgpr_dispatch_ptr 0
		.amdhsa_user_sgpr_queue_ptr 0
		.amdhsa_user_sgpr_kernarg_segment_ptr 1
		.amdhsa_user_sgpr_dispatch_id 0
		.amdhsa_user_sgpr_kernarg_preload_length 0
		.amdhsa_user_sgpr_kernarg_preload_offset 0
		.amdhsa_user_sgpr_private_segment_size 0
		.amdhsa_uses_dynamic_stack 0
		.amdhsa_enable_private_segment 0
		.amdhsa_system_sgpr_workgroup_id_x 1
		.amdhsa_system_sgpr_workgroup_id_y 0
		.amdhsa_system_sgpr_workgroup_id_z 0
		.amdhsa_system_sgpr_workgroup_info 0
		.amdhsa_system_vgpr_workitem_id 0
		.amdhsa_next_free_vgpr 128
		.amdhsa_next_free_sgpr 18
		.amdhsa_accum_offset 128
		.amdhsa_reserve_vcc 1
		.amdhsa_float_round_mode_32 0
		.amdhsa_float_round_mode_16_64 0
		.amdhsa_float_denorm_mode_32 3
		.amdhsa_float_denorm_mode_16_64 3
		.amdhsa_dx10_clamp 1
		.amdhsa_ieee_mode 1
		.amdhsa_fp16_overflow 0
		.amdhsa_tg_split 0
		.amdhsa_exception_fp_ieee_invalid_op 0
		.amdhsa_exception_fp_denorm_src 0
		.amdhsa_exception_fp_ieee_div_zero 0
		.amdhsa_exception_fp_ieee_overflow 0
		.amdhsa_exception_fp_ieee_underflow 0
		.amdhsa_exception_fp_ieee_inexact 0
		.amdhsa_exception_int_div_zero 0
	.end_amdhsa_kernel
	.section	.text._ZN9rocsparseL18bsrxmvn_4x4_kernelILj128ELj4E21rocsparse_complex_numIdEllS1_IfES2_S2_EEvT3_20rocsparse_direction_NS_24const_host_device_scalarIT1_EES4_PKS4_PKT2_SD_SA_PKT4_PKT5_S8_PT6_21rocsparse_index_base_b,"axG",@progbits,_ZN9rocsparseL18bsrxmvn_4x4_kernelILj128ELj4E21rocsparse_complex_numIdEllS1_IfES2_S2_EEvT3_20rocsparse_direction_NS_24const_host_device_scalarIT1_EES4_PKS4_PKT2_SD_SA_PKT4_PKT5_S8_PT6_21rocsparse_index_base_b,comdat
.Lfunc_end175:
	.size	_ZN9rocsparseL18bsrxmvn_4x4_kernelILj128ELj4E21rocsparse_complex_numIdEllS1_IfES2_S2_EEvT3_20rocsparse_direction_NS_24const_host_device_scalarIT1_EES4_PKS4_PKT2_SD_SA_PKT4_PKT5_S8_PT6_21rocsparse_index_base_b, .Lfunc_end175-_ZN9rocsparseL18bsrxmvn_4x4_kernelILj128ELj4E21rocsparse_complex_numIdEllS1_IfES2_S2_EEvT3_20rocsparse_direction_NS_24const_host_device_scalarIT1_EES4_PKS4_PKT2_SD_SA_PKT4_PKT5_S8_PT6_21rocsparse_index_base_b
                                        ; -- End function
	.set _ZN9rocsparseL18bsrxmvn_4x4_kernelILj128ELj4E21rocsparse_complex_numIdEllS1_IfES2_S2_EEvT3_20rocsparse_direction_NS_24const_host_device_scalarIT1_EES4_PKS4_PKT2_SD_SA_PKT4_PKT5_S8_PT6_21rocsparse_index_base_b.num_vgpr, 128
	.set _ZN9rocsparseL18bsrxmvn_4x4_kernelILj128ELj4E21rocsparse_complex_numIdEllS1_IfES2_S2_EEvT3_20rocsparse_direction_NS_24const_host_device_scalarIT1_EES4_PKS4_PKT2_SD_SA_PKT4_PKT5_S8_PT6_21rocsparse_index_base_b.num_agpr, 0
	.set _ZN9rocsparseL18bsrxmvn_4x4_kernelILj128ELj4E21rocsparse_complex_numIdEllS1_IfES2_S2_EEvT3_20rocsparse_direction_NS_24const_host_device_scalarIT1_EES4_PKS4_PKT2_SD_SA_PKT4_PKT5_S8_PT6_21rocsparse_index_base_b.numbered_sgpr, 18
	.set _ZN9rocsparseL18bsrxmvn_4x4_kernelILj128ELj4E21rocsparse_complex_numIdEllS1_IfES2_S2_EEvT3_20rocsparse_direction_NS_24const_host_device_scalarIT1_EES4_PKS4_PKT2_SD_SA_PKT4_PKT5_S8_PT6_21rocsparse_index_base_b.num_named_barrier, 0
	.set _ZN9rocsparseL18bsrxmvn_4x4_kernelILj128ELj4E21rocsparse_complex_numIdEllS1_IfES2_S2_EEvT3_20rocsparse_direction_NS_24const_host_device_scalarIT1_EES4_PKS4_PKT2_SD_SA_PKT4_PKT5_S8_PT6_21rocsparse_index_base_b.private_seg_size, 0
	.set _ZN9rocsparseL18bsrxmvn_4x4_kernelILj128ELj4E21rocsparse_complex_numIdEllS1_IfES2_S2_EEvT3_20rocsparse_direction_NS_24const_host_device_scalarIT1_EES4_PKS4_PKT2_SD_SA_PKT4_PKT5_S8_PT6_21rocsparse_index_base_b.uses_vcc, 1
	.set _ZN9rocsparseL18bsrxmvn_4x4_kernelILj128ELj4E21rocsparse_complex_numIdEllS1_IfES2_S2_EEvT3_20rocsparse_direction_NS_24const_host_device_scalarIT1_EES4_PKS4_PKT2_SD_SA_PKT4_PKT5_S8_PT6_21rocsparse_index_base_b.uses_flat_scratch, 0
	.set _ZN9rocsparseL18bsrxmvn_4x4_kernelILj128ELj4E21rocsparse_complex_numIdEllS1_IfES2_S2_EEvT3_20rocsparse_direction_NS_24const_host_device_scalarIT1_EES4_PKS4_PKT2_SD_SA_PKT4_PKT5_S8_PT6_21rocsparse_index_base_b.has_dyn_sized_stack, 0
	.set _ZN9rocsparseL18bsrxmvn_4x4_kernelILj128ELj4E21rocsparse_complex_numIdEllS1_IfES2_S2_EEvT3_20rocsparse_direction_NS_24const_host_device_scalarIT1_EES4_PKS4_PKT2_SD_SA_PKT4_PKT5_S8_PT6_21rocsparse_index_base_b.has_recursion, 0
	.set _ZN9rocsparseL18bsrxmvn_4x4_kernelILj128ELj4E21rocsparse_complex_numIdEllS1_IfES2_S2_EEvT3_20rocsparse_direction_NS_24const_host_device_scalarIT1_EES4_PKS4_PKT2_SD_SA_PKT4_PKT5_S8_PT6_21rocsparse_index_base_b.has_indirect_call, 0
	.section	.AMDGPU.csdata,"",@progbits
; Kernel info:
; codeLenInByte = 8124
; TotalNumSgprs: 24
; NumVgprs: 128
; NumAgprs: 0
; TotalNumVgprs: 128
; ScratchSize: 0
; MemoryBound: 0
; FloatMode: 240
; IeeeMode: 1
; LDSByteSize: 0 bytes/workgroup (compile time only)
; SGPRBlocks: 2
; VGPRBlocks: 15
; NumSGPRsForWavesPerEU: 24
; NumVGPRsForWavesPerEU: 128
; AccumOffset: 128
; Occupancy: 4
; WaveLimiterHint : 1
; COMPUTE_PGM_RSRC2:SCRATCH_EN: 0
; COMPUTE_PGM_RSRC2:USER_SGPR: 2
; COMPUTE_PGM_RSRC2:TRAP_HANDLER: 0
; COMPUTE_PGM_RSRC2:TGID_X_EN: 1
; COMPUTE_PGM_RSRC2:TGID_Y_EN: 0
; COMPUTE_PGM_RSRC2:TGID_Z_EN: 0
; COMPUTE_PGM_RSRC2:TIDIG_COMP_CNT: 0
; COMPUTE_PGM_RSRC3_GFX90A:ACCUM_OFFSET: 31
; COMPUTE_PGM_RSRC3_GFX90A:TG_SPLIT: 0
	.section	.text._ZN9rocsparseL18bsrxmvn_4x4_kernelILj128ELj8E21rocsparse_complex_numIdEllS1_IfES2_S2_EEvT3_20rocsparse_direction_NS_24const_host_device_scalarIT1_EES4_PKS4_PKT2_SD_SA_PKT4_PKT5_S8_PT6_21rocsparse_index_base_b,"axG",@progbits,_ZN9rocsparseL18bsrxmvn_4x4_kernelILj128ELj8E21rocsparse_complex_numIdEllS1_IfES2_S2_EEvT3_20rocsparse_direction_NS_24const_host_device_scalarIT1_EES4_PKS4_PKT2_SD_SA_PKT4_PKT5_S8_PT6_21rocsparse_index_base_b,comdat
	.globl	_ZN9rocsparseL18bsrxmvn_4x4_kernelILj128ELj8E21rocsparse_complex_numIdEllS1_IfES2_S2_EEvT3_20rocsparse_direction_NS_24const_host_device_scalarIT1_EES4_PKS4_PKT2_SD_SA_PKT4_PKT5_S8_PT6_21rocsparse_index_base_b ; -- Begin function _ZN9rocsparseL18bsrxmvn_4x4_kernelILj128ELj8E21rocsparse_complex_numIdEllS1_IfES2_S2_EEvT3_20rocsparse_direction_NS_24const_host_device_scalarIT1_EES4_PKS4_PKT2_SD_SA_PKT4_PKT5_S8_PT6_21rocsparse_index_base_b
	.p2align	8
	.type	_ZN9rocsparseL18bsrxmvn_4x4_kernelILj128ELj8E21rocsparse_complex_numIdEllS1_IfES2_S2_EEvT3_20rocsparse_direction_NS_24const_host_device_scalarIT1_EES4_PKS4_PKT2_SD_SA_PKT4_PKT5_S8_PT6_21rocsparse_index_base_b,@function
_ZN9rocsparseL18bsrxmvn_4x4_kernelILj128ELj8E21rocsparse_complex_numIdEllS1_IfES2_S2_EEvT3_20rocsparse_direction_NS_24const_host_device_scalarIT1_EES4_PKS4_PKT2_SD_SA_PKT4_PKT5_S8_PT6_21rocsparse_index_base_b: ; @_ZN9rocsparseL18bsrxmvn_4x4_kernelILj128ELj8E21rocsparse_complex_numIdEllS1_IfES2_S2_EEvT3_20rocsparse_direction_NS_24const_host_device_scalarIT1_EES4_PKS4_PKT2_SD_SA_PKT4_PKT5_S8_PT6_21rocsparse_index_base_b
; %bb.0:
	s_load_dwordx2 s[4:5], s[0:1], 0x10
	s_load_dwordx2 s[6:7], s[0:1], 0x70
	s_add_u32 s3, s0, 16
	s_addc_u32 s10, s1, 0
	s_add_u32 s11, s0, 0x58
	s_load_dwordx2 s[8:9], s[0:1], 0x58
	s_addc_u32 s12, s1, 0
	s_waitcnt lgkmcnt(0)
	s_bitcmp1_b32 s7, 0
	s_cselect_b32 s5, s10, s5
	s_cselect_b32 s3, s3, s4
	v_mov_b32_e32 v2, s3
	v_mov_b32_e32 v3, s5
	flat_load_dwordx4 v[6:9], v[2:3]
	s_cselect_b32 s3, s12, s9
	s_cselect_b32 s4, s11, s8
	v_mov_b32_e32 v2, s4
	v_mov_b32_e32 v3, s3
	flat_load_dwordx4 v[2:5], v[2:3]
	s_waitcnt vmcnt(0) lgkmcnt(0)
	v_cmp_eq_f64_e32 vcc, 0, v[6:7]
	v_cmp_eq_f64_e64 s[4:5], 0, v[8:9]
	s_and_b64 s[10:11], vcc, s[4:5]
	s_mov_b64 s[4:5], -1
	s_and_saveexec_b64 s[8:9], s[10:11]
; %bb.1:
	v_cmp_neq_f64_e32 vcc, 1.0, v[2:3]
	v_cmp_neq_f64_e64 s[4:5], 0, v[4:5]
	s_or_b64 s[4:5], vcc, s[4:5]
	s_orn2_b64 s[4:5], s[4:5], exec
; %bb.2:
	s_or_b64 exec, exec, s[8:9]
	s_and_saveexec_b64 s[8:9], s[4:5]
	s_cbranch_execz .LBB176_8
; %bb.3:
	s_load_dwordx2 s[4:5], s[0:1], 0x28
	v_lshrrev_b32_e32 v1, 3, v0
	v_lshl_or_b32 v10, s2, 4, v1
	v_mov_b32_e32 v11, 0
	s_mov_b64 s[2:3], 0
	s_waitcnt lgkmcnt(0)
	s_cmp_lg_u64 s[4:5], 0
	s_cbranch_scc0 .LBB176_9
; %bb.4:
	s_load_dwordx2 s[8:9], s[0:1], 0x20
                                        ; implicit-def: $vgpr26_vgpr27
                                        ; implicit-def: $vgpr28_vgpr29
	s_waitcnt lgkmcnt(0)
	v_cmp_gt_i64_e32 vcc, s[8:9], v[10:11]
	s_and_saveexec_b64 s[8:9], vcc
	s_xor_b64 s[8:9], exec, s[8:9]
	s_cbranch_execz .LBB176_6
; %bb.5:
	v_lshl_add_u64 v[12:13], v[10:11], 3, s[4:5]
	global_load_dwordx2 v[12:13], v[12:13], off
	s_mov_b32 s7, 0
	s_mov_b64 s[2:3], exec
	v_mov_b64_e32 v[28:29], s[6:7]
	s_waitcnt vmcnt(0)
	v_subrev_co_u32_e32 v26, vcc, s6, v12
	s_nop 1
	v_subbrev_co_u32_e32 v27, vcc, 0, v13, vcc
.LBB176_6:
	s_or_b64 exec, exec, s[8:9]
.LBB176_7:
	s_and_b64 exec, exec, s[2:3]
	s_cbranch_execnz .LBB176_13
.LBB176_8:
	s_endpgm
.LBB176_9:
                                        ; implicit-def: $vgpr26_vgpr27
                                        ; implicit-def: $vgpr28_vgpr29
	s_cbranch_execz .LBB176_7
; %bb.10:
	s_load_dwordx2 s[4:5], s[0:1], 0x0
	s_waitcnt lgkmcnt(0)
	v_cmp_gt_i64_e32 vcc, s[4:5], v[10:11]
	s_and_saveexec_b64 s[4:5], vcc
; %bb.11:
	s_mov_b32 s7, 0
	s_or_b64 s[2:3], s[2:3], exec
; %bb.12:
	s_or_b64 exec, exec, s[4:5]
	v_mov_b64_e32 v[28:29], s[6:7]
	v_mov_b64_e32 v[26:27], v[10:11]
	s_and_b64 exec, exec, s[2:3]
	s_cbranch_execz .LBB176_8
.LBB176_13:
	s_load_dwordx8 s[4:11], s[0:1], 0x30
	v_lshlrev_b64 v[10:11], 3, v[26:27]
	v_and_b32_e32 v0, 7, v0
	v_mov_b32_e32 v1, 0
	s_waitcnt lgkmcnt(0)
	v_lshl_add_u64 v[12:13], s[4:5], 0, v[10:11]
	s_cmp_eq_u64 s[6:7], 0
	v_lshl_add_u64 v[10:11], s[6:7], 0, v[10:11]
	global_load_dwordx2 v[44:45], v[12:13], off
	v_lshl_add_u64 v[12:13], v[12:13], 0, 8
	s_cselect_b64 vcc, -1, 0
	v_cndmask_b32_e32 v11, v11, v13, vcc
	v_cndmask_b32_e32 v10, v10, v12, vcc
	global_load_dwordx2 v[10:11], v[10:11], off
	s_load_dword s2, s[0:1], 0x8
	s_load_dwordx2 s[4:5], s[0:1], 0x50
	s_waitcnt lgkmcnt(0)
	s_cmp_eq_u32 s2, 1
	s_waitcnt vmcnt(1)
	v_sub_co_u32_e32 v12, vcc, v44, v28
	s_nop 1
	v_subb_co_u32_e32 v13, vcc, v45, v29, vcc
	v_lshl_add_u64 v[30:31], v[12:13], 0, v[0:1]
	s_waitcnt vmcnt(0)
	v_sub_co_u32_e32 v32, vcc, v10, v28
	s_nop 1
	v_subb_co_u32_e32 v33, vcc, v11, v29, vcc
	v_lshlrev_b64 v[10:11], 7, v[30:31]
	v_lshl_add_u64 v[34:35], s[10:11], 0, v[10:11]
	v_cmp_lt_i64_e64 s[2:3], v[30:31], v[32:33]
	s_cbranch_scc1 .LBB176_25
; %bb.14:
	v_mov_b64_e32 v[42:43], 0
	v_mov_b64_e32 v[54:55], 0
	v_mov_b64_e32 v[40:41], 0
	v_mov_b64_e32 v[56:57], 0
	v_mov_b64_e32 v[38:39], 0
	v_mov_b64_e32 v[52:53], 0
	v_mov_b64_e32 v[36:37], 0
	v_mov_b64_e32 v[20:21], 0
	s_and_saveexec_b64 s[6:7], s[2:3]
	s_cbranch_execz .LBB176_24
; %bb.15:
	v_or_b32_e32 v1, 8, v0
	v_sub_co_u32_e32 v10, vcc, v1, v28
	v_not_b32_e32 v13, v45
	s_nop 0
	v_subb_co_u32_e32 v11, vcc, 0, v29, vcc
	v_lshl_add_u64 v[10:11], v[10:11], 0, v[44:45]
	v_cmp_gt_i64_e32 vcc, v[10:11], v[32:33]
	v_not_b32_e32 v12, v44
	v_mov_b64_e32 v[20:21], 0
	v_cndmask_b32_e32 v11, v33, v11, vcc
	v_cndmask_b32_e32 v10, v32, v10, vcc
	v_sub_co_u32_e32 v14, vcc, v28, v0
	v_mov_b64_e32 v[36:37], 0
	s_nop 0
	v_subbrev_co_u32_e32 v15, vcc, 0, v29, vcc
	v_lshl_add_u64 v[12:13], v[14:15], 0, v[12:13]
	v_lshl_add_u64 v[14:15], v[12:13], 0, v[10:11]
	v_and_b32_e32 v10, 24, v14
	v_mov_b32_e32 v11, 0
	v_cmp_ne_u64_e32 vcc, 24, v[10:11]
	v_mov_b64_e32 v[52:53], 0
	v_mov_b64_e32 v[38:39], 0
	;; [unrolled: 1-line block ×8, first 2 shown]
	s_and_saveexec_b64 s[10:11], vcc
	s_cbranch_execz .LBB176_19
; %bb.16:
	v_lshrrev_b32_e32 v1, 3, v14
	v_add_u32_e32 v1, 1, v1
	v_and_b32_e32 v1, 3, v1
	v_sub_co_u32_e32 v18, vcc, 0, v1
	v_lshl_add_u64 v[16:17], v[30:31], 3, s[8:9]
	s_nop 0
	v_subb_co_u32_e64 v19, s[14:15], 0, 0, vcc
	s_mov_b64 s[12:13], 0
	v_mov_b64_e32 v[42:43], 0
	s_mov_b64 s[14:15], 0x400
	v_mov_b64_e32 v[48:49], v[30:31]
	v_mov_b64_e32 v[46:47], v[34:35]
	;; [unrolled: 1-line block ×9, first 2 shown]
.LBB176_17:                             ; =>This Inner Loop Header: Depth=1
	global_load_dwordx2 v[50:51], v[16:17], off
	global_load_dwordx4 v[22:25], v[46:47], off
	global_load_dwordx4 v[10:13], v[46:47], off offset:32
	global_load_dwordx4 v[58:61], v[46:47], off offset:64
	;; [unrolled: 1-line block ×7, first 2 shown]
	v_lshl_add_u64 v[18:19], v[18:19], 0, 1
	v_cmp_eq_u64_e32 vcc, 0, v[18:19]
	s_or_b64 s[12:13], vcc, s[12:13]
	v_lshl_add_u64 v[46:47], v[46:47], 0, s[14:15]
	v_lshl_add_u64 v[48:49], v[48:49], 0, 8
	;; [unrolled: 1-line block ×3, first 2 shown]
	s_waitcnt vmcnt(8)
	v_sub_co_u32_e32 v50, vcc, v50, v28
	s_nop 1
	v_subb_co_u32_e32 v51, vcc, v51, v29, vcc
	s_waitcnt vmcnt(7)
	v_cvt_f64_f32_e32 v[90:91], v22
	v_cvt_f64_f32_e32 v[92:93], v23
	v_lshlrev_b64 v[22:23], 6, v[50:51]
	v_lshl_add_u64 v[50:51], s[4:5], 0, v[22:23]
	v_cvt_f64_f32_e32 v[94:95], v24
	v_cvt_f64_f32_e32 v[96:97], v25
	s_waitcnt vmcnt(3)
	v_cvt_f64_f32_e32 v[104:105], v66
	v_cvt_f64_f32_e32 v[106:107], v67
	;; [unrolled: 1-line block ×4, first 2 shown]
	global_load_dwordx4 v[22:25], v[50:51], off
	global_load_dwordx4 v[66:69], v[50:51], off offset:16
	global_load_dwordx4 v[82:85], v[50:51], off offset:32
	;; [unrolled: 1-line block ×3, first 2 shown]
	v_cvt_f64_f32_e32 v[98:99], v10
	v_cvt_f64_f32_e32 v[10:11], v11
	;; [unrolled: 1-line block ×12, first 2 shown]
	s_waitcnt vmcnt(6)
	v_cvt_f64_f32_e32 v[50:51], v70
	v_cvt_f64_f32_e32 v[70:71], v71
	s_waitcnt vmcnt(5)
	v_cvt_f64_f32_e32 v[120:121], v74
	v_cvt_f64_f32_e32 v[74:75], v75
	;; [unrolled: 3-line block ×3, first 2 shown]
	v_cvt_f64_f32_e32 v[114:115], v72
	v_cvt_f64_f32_e32 v[72:73], v73
	;; [unrolled: 1-line block ×6, first 2 shown]
	s_waitcnt vmcnt(3)
	v_fmac_f64_e32 v[54:55], v[90:91], v[22:23]
	v_fmac_f64_e32 v[42:43], v[92:93], v[22:23]
	v_fmac_f64_e32 v[56:57], v[98:99], v[22:23]
	v_fmac_f64_e32 v[40:41], v[10:11], v[22:23]
	v_fmac_f64_e32 v[52:53], v[100:101], v[22:23]
	v_fmac_f64_e32 v[38:39], v[58:59], v[22:23]
	v_fmac_f64_e32 v[20:21], v[102:103], v[22:23]
	v_fmac_f64_e32 v[36:37], v[62:63], v[22:23]
	v_fma_f64 v[22:23], -v[92:93], v[24:25], v[54:55]
	v_fmac_f64_e32 v[42:43], v[90:91], v[24:25]
	v_fma_f64 v[10:11], -v[10:11], v[24:25], v[56:57]
	v_fmac_f64_e32 v[40:41], v[98:99], v[24:25]
	v_fma_f64 v[52:53], -v[58:59], v[24:25], v[52:53]
	v_fmac_f64_e32 v[38:39], v[100:101], v[24:25]
	v_fma_f64 v[20:21], -v[62:63], v[24:25], v[20:21]
	v_fmac_f64_e32 v[36:37], v[102:103], v[24:25]
	s_waitcnt vmcnt(2)
	v_fmac_f64_e32 v[22:23], v[94:95], v[66:67]
	v_fmac_f64_e32 v[42:43], v[96:97], v[66:67]
	v_fmac_f64_e32 v[10:11], v[112:113], v[66:67]
	v_fmac_f64_e32 v[40:41], v[12:13], v[66:67]
	v_fmac_f64_e32 v[52:53], v[116:117], v[66:67]
	v_fmac_f64_e32 v[38:39], v[60:61], v[66:67]
	v_fmac_f64_e32 v[20:21], v[118:119], v[66:67]
	v_fmac_f64_e32 v[36:37], v[64:65], v[66:67]
	v_fma_f64 v[22:23], -v[96:97], v[68:69], v[22:23]
	v_fmac_f64_e32 v[42:43], v[94:95], v[68:69]
	v_fma_f64 v[10:11], -v[12:13], v[68:69], v[10:11]
	v_fmac_f64_e32 v[40:41], v[112:113], v[68:69]
	v_fma_f64 v[12:13], -v[60:61], v[68:69], v[52:53]
	v_fmac_f64_e32 v[38:39], v[116:117], v[68:69]
	v_fma_f64 v[20:21], -v[64:65], v[68:69], v[20:21]
	v_fmac_f64_e32 v[36:37], v[118:119], v[68:69]
	;; [unrolled: 17-line block ×4, first 2 shown]
	s_andn2_b64 exec, exec, s[12:13]
	s_cbranch_execnz .LBB176_17
; %bb.18:
	s_or_b64 exec, exec, s[12:13]
.LBB176_19:
	s_or_b64 exec, exec, s[10:11]
	v_cmp_lt_u64_e32 vcc, 23, v[14:15]
	s_and_saveexec_b64 s[10:11], vcc
	s_cbranch_execz .LBB176_23
; %bb.20:
	v_lshl_add_u64 v[10:11], v[48:49], 3, s[8:9]
	s_mov_b64 s[12:13], 0x80
	v_lshl_add_u64 v[50:51], v[10:11], 0, s[12:13]
	s_mov_b64 s[12:13], 0
	s_mov_b64 s[14:15], 0x1000
	;; [unrolled: 1-line block ×3, first 2 shown]
.LBB176_21:                             ; =>This Inner Loop Header: Depth=1
	global_load_dwordx2 v[10:11], v[50:51], off offset:-128
	global_load_dwordx4 v[22:25], v[46:47], off offset:48
	global_load_dwordx4 v[58:61], v[46:47], off offset:32
	;; [unrolled: 1-line block ×3, first 2 shown]
	global_load_dwordx4 v[16:19], v[46:47], off
	v_lshl_add_u64 v[48:49], v[48:49], 0, 32
	s_waitcnt vmcnt(4)
	v_sub_co_u32_e32 v10, vcc, v10, v28
	s_nop 1
	v_subb_co_u32_e32 v11, vcc, v11, v29, vcc
	v_lshlrev_b64 v[10:11], 6, v[10:11]
	v_lshl_add_u64 v[78:79], s[4:5], 0, v[10:11]
	s_waitcnt vmcnt(0)
	v_cvt_f64_f32_e32 v[74:75], v16
	v_cvt_f64_f32_e32 v[76:77], v17
	global_load_dwordx4 v[10:13], v[78:79], off offset:48
	global_load_dwordx4 v[14:17], v[78:79], off offset:32
	;; [unrolled: 1-line block ×3, first 2 shown]
	global_load_dwordx4 v[70:73], v[78:79], off
	s_waitcnt vmcnt(0)
	v_fmac_f64_e32 v[54:55], v[74:75], v[70:71]
	v_fmac_f64_e32 v[42:43], v[76:77], v[70:71]
	v_fma_f64 v[54:55], -v[76:77], v[72:73], v[54:55]
	v_fmac_f64_e32 v[42:43], v[74:75], v[72:73]
	v_cvt_f64_f32_e32 v[74:75], v18
	v_cvt_f64_f32_e32 v[18:19], v19
	v_fmac_f64_e32 v[54:55], v[74:75], v[66:67]
	v_fma_f64 v[54:55], -v[18:19], v[68:69], v[54:55]
	v_fmac_f64_e32 v[42:43], v[18:19], v[66:67]
	v_cvt_f64_f32_e32 v[18:19], v62
	v_fmac_f64_e32 v[42:43], v[74:75], v[68:69]
	v_cvt_f64_f32_e32 v[62:63], v63
	v_fmac_f64_e32 v[54:55], v[18:19], v[14:15]
	v_fma_f64 v[54:55], -v[62:63], v[16:17], v[54:55]
	v_fmac_f64_e32 v[42:43], v[62:63], v[14:15]
	v_cvt_f64_f32_e32 v[62:63], v64
	v_cvt_f64_f32_e32 v[64:65], v65
	v_fmac_f64_e32 v[54:55], v[62:63], v[10:11]
	v_fmac_f64_e32 v[42:43], v[18:19], v[16:17]
	v_fma_f64 v[18:19], -v[64:65], v[12:13], v[54:55]
	v_cvt_f64_f32_e32 v[54:55], v58
	v_cvt_f64_f32_e32 v[58:59], v59
	v_fmac_f64_e32 v[56:57], v[54:55], v[70:71]
	v_fmac_f64_e32 v[40:41], v[58:59], v[70:71]
	v_fma_f64 v[56:57], -v[58:59], v[72:73], v[56:57]
	v_fmac_f64_e32 v[40:41], v[54:55], v[72:73]
	v_cvt_f64_f32_e32 v[54:55], v60
	v_cvt_f64_f32_e32 v[58:59], v61
	v_fmac_f64_e32 v[56:57], v[54:55], v[66:67]
	v_fmac_f64_e32 v[40:41], v[58:59], v[66:67]
	v_fma_f64 v[56:57], -v[58:59], v[68:69], v[56:57]
	v_fmac_f64_e32 v[40:41], v[54:55], v[68:69]
	v_cvt_f64_f32_e32 v[54:55], v22
	v_cvt_f64_f32_e32 v[22:23], v23
	v_fmac_f64_e32 v[56:57], v[54:55], v[14:15]
	v_fmac_f64_e32 v[40:41], v[22:23], v[14:15]
	v_fma_f64 v[56:57], -v[22:23], v[16:17], v[56:57]
	v_fmac_f64_e32 v[40:41], v[54:55], v[16:17]
	v_cvt_f64_f32_e32 v[54:55], v24
	v_cvt_f64_f32_e32 v[24:25], v25
	v_fmac_f64_e32 v[42:43], v[64:65], v[10:11]
	v_fmac_f64_e32 v[56:57], v[54:55], v[10:11]
	v_fmac_f64_e32 v[40:41], v[24:25], v[10:11]
	v_fmac_f64_e32 v[42:43], v[62:63], v[12:13]
	v_fma_f64 v[22:23], -v[24:25], v[12:13], v[56:57]
	v_fmac_f64_e32 v[40:41], v[54:55], v[12:13]
	global_load_dwordx4 v[54:57], v[46:47], off offset:112
	global_load_dwordx4 v[58:61], v[46:47], off offset:96
	;; [unrolled: 1-line block ×4, first 2 shown]
	s_waitcnt vmcnt(0)
	v_cvt_f64_f32_e32 v[24:25], v74
	v_cvt_f64_f32_e32 v[74:75], v75
	v_fmac_f64_e32 v[52:53], v[24:25], v[70:71]
	v_fmac_f64_e32 v[38:39], v[74:75], v[70:71]
	v_fma_f64 v[52:53], -v[74:75], v[72:73], v[52:53]
	v_fmac_f64_e32 v[38:39], v[24:25], v[72:73]
	v_cvt_f64_f32_e32 v[24:25], v76
	v_cvt_f64_f32_e32 v[74:75], v77
	v_fmac_f64_e32 v[52:53], v[24:25], v[66:67]
	v_fmac_f64_e32 v[38:39], v[74:75], v[66:67]
	v_fma_f64 v[52:53], -v[74:75], v[68:69], v[52:53]
	v_fmac_f64_e32 v[38:39], v[24:25], v[68:69]
	;; [unrolled: 6-line block ×7, first 2 shown]
	v_cvt_f64_f32_e32 v[14:15], v56
	v_cvt_f64_f32_e32 v[16:17], v57
	v_fmac_f64_e32 v[20:21], v[14:15], v[10:11]
	v_fmac_f64_e32 v[36:37], v[16:17], v[10:11]
	global_load_dwordx2 v[10:11], v[50:51], off offset:-64
	v_fma_f64 v[24:25], -v[16:17], v[12:13], v[20:21]
	v_fmac_f64_e32 v[36:37], v[14:15], v[12:13]
	global_load_dwordx4 v[12:15], v[46:47], off offset:1072
	global_load_dwordx4 v[52:55], v[46:47], off offset:1056
	;; [unrolled: 1-line block ×4, first 2 shown]
	s_waitcnt vmcnt(4)
	v_sub_co_u32_e32 v10, vcc, v10, v28
	s_nop 1
	v_subb_co_u32_e32 v11, vcc, v11, v29, vcc
	v_lshlrev_b64 v[10:11], 6, v[10:11]
	v_lshl_add_u64 v[10:11], s[4:5], 0, v[10:11]
	global_load_dwordx4 v[64:67], v[10:11], off offset:48
	global_load_dwordx4 v[68:71], v[10:11], off offset:32
	;; [unrolled: 1-line block ×3, first 2 shown]
	global_load_dwordx4 v[76:79], v[10:11], off
	s_waitcnt vmcnt(4)
	v_cvt_f64_f32_e32 v[16:17], v60
	v_cvt_f64_f32_e32 v[20:21], v61
	s_waitcnt vmcnt(0)
	v_fmac_f64_e32 v[18:19], v[16:17], v[76:77]
	v_fmac_f64_e32 v[42:43], v[20:21], v[76:77]
	v_fma_f64 v[10:11], -v[20:21], v[78:79], v[18:19]
	v_fmac_f64_e32 v[42:43], v[16:17], v[78:79]
	v_cvt_f64_f32_e32 v[16:17], v62
	v_cvt_f64_f32_e32 v[18:19], v63
	v_fmac_f64_e32 v[10:11], v[16:17], v[72:73]
	v_fmac_f64_e32 v[42:43], v[18:19], v[72:73]
	v_fma_f64 v[10:11], -v[18:19], v[74:75], v[10:11]
	v_fmac_f64_e32 v[42:43], v[16:17], v[74:75]
	v_cvt_f64_f32_e32 v[16:17], v56
	v_cvt_f64_f32_e32 v[18:19], v57
	;; [unrolled: 6-line block ×7, first 2 shown]
	v_fmac_f64_e32 v[18:19], v[16:17], v[64:65]
	v_fmac_f64_e32 v[40:41], v[14:15], v[64:65]
	v_fma_f64 v[12:13], -v[14:15], v[66:67], v[18:19]
	v_fmac_f64_e32 v[40:41], v[16:17], v[66:67]
	global_load_dwordx4 v[16:19], v[46:47], off offset:1136
	global_load_dwordx4 v[20:23], v[46:47], off offset:1120
	;; [unrolled: 1-line block ×4, first 2 shown]
	s_waitcnt vmcnt(0)
	v_cvt_f64_f32_e32 v[14:15], v56
	v_cvt_f64_f32_e32 v[56:57], v57
	v_fmac_f64_e32 v[80:81], v[14:15], v[76:77]
	v_fmac_f64_e32 v[38:39], v[56:57], v[76:77]
	v_fma_f64 v[60:61], -v[56:57], v[78:79], v[80:81]
	v_fmac_f64_e32 v[38:39], v[14:15], v[78:79]
	v_cvt_f64_f32_e32 v[14:15], v58
	v_cvt_f64_f32_e32 v[56:57], v59
	v_fmac_f64_e32 v[60:61], v[14:15], v[72:73]
	v_fmac_f64_e32 v[38:39], v[56:57], v[72:73]
	v_fma_f64 v[58:59], -v[56:57], v[74:75], v[60:61]
	v_fmac_f64_e32 v[38:39], v[14:15], v[74:75]
	v_cvt_f64_f32_e32 v[14:15], v52
	v_cvt_f64_f32_e32 v[52:53], v53
	v_fmac_f64_e32 v[58:59], v[14:15], v[68:69]
	v_fmac_f64_e32 v[38:39], v[52:53], v[68:69]
	v_fma_f64 v[56:57], -v[52:53], v[70:71], v[58:59]
	v_fmac_f64_e32 v[38:39], v[14:15], v[70:71]
	v_cvt_f64_f32_e32 v[52:53], v54
	v_cvt_f64_f32_e32 v[54:55], v55
	v_fmac_f64_e32 v[38:39], v[54:55], v[64:65]
	v_fmac_f64_e32 v[56:57], v[52:53], v[64:65]
	v_fmac_f64_e32 v[38:39], v[52:53], v[66:67]
	v_cvt_f64_f32_e32 v[52:53], v20
	v_cvt_f64_f32_e32 v[20:21], v21
	v_fmac_f64_e32 v[24:25], v[52:53], v[76:77]
	v_fmac_f64_e32 v[36:37], v[20:21], v[76:77]
	v_fma_f64 v[24:25], -v[20:21], v[78:79], v[24:25]
	v_fmac_f64_e32 v[36:37], v[52:53], v[78:79]
	v_cvt_f64_f32_e32 v[20:21], v22
	v_cvt_f64_f32_e32 v[22:23], v23
	v_fmac_f64_e32 v[24:25], v[20:21], v[72:73]
	v_fmac_f64_e32 v[36:37], v[22:23], v[72:73]
	v_fma_f64 v[24:25], -v[22:23], v[74:75], v[24:25]
	v_fmac_f64_e32 v[36:37], v[20:21], v[74:75]
	;; [unrolled: 6-line block ×3, first 2 shown]
	v_cvt_f64_f32_e32 v[20:21], v18
	v_cvt_f64_f32_e32 v[18:19], v19
	v_fmac_f64_e32 v[22:23], v[20:21], v[64:65]
	v_fma_f64 v[16:17], -v[18:19], v[66:67], v[22:23]
	v_fmac_f64_e32 v[36:37], v[18:19], v[64:65]
	global_load_dwordx2 v[18:19], v[50:51], off
	v_fma_f64 v[14:15], -v[54:55], v[66:67], v[56:57]
	v_fmac_f64_e32 v[36:37], v[20:21], v[66:67]
	s_waitcnt vmcnt(0)
	v_sub_co_u32_e32 v60, vcc, v18, v28
	s_nop 1
	v_subb_co_u32_e32 v61, vcc, v19, v29, vcc
	v_lshlrev_b64 v[60:61], 6, v[60:61]
	global_load_dwordx4 v[18:21], v[46:47], off offset:2096
	global_load_dwordx4 v[22:25], v[46:47], off offset:2080
	global_load_dwordx4 v[52:55], v[46:47], off offset:2064
	global_load_dwordx4 v[56:59], v[46:47], off offset:2048
	v_lshl_add_u64 v[78:79], s[4:5], 0, v[60:61]
	global_load_dwordx4 v[60:63], v[78:79], off offset:48
	global_load_dwordx4 v[64:67], v[78:79], off offset:32
	;; [unrolled: 1-line block ×3, first 2 shown]
	global_load_dwordx4 v[72:75], v[78:79], off
	s_waitcnt vmcnt(4)
	v_cvt_f64_f32_e32 v[76:77], v56
	v_cvt_f64_f32_e32 v[56:57], v57
	s_waitcnt vmcnt(0)
	v_fmac_f64_e32 v[10:11], v[76:77], v[72:73]
	v_fmac_f64_e32 v[42:43], v[56:57], v[72:73]
	v_fma_f64 v[10:11], -v[56:57], v[74:75], v[10:11]
	v_fmac_f64_e32 v[42:43], v[76:77], v[74:75]
	v_cvt_f64_f32_e32 v[56:57], v58
	v_cvt_f64_f32_e32 v[58:59], v59
	v_fmac_f64_e32 v[10:11], v[56:57], v[68:69]
	v_fmac_f64_e32 v[42:43], v[58:59], v[68:69]
	v_fma_f64 v[10:11], -v[58:59], v[70:71], v[10:11]
	v_fmac_f64_e32 v[42:43], v[56:57], v[70:71]
	v_cvt_f64_f32_e32 v[56:57], v52
	v_cvt_f64_f32_e32 v[52:53], v53
	v_fmac_f64_e32 v[10:11], v[56:57], v[64:65]
	v_fma_f64 v[10:11], -v[52:53], v[66:67], v[10:11]
	v_fmac_f64_e32 v[42:43], v[52:53], v[64:65]
	v_cvt_f64_f32_e32 v[52:53], v54
	v_fmac_f64_e32 v[42:43], v[56:57], v[66:67]
	v_cvt_f64_f32_e32 v[56:57], v55
	v_fmac_f64_e32 v[10:11], v[52:53], v[60:61]
	v_fma_f64 v[54:55], -v[56:57], v[62:63], v[10:11]
	v_cvt_f64_f32_e32 v[10:11], v22
	v_cvt_f64_f32_e32 v[22:23], v23
	v_fmac_f64_e32 v[12:13], v[10:11], v[72:73]
	v_fmac_f64_e32 v[40:41], v[22:23], v[72:73]
	v_fma_f64 v[12:13], -v[22:23], v[74:75], v[12:13]
	v_fmac_f64_e32 v[40:41], v[10:11], v[74:75]
	v_cvt_f64_f32_e32 v[10:11], v24
	v_cvt_f64_f32_e32 v[22:23], v25
	v_fmac_f64_e32 v[12:13], v[10:11], v[68:69]
	v_fmac_f64_e32 v[40:41], v[22:23], v[68:69]
	v_fma_f64 v[12:13], -v[22:23], v[70:71], v[12:13]
	v_fmac_f64_e32 v[40:41], v[10:11], v[70:71]
	;; [unrolled: 6-line block ×3, first 2 shown]
	v_cvt_f64_f32_e32 v[10:11], v20
	v_cvt_f64_f32_e32 v[18:19], v21
	v_fmac_f64_e32 v[12:13], v[10:11], v[60:61]
	v_fmac_f64_e32 v[40:41], v[18:19], v[60:61]
	v_fmac_f64_e32 v[42:43], v[56:57], v[60:61]
	v_fma_f64 v[56:57], -v[18:19], v[62:63], v[12:13]
	v_fmac_f64_e32 v[40:41], v[10:11], v[62:63]
	global_load_dwordx4 v[10:13], v[46:47], off offset:2160
	global_load_dwordx4 v[18:21], v[46:47], off offset:2144
	;; [unrolled: 1-line block ×4, first 2 shown]
	v_fmac_f64_e32 v[42:43], v[52:53], v[62:63]
	s_waitcnt vmcnt(0)
	v_cvt_f64_f32_e32 v[52:53], v76
	v_cvt_f64_f32_e32 v[58:59], v77
	v_fmac_f64_e32 v[14:15], v[52:53], v[72:73]
	v_fmac_f64_e32 v[38:39], v[58:59], v[72:73]
	v_fma_f64 v[14:15], -v[58:59], v[74:75], v[14:15]
	v_fmac_f64_e32 v[38:39], v[52:53], v[74:75]
	v_cvt_f64_f32_e32 v[52:53], v78
	v_cvt_f64_f32_e32 v[58:59], v79
	v_fmac_f64_e32 v[14:15], v[52:53], v[68:69]
	v_fmac_f64_e32 v[38:39], v[58:59], v[68:69]
	v_fma_f64 v[14:15], -v[58:59], v[70:71], v[14:15]
	v_fmac_f64_e32 v[38:39], v[52:53], v[70:71]
	v_cvt_f64_f32_e32 v[52:53], v22
	v_cvt_f64_f32_e32 v[22:23], v23
	v_fmac_f64_e32 v[14:15], v[52:53], v[64:65]
	v_fma_f64 v[14:15], -v[22:23], v[66:67], v[14:15]
	v_fmac_f64_e32 v[38:39], v[22:23], v[64:65]
	v_cvt_f64_f32_e32 v[22:23], v24
	v_cvt_f64_f32_e32 v[24:25], v25
	v_fmac_f64_e32 v[14:15], v[22:23], v[60:61]
	v_fmac_f64_e32 v[38:39], v[52:53], v[66:67]
	v_fma_f64 v[52:53], -v[24:25], v[62:63], v[14:15]
	v_cvt_f64_f32_e32 v[14:15], v18
	v_cvt_f64_f32_e32 v[18:19], v19
	v_fmac_f64_e32 v[16:17], v[14:15], v[72:73]
	v_fmac_f64_e32 v[36:37], v[18:19], v[72:73]
	v_fma_f64 v[16:17], -v[18:19], v[74:75], v[16:17]
	v_fmac_f64_e32 v[36:37], v[14:15], v[74:75]
	v_cvt_f64_f32_e32 v[14:15], v20
	v_cvt_f64_f32_e32 v[18:19], v21
	v_fmac_f64_e32 v[16:17], v[14:15], v[68:69]
	v_fmac_f64_e32 v[36:37], v[18:19], v[68:69]
	v_fma_f64 v[16:17], -v[18:19], v[70:71], v[16:17]
	v_fmac_f64_e32 v[36:37], v[14:15], v[70:71]
	;; [unrolled: 6-line block ×3, first 2 shown]
	v_cvt_f64_f32_e32 v[10:11], v12
	v_cvt_f64_f32_e32 v[12:13], v13
	v_fmac_f64_e32 v[36:37], v[12:13], v[60:61]
	v_fmac_f64_e32 v[16:17], v[10:11], v[60:61]
	v_fmac_f64_e32 v[36:37], v[10:11], v[62:63]
	global_load_dwordx2 v[10:11], v[50:51], off offset:64
	v_fmac_f64_e32 v[38:39], v[24:25], v[60:61]
	v_fmac_f64_e32 v[38:39], v[22:23], v[62:63]
	v_fma_f64 v[58:59], -v[12:13], v[62:63], v[16:17]
	global_load_dwordx4 v[60:63], v[46:47], off offset:3120
	global_load_dwordx4 v[64:67], v[46:47], off offset:3104
	;; [unrolled: 1-line block ×4, first 2 shown]
	v_lshl_add_u64 v[50:51], v[50:51], 0, s[16:17]
	s_waitcnt vmcnt(4)
	v_sub_co_u32_e32 v10, vcc, v10, v28
	s_nop 1
	v_subb_co_u32_e32 v11, vcc, v11, v29, vcc
	v_lshlrev_b64 v[10:11], 6, v[10:11]
	v_lshl_add_u64 v[78:79], s[4:5], 0, v[10:11]
	global_load_dwordx4 v[10:13], v[78:79], off offset:48
	global_load_dwordx4 v[14:17], v[78:79], off offset:32
	;; [unrolled: 1-line block ×3, first 2 shown]
	global_load_dwordx4 v[22:25], v[78:79], off
	s_waitcnt vmcnt(4)
	v_cvt_f64_f32_e32 v[76:77], v72
	v_cvt_f64_f32_e32 v[72:73], v73
	v_cmp_ge_i64_e32 vcc, v[48:49], v[32:33]
	s_or_b64 s[12:13], vcc, s[12:13]
	s_waitcnt vmcnt(0)
	v_fmac_f64_e32 v[54:55], v[76:77], v[22:23]
	v_fmac_f64_e32 v[42:43], v[72:73], v[22:23]
	v_fma_f64 v[54:55], -v[72:73], v[24:25], v[54:55]
	v_fmac_f64_e32 v[42:43], v[76:77], v[24:25]
	v_cvt_f64_f32_e32 v[72:73], v74
	v_cvt_f64_f32_e32 v[74:75], v75
	v_fmac_f64_e32 v[54:55], v[72:73], v[18:19]
	v_fmac_f64_e32 v[42:43], v[74:75], v[18:19]
	v_fma_f64 v[54:55], -v[74:75], v[20:21], v[54:55]
	v_fmac_f64_e32 v[42:43], v[72:73], v[20:21]
	v_cvt_f64_f32_e32 v[72:73], v68
	v_cvt_f64_f32_e32 v[68:69], v69
	;; [unrolled: 6-line block ×3, first 2 shown]
	v_fmac_f64_e32 v[42:43], v[70:71], v[10:11]
	v_fmac_f64_e32 v[54:55], v[68:69], v[10:11]
	;; [unrolled: 1-line block ×3, first 2 shown]
	v_cvt_f64_f32_e32 v[68:69], v64
	v_cvt_f64_f32_e32 v[64:65], v65
	v_fmac_f64_e32 v[56:57], v[68:69], v[22:23]
	v_fmac_f64_e32 v[40:41], v[64:65], v[22:23]
	v_fma_f64 v[56:57], -v[64:65], v[24:25], v[56:57]
	v_fmac_f64_e32 v[40:41], v[68:69], v[24:25]
	v_cvt_f64_f32_e32 v[64:65], v66
	v_cvt_f64_f32_e32 v[66:67], v67
	v_fmac_f64_e32 v[56:57], v[64:65], v[18:19]
	v_fmac_f64_e32 v[40:41], v[66:67], v[18:19]
	v_fma_f64 v[56:57], -v[66:67], v[20:21], v[56:57]
	v_fmac_f64_e32 v[40:41], v[64:65], v[20:21]
	;; [unrolled: 6-line block ×3, first 2 shown]
	v_cvt_f64_f32_e32 v[60:61], v62
	v_cvt_f64_f32_e32 v[62:63], v63
	v_fmac_f64_e32 v[56:57], v[60:61], v[10:11]
	v_fmac_f64_e32 v[40:41], v[62:63], v[10:11]
	v_fma_f64 v[54:55], -v[70:71], v[12:13], v[54:55]
	v_fma_f64 v[56:57], -v[62:63], v[12:13], v[56:57]
	v_fmac_f64_e32 v[40:41], v[60:61], v[12:13]
	global_load_dwordx4 v[60:63], v[46:47], off offset:3184
	global_load_dwordx4 v[64:67], v[46:47], off offset:3168
	;; [unrolled: 1-line block ×4, first 2 shown]
	v_lshl_add_u64 v[46:47], v[46:47], 0, s[14:15]
	s_waitcnt vmcnt(0)
	v_cvt_f64_f32_e32 v[76:77], v72
	v_cvt_f64_f32_e32 v[72:73], v73
	v_fmac_f64_e32 v[52:53], v[76:77], v[22:23]
	v_fmac_f64_e32 v[38:39], v[72:73], v[22:23]
	v_fma_f64 v[52:53], -v[72:73], v[24:25], v[52:53]
	v_fmac_f64_e32 v[38:39], v[76:77], v[24:25]
	v_cvt_f64_f32_e32 v[72:73], v74
	v_cvt_f64_f32_e32 v[74:75], v75
	v_fmac_f64_e32 v[52:53], v[72:73], v[18:19]
	v_fmac_f64_e32 v[38:39], v[74:75], v[18:19]
	v_fma_f64 v[52:53], -v[74:75], v[20:21], v[52:53]
	v_fmac_f64_e32 v[38:39], v[72:73], v[20:21]
	;; [unrolled: 6-line block ×3, first 2 shown]
	v_cvt_f64_f32_e32 v[68:69], v70
	v_cvt_f64_f32_e32 v[70:71], v71
	v_fmac_f64_e32 v[38:39], v[70:71], v[10:11]
	v_fmac_f64_e32 v[52:53], v[68:69], v[10:11]
	;; [unrolled: 1-line block ×3, first 2 shown]
	v_cvt_f64_f32_e32 v[68:69], v64
	v_cvt_f64_f32_e32 v[64:65], v65
	v_fmac_f64_e32 v[58:59], v[68:69], v[22:23]
	v_fmac_f64_e32 v[36:37], v[64:65], v[22:23]
	v_fma_f64 v[58:59], -v[64:65], v[24:25], v[58:59]
	v_fmac_f64_e32 v[36:37], v[68:69], v[24:25]
	v_cvt_f64_f32_e32 v[22:23], v66
	v_cvt_f64_f32_e32 v[24:25], v67
	v_fmac_f64_e32 v[58:59], v[22:23], v[18:19]
	v_fmac_f64_e32 v[36:37], v[24:25], v[18:19]
	v_fma_f64 v[58:59], -v[24:25], v[20:21], v[58:59]
	v_fmac_f64_e32 v[36:37], v[22:23], v[20:21]
	;; [unrolled: 6-line block ×3, first 2 shown]
	v_cvt_f64_f32_e32 v[14:15], v62
	v_cvt_f64_f32_e32 v[16:17], v63
	v_fmac_f64_e32 v[22:23], v[14:15], v[10:11]
	v_fmac_f64_e32 v[36:37], v[16:17], v[10:11]
	v_fma_f64 v[52:53], -v[70:71], v[12:13], v[52:53]
	v_fma_f64 v[20:21], -v[16:17], v[12:13], v[22:23]
	v_fmac_f64_e32 v[36:37], v[14:15], v[12:13]
	s_andn2_b64 exec, exec, s[12:13]
	s_cbranch_execnz .LBB176_21
; %bb.22:
	s_or_b64 exec, exec, s[12:13]
.LBB176_23:
	s_or_b64 exec, exec, s[10:11]
.LBB176_24:
	s_or_b64 exec, exec, s[6:7]
	s_cbranch_execz .LBB176_26
	s_branch .LBB176_37
.LBB176_25:
                                        ; implicit-def: $vgpr42_vgpr43
                                        ; implicit-def: $vgpr54_vgpr55
                                        ; implicit-def: $vgpr40_vgpr41
                                        ; implicit-def: $vgpr56_vgpr57
                                        ; implicit-def: $vgpr38_vgpr39
                                        ; implicit-def: $vgpr52_vgpr53
                                        ; implicit-def: $vgpr36_vgpr37
                                        ; implicit-def: $vgpr20_vgpr21
.LBB176_26:
	v_mov_b64_e32 v[42:43], 0
	v_mov_b64_e32 v[54:55], 0
	;; [unrolled: 1-line block ×8, first 2 shown]
	s_and_saveexec_b64 s[6:7], s[2:3]
	s_cbranch_execz .LBB176_36
; %bb.27:
	v_or_b32_e32 v1, 8, v0
	v_sub_co_u32_e32 v10, vcc, v1, v28
	v_not_b32_e32 v13, v45
	s_nop 0
	v_subb_co_u32_e32 v11, vcc, 0, v29, vcc
	v_lshl_add_u64 v[10:11], v[10:11], 0, v[44:45]
	v_cmp_gt_i64_e32 vcc, v[10:11], v[32:33]
	v_not_b32_e32 v12, v44
	v_mov_b64_e32 v[20:21], 0
	v_cndmask_b32_e32 v11, v33, v11, vcc
	v_cndmask_b32_e32 v10, v32, v10, vcc
	v_sub_co_u32_e32 v14, vcc, v28, v0
	v_mov_b64_e32 v[36:37], 0
	s_nop 0
	v_subbrev_co_u32_e32 v15, vcc, 0, v29, vcc
	v_lshl_add_u64 v[12:13], v[14:15], 0, v[12:13]
	v_lshl_add_u64 v[10:11], v[12:13], 0, v[10:11]
	v_and_b32_e32 v12, 24, v10
	v_mov_b32_e32 v13, 0
	v_cmp_ne_u64_e32 vcc, 24, v[12:13]
	v_mov_b64_e32 v[52:53], 0
	v_mov_b64_e32 v[38:39], 0
	;; [unrolled: 1-line block ×6, first 2 shown]
	s_and_saveexec_b64 s[2:3], vcc
	s_cbranch_execz .LBB176_31
; %bb.28:
	v_lshrrev_b32_e32 v1, 3, v10
	v_add_u32_e32 v1, 1, v1
	v_and_b32_e32 v1, 3, v1
	v_sub_co_u32_e32 v14, vcc, 0, v1
	v_lshl_add_u64 v[12:13], v[30:31], 3, s[8:9]
	s_nop 0
	v_subb_co_u32_e64 v15, s[12:13], 0, 0, vcc
	s_mov_b64 s[10:11], 0
	v_mov_b64_e32 v[42:43], 0
	s_mov_b64 s[12:13], 0x400
	v_mov_b64_e32 v[54:55], 0
	v_mov_b64_e32 v[40:41], 0
	;; [unrolled: 1-line block ×7, first 2 shown]
.LBB176_29:                             ; =>This Inner Loop Header: Depth=1
	global_load_dwordx2 v[74:75], v[12:13], off
	global_load_dwordx4 v[16:19], v[34:35], off
	global_load_dwordx4 v[22:25], v[34:35], off offset:16
	global_load_dwordx4 v[44:47], v[34:35], off offset:32
	;; [unrolled: 1-line block ×7, first 2 shown]
	v_lshl_add_u64 v[14:15], v[14:15], 0, 1
	v_cmp_eq_u64_e32 vcc, 0, v[14:15]
	s_or_b64 s[10:11], vcc, s[10:11]
	v_lshl_add_u64 v[34:35], v[34:35], 0, s[12:13]
	v_lshl_add_u64 v[30:31], v[30:31], 0, 8
	;; [unrolled: 1-line block ×3, first 2 shown]
	s_waitcnt vmcnt(8)
	v_sub_co_u32_e32 v74, vcc, v74, v28
	s_nop 1
	v_subb_co_u32_e32 v75, vcc, v75, v29, vcc
	s_waitcnt vmcnt(7)
	v_cvt_f64_f32_e32 v[78:79], v16
	v_cvt_f64_f32_e32 v[80:81], v17
	v_lshlrev_b64 v[16:17], 6, v[74:75]
	v_lshl_add_u64 v[106:107], s[4:5], 0, v[16:17]
	v_cvt_f64_f32_e32 v[82:83], v18
	v_cvt_f64_f32_e32 v[84:85], v19
	s_waitcnt vmcnt(6)
	v_cvt_f64_f32_e32 v[86:87], v22
	v_cvt_f64_f32_e32 v[88:89], v23
	;; [unrolled: 1-line block ×4, first 2 shown]
	s_waitcnt vmcnt(5)
	v_cvt_f64_f32_e32 v[94:95], v44
	v_cvt_f64_f32_e32 v[96:97], v45
	;; [unrolled: 1-line block ×4, first 2 shown]
	global_load_dwordx4 v[16:19], v[106:107], off
	global_load_dwordx4 v[22:25], v[106:107], off offset:16
	global_load_dwordx4 v[44:47], v[106:107], off offset:32
	;; [unrolled: 1-line block ×3, first 2 shown]
	s_waitcnt vmcnt(8)
	v_cvt_f64_f32_e32 v[102:103], v48
	v_cvt_f64_f32_e32 v[48:49], v49
	v_cvt_f64_f32_e32 v[104:105], v50
	v_cvt_f64_f32_e32 v[50:51], v51
	s_waitcnt vmcnt(7)
	v_cvt_f64_f32_e32 v[106:107], v58
	v_cvt_f64_f32_e32 v[58:59], v59
	v_cvt_f64_f32_e32 v[108:109], v60
	v_cvt_f64_f32_e32 v[60:61], v61
	;; [unrolled: 5-line block ×5, first 2 shown]
	s_waitcnt vmcnt(3)
	v_fmac_f64_e32 v[54:55], v[78:79], v[16:17]
	v_fmac_f64_e32 v[42:43], v[80:81], v[16:17]
	v_fmac_f64_e32 v[56:57], v[82:83], v[16:17]
	v_fmac_f64_e32 v[40:41], v[84:85], v[16:17]
	v_fmac_f64_e32 v[52:53], v[86:87], v[16:17]
	v_fmac_f64_e32 v[38:39], v[88:89], v[16:17]
	v_fmac_f64_e32 v[20:21], v[90:91], v[16:17]
	v_fmac_f64_e32 v[36:37], v[92:93], v[16:17]
	v_fma_f64 v[16:17], -v[80:81], v[18:19], v[54:55]
	v_fmac_f64_e32 v[42:43], v[78:79], v[18:19]
	v_fma_f64 v[54:55], -v[84:85], v[18:19], v[56:57]
	v_fmac_f64_e32 v[40:41], v[82:83], v[18:19]
	v_fma_f64 v[52:53], -v[88:89], v[18:19], v[52:53]
	v_fmac_f64_e32 v[38:39], v[86:87], v[18:19]
	v_fma_f64 v[20:21], -v[92:93], v[18:19], v[20:21]
	v_fmac_f64_e32 v[36:37], v[90:91], v[18:19]
	s_waitcnt vmcnt(2)
	v_fmac_f64_e32 v[16:17], v[94:95], v[22:23]
	v_fmac_f64_e32 v[42:43], v[96:97], v[22:23]
	v_fmac_f64_e32 v[54:55], v[98:99], v[22:23]
	v_fmac_f64_e32 v[40:41], v[100:101], v[22:23]
	v_fmac_f64_e32 v[52:53], v[102:103], v[22:23]
	v_fmac_f64_e32 v[38:39], v[48:49], v[22:23]
	v_fmac_f64_e32 v[20:21], v[104:105], v[22:23]
	v_fmac_f64_e32 v[36:37], v[50:51], v[22:23]
	v_fma_f64 v[16:17], -v[96:97], v[24:25], v[16:17]
	v_fmac_f64_e32 v[42:43], v[94:95], v[24:25]
	v_fma_f64 v[18:19], -v[100:101], v[24:25], v[54:55]
	v_fmac_f64_e32 v[40:41], v[98:99], v[24:25]
	v_fma_f64 v[22:23], -v[48:49], v[24:25], v[52:53]
	v_fmac_f64_e32 v[38:39], v[102:103], v[24:25]
	v_fma_f64 v[20:21], -v[50:51], v[24:25], v[20:21]
	v_fmac_f64_e32 v[36:37], v[104:105], v[24:25]
	;; [unrolled: 17-line block ×4, first 2 shown]
	s_andn2_b64 exec, exec, s[10:11]
	s_cbranch_execnz .LBB176_29
; %bb.30:
	s_or_b64 exec, exec, s[10:11]
.LBB176_31:
	s_or_b64 exec, exec, s[2:3]
	v_cmp_lt_u64_e32 vcc, 23, v[10:11]
	s_and_saveexec_b64 s[2:3], vcc
	s_cbranch_execz .LBB176_35
; %bb.32:
	v_lshl_add_u64 v[10:11], v[30:31], 3, s[8:9]
	s_mov_b64 s[8:9], 0x80
	v_lshl_add_u64 v[18:19], v[10:11], 0, s[8:9]
	s_mov_b64 s[8:9], 0
	s_mov_b64 s[10:11], 0x1000
	;; [unrolled: 1-line block ×3, first 2 shown]
.LBB176_33:                             ; =>This Inner Loop Header: Depth=1
	global_load_dwordx2 v[10:11], v[18:19], off offset:-128
	global_load_dwordx4 v[14:17], v[34:35], off offset:48
	global_load_dwordx4 v[22:25], v[34:35], off offset:32
	;; [unrolled: 1-line block ×3, first 2 shown]
	global_load_dwordx4 v[48:51], v[34:35], off
	v_lshl_add_u64 v[30:31], v[30:31], 0, 32
	s_waitcnt vmcnt(4)
	v_sub_co_u32_e32 v10, vcc, v10, v28
	s_nop 1
	v_subb_co_u32_e32 v11, vcc, v11, v29, vcc
	v_lshlrev_b64 v[10:11], 6, v[10:11]
	v_lshl_add_u64 v[72:73], s[4:5], 0, v[10:11]
	global_load_dwordx4 v[10:13], v[72:73], off offset:48
	global_load_dwordx4 v[58:61], v[72:73], off offset:32
	global_load_dwordx4 v[62:65], v[72:73], off offset:16
	global_load_dwordx4 v[66:69], v[72:73], off
	s_waitcnt vmcnt(4)
	v_cvt_f64_f32_e32 v[70:71], v48
	v_cvt_f64_f32_e32 v[48:49], v49
	s_waitcnt vmcnt(0)
	v_fmac_f64_e32 v[54:55], v[70:71], v[66:67]
	v_fma_f64 v[54:55], -v[48:49], v[68:69], v[54:55]
	v_fmac_f64_e32 v[42:43], v[48:49], v[66:67]
	v_cvt_f64_f32_e32 v[48:49], v50
	v_cvt_f64_f32_e32 v[50:51], v51
	v_fmac_f64_e32 v[40:41], v[50:51], v[66:67]
	v_fmac_f64_e32 v[56:57], v[48:49], v[66:67]
	;; [unrolled: 1-line block ×3, first 2 shown]
	v_cvt_f64_f32_e32 v[48:49], v44
	v_cvt_f64_f32_e32 v[44:45], v45
	v_fmac_f64_e32 v[52:53], v[48:49], v[66:67]
	v_fma_f64 v[56:57], -v[50:51], v[68:69], v[56:57]
	v_fma_f64 v[50:51], -v[44:45], v[68:69], v[52:53]
	v_fmac_f64_e32 v[38:39], v[44:45], v[66:67]
	v_cvt_f64_f32_e32 v[44:45], v46
	v_cvt_f64_f32_e32 v[46:47], v47
	v_fmac_f64_e32 v[36:37], v[46:47], v[66:67]
	v_fmac_f64_e32 v[20:21], v[44:45], v[66:67]
	;; [unrolled: 1-line block ×3, first 2 shown]
	v_cvt_f64_f32_e32 v[44:45], v22
	v_fmac_f64_e32 v[42:43], v[70:71], v[68:69]
	v_cvt_f64_f32_e32 v[22:23], v23
	v_fmac_f64_e32 v[54:55], v[44:45], v[62:63]
	v_fma_f64 v[52:53], -v[22:23], v[64:65], v[54:55]
	v_fmac_f64_e32 v[42:43], v[22:23], v[62:63]
	v_cvt_f64_f32_e32 v[22:23], v24
	v_cvt_f64_f32_e32 v[24:25], v25
	v_fmac_f64_e32 v[40:41], v[24:25], v[62:63]
	v_fmac_f64_e32 v[56:57], v[22:23], v[62:63]
	;; [unrolled: 1-line block ×3, first 2 shown]
	v_cvt_f64_f32_e32 v[22:23], v14
	v_fmac_f64_e32 v[38:39], v[48:49], v[68:69]
	v_cvt_f64_f32_e32 v[14:15], v15
	v_fmac_f64_e32 v[50:51], v[22:23], v[62:63]
	v_fma_f64 v[20:21], -v[46:47], v[68:69], v[20:21]
	v_fma_f64 v[54:55], -v[24:25], v[64:65], v[56:57]
	;; [unrolled: 1-line block ×3, first 2 shown]
	v_fmac_f64_e32 v[38:39], v[14:15], v[62:63]
	v_cvt_f64_f32_e32 v[14:15], v16
	v_cvt_f64_f32_e32 v[16:17], v17
	v_fmac_f64_e32 v[20:21], v[14:15], v[62:63]
	v_fmac_f64_e32 v[36:37], v[16:17], v[62:63]
	;; [unrolled: 1-line block ×4, first 2 shown]
	v_fma_f64 v[56:57], -v[16:17], v[64:65], v[20:21]
	v_fmac_f64_e32 v[36:37], v[14:15], v[64:65]
	global_load_dwordx4 v[14:17], v[34:35], off offset:112
	global_load_dwordx4 v[20:23], v[34:35], off offset:96
	;; [unrolled: 1-line block ×4, first 2 shown]
	s_waitcnt vmcnt(0)
	v_cvt_f64_f32_e32 v[62:63], v48
	v_cvt_f64_f32_e32 v[48:49], v49
	v_fmac_f64_e32 v[52:53], v[62:63], v[58:59]
	v_fma_f64 v[52:53], -v[48:49], v[60:61], v[52:53]
	v_fmac_f64_e32 v[42:43], v[48:49], v[58:59]
	v_cvt_f64_f32_e32 v[48:49], v50
	v_cvt_f64_f32_e32 v[50:51], v51
	v_fmac_f64_e32 v[40:41], v[50:51], v[58:59]
	v_fmac_f64_e32 v[54:55], v[48:49], v[58:59]
	v_fmac_f64_e32 v[40:41], v[48:49], v[60:61]
	v_cvt_f64_f32_e32 v[48:49], v44
	v_cvt_f64_f32_e32 v[44:45], v45
	v_fmac_f64_e32 v[24:25], v[48:49], v[58:59]
	v_fma_f64 v[24:25], -v[44:45], v[60:61], v[24:25]
	v_fmac_f64_e32 v[38:39], v[44:45], v[58:59]
	v_cvt_f64_f32_e32 v[44:45], v46
	v_cvt_f64_f32_e32 v[46:47], v47
	v_fmac_f64_e32 v[36:37], v[46:47], v[58:59]
	v_fmac_f64_e32 v[56:57], v[44:45], v[58:59]
	;; [unrolled: 1-line block ×3, first 2 shown]
	v_cvt_f64_f32_e32 v[44:45], v20
	v_fmac_f64_e32 v[42:43], v[62:63], v[60:61]
	v_cvt_f64_f32_e32 v[20:21], v21
	v_fmac_f64_e32 v[52:53], v[44:45], v[10:11]
	v_fma_f64 v[64:65], -v[20:21], v[12:13], v[52:53]
	v_fmac_f64_e32 v[42:43], v[20:21], v[10:11]
	v_cvt_f64_f32_e32 v[20:21], v22
	v_cvt_f64_f32_e32 v[22:23], v23
	v_fma_f64 v[54:55], -v[50:51], v[60:61], v[54:55]
	v_fmac_f64_e32 v[40:41], v[22:23], v[10:11]
	v_fmac_f64_e32 v[54:55], v[20:21], v[10:11]
	v_fmac_f64_e32 v[40:41], v[20:21], v[12:13]
	v_cvt_f64_f32_e32 v[20:21], v14
	v_fmac_f64_e32 v[38:39], v[48:49], v[60:61]
	v_cvt_f64_f32_e32 v[14:15], v15
	v_fmac_f64_e32 v[24:25], v[20:21], v[10:11]
	v_fma_f64 v[48:49], -v[46:47], v[60:61], v[56:57]
	v_fma_f64 v[24:25], -v[14:15], v[12:13], v[24:25]
	v_fmac_f64_e32 v[38:39], v[14:15], v[10:11]
	v_cvt_f64_f32_e32 v[14:15], v16
	v_cvt_f64_f32_e32 v[16:17], v17
	v_fmac_f64_e32 v[48:49], v[14:15], v[10:11]
	v_fmac_f64_e32 v[36:37], v[16:17], v[10:11]
	global_load_dwordx2 v[10:11], v[18:19], off offset:-64
	v_fma_f64 v[68:69], -v[16:17], v[12:13], v[48:49]
	v_fmac_f64_e32 v[42:43], v[44:45], v[12:13]
	v_fma_f64 v[66:67], -v[22:23], v[12:13], v[54:55]
	v_fmac_f64_e32 v[38:39], v[20:21], v[12:13]
	v_fmac_f64_e32 v[36:37], v[14:15], v[12:13]
	s_waitcnt vmcnt(0)
	v_sub_co_u32_e32 v48, vcc, v10, v28
	s_nop 1
	v_subb_co_u32_e32 v49, vcc, v11, v29, vcc
	v_lshlrev_b64 v[48:49], 6, v[48:49]
	global_load_dwordx4 v[10:13], v[34:35], off offset:1072
	global_load_dwordx4 v[14:17], v[34:35], off offset:1056
	;; [unrolled: 1-line block ×4, first 2 shown]
	v_lshl_add_u64 v[72:73], s[4:5], 0, v[48:49]
	global_load_dwordx4 v[48:51], v[72:73], off offset:48
	global_load_dwordx4 v[52:55], v[72:73], off offset:32
	;; [unrolled: 1-line block ×3, first 2 shown]
	global_load_dwordx4 v[60:63], v[72:73], off
	s_waitcnt vmcnt(4)
	v_cvt_f64_f32_e32 v[70:71], v44
	v_cvt_f64_f32_e32 v[44:45], v45
	s_waitcnt vmcnt(0)
	v_fmac_f64_e32 v[64:65], v[70:71], v[60:61]
	v_fma_f64 v[64:65], -v[44:45], v[62:63], v[64:65]
	v_fmac_f64_e32 v[42:43], v[44:45], v[60:61]
	v_cvt_f64_f32_e32 v[44:45], v46
	v_cvt_f64_f32_e32 v[46:47], v47
	v_fmac_f64_e32 v[40:41], v[46:47], v[60:61]
	v_fmac_f64_e32 v[66:67], v[44:45], v[60:61]
	;; [unrolled: 1-line block ×3, first 2 shown]
	v_cvt_f64_f32_e32 v[44:45], v20
	v_cvt_f64_f32_e32 v[20:21], v21
	v_fmac_f64_e32 v[24:25], v[44:45], v[60:61]
	v_fma_f64 v[24:25], -v[20:21], v[62:63], v[24:25]
	v_fmac_f64_e32 v[38:39], v[20:21], v[60:61]
	v_cvt_f64_f32_e32 v[20:21], v22
	v_cvt_f64_f32_e32 v[22:23], v23
	v_fmac_f64_e32 v[36:37], v[22:23], v[60:61]
	v_fmac_f64_e32 v[68:69], v[20:21], v[60:61]
	;; [unrolled: 1-line block ×3, first 2 shown]
	v_cvt_f64_f32_e32 v[20:21], v14
	v_fmac_f64_e32 v[42:43], v[70:71], v[62:63]
	v_cvt_f64_f32_e32 v[14:15], v15
	v_fmac_f64_e32 v[64:65], v[20:21], v[56:57]
	v_fma_f64 v[60:61], -v[14:15], v[58:59], v[64:65]
	v_fmac_f64_e32 v[42:43], v[14:15], v[56:57]
	v_cvt_f64_f32_e32 v[14:15], v16
	v_cvt_f64_f32_e32 v[16:17], v17
	v_fma_f64 v[66:67], -v[46:47], v[62:63], v[66:67]
	v_fmac_f64_e32 v[40:41], v[16:17], v[56:57]
	v_fmac_f64_e32 v[66:67], v[14:15], v[56:57]
	;; [unrolled: 1-line block ×3, first 2 shown]
	v_cvt_f64_f32_e32 v[14:15], v10
	v_fmac_f64_e32 v[38:39], v[44:45], v[62:63]
	v_cvt_f64_f32_e32 v[10:11], v11
	v_fmac_f64_e32 v[24:25], v[14:15], v[56:57]
	v_fma_f64 v[44:45], -v[22:23], v[62:63], v[68:69]
	v_fma_f64 v[24:25], -v[10:11], v[58:59], v[24:25]
	v_fmac_f64_e32 v[38:39], v[10:11], v[56:57]
	v_cvt_f64_f32_e32 v[10:11], v12
	v_cvt_f64_f32_e32 v[12:13], v13
	v_fmac_f64_e32 v[44:45], v[10:11], v[56:57]
	v_fmac_f64_e32 v[36:37], v[12:13], v[56:57]
	;; [unrolled: 1-line block ×3, first 2 shown]
	v_fma_f64 v[62:63], -v[16:17], v[58:59], v[66:67]
	v_fmac_f64_e32 v[38:39], v[14:15], v[58:59]
	v_fma_f64 v[64:65], -v[12:13], v[58:59], v[44:45]
	v_fmac_f64_e32 v[36:37], v[10:11], v[58:59]
	global_load_dwordx4 v[14:17], v[34:35], off offset:1136
	global_load_dwordx4 v[10:13], v[34:35], off offset:1120
	;; [unrolled: 1-line block ×4, first 2 shown]
	s_waitcnt vmcnt(0)
	v_cvt_f64_f32_e32 v[56:57], v44
	v_cvt_f64_f32_e32 v[44:45], v45
	v_fmac_f64_e32 v[60:61], v[56:57], v[52:53]
	v_fma_f64 v[58:59], -v[44:45], v[54:55], v[60:61]
	v_fmac_f64_e32 v[42:43], v[44:45], v[52:53]
	v_cvt_f64_f32_e32 v[44:45], v46
	v_cvt_f64_f32_e32 v[46:47], v47
	v_fmac_f64_e32 v[40:41], v[46:47], v[52:53]
	v_fmac_f64_e32 v[62:63], v[44:45], v[52:53]
	;; [unrolled: 1-line block ×3, first 2 shown]
	v_cvt_f64_f32_e32 v[44:45], v20
	v_cvt_f64_f32_e32 v[20:21], v21
	v_fmac_f64_e32 v[24:25], v[44:45], v[52:53]
	v_fma_f64 v[24:25], -v[20:21], v[54:55], v[24:25]
	v_fmac_f64_e32 v[38:39], v[20:21], v[52:53]
	v_cvt_f64_f32_e32 v[20:21], v22
	v_cvt_f64_f32_e32 v[22:23], v23
	v_fmac_f64_e32 v[36:37], v[22:23], v[52:53]
	v_fmac_f64_e32 v[64:65], v[20:21], v[52:53]
	;; [unrolled: 1-line block ×3, first 2 shown]
	v_cvt_f64_f32_e32 v[20:21], v10
	v_fmac_f64_e32 v[42:43], v[56:57], v[54:55]
	v_fmac_f64_e32 v[38:39], v[44:45], v[54:55]
	v_fma_f64 v[44:45], -v[22:23], v[54:55], v[64:65]
	v_cvt_f64_f32_e32 v[22:23], v11
	v_fmac_f64_e32 v[58:59], v[20:21], v[48:49]
	v_fma_f64 v[10:11], -v[22:23], v[50:51], v[58:59]
	v_fmac_f64_e32 v[42:43], v[22:23], v[48:49]
	v_cvt_f64_f32_e32 v[22:23], v13
	v_fma_f64 v[56:57], -v[46:47], v[54:55], v[62:63]
	v_fmac_f64_e32 v[42:43], v[20:21], v[50:51]
	v_cvt_f64_f32_e32 v[20:21], v12
	v_fmac_f64_e32 v[40:41], v[22:23], v[48:49]
	v_fmac_f64_e32 v[56:57], v[20:21], v[48:49]
	;; [unrolled: 1-line block ×3, first 2 shown]
	v_cvt_f64_f32_e32 v[20:21], v14
	v_fma_f64 v[12:13], -v[22:23], v[50:51], v[56:57]
	v_cvt_f64_f32_e32 v[22:23], v15
	v_fmac_f64_e32 v[24:25], v[20:21], v[48:49]
	v_fma_f64 v[14:15], -v[22:23], v[50:51], v[24:25]
	v_fmac_f64_e32 v[38:39], v[22:23], v[48:49]
	v_cvt_f64_f32_e32 v[22:23], v17
	v_fmac_f64_e32 v[38:39], v[20:21], v[50:51]
	v_cvt_f64_f32_e32 v[20:21], v16
	v_fmac_f64_e32 v[36:37], v[22:23], v[48:49]
	v_fmac_f64_e32 v[44:45], v[20:21], v[48:49]
	v_fmac_f64_e32 v[36:37], v[20:21], v[50:51]
	global_load_dwordx2 v[20:21], v[18:19], off
	v_fma_f64 v[16:17], -v[22:23], v[50:51], v[44:45]
	s_waitcnt vmcnt(0)
	v_sub_co_u32_e32 v24, vcc, v20, v28
	s_nop 1
	v_subb_co_u32_e32 v25, vcc, v21, v29, vcc
	v_lshlrev_b64 v[24:25], 6, v[24:25]
	global_load_dwordx4 v[20:23], v[34:35], off offset:2096
	global_load_dwordx4 v[44:47], v[34:35], off offset:2080
	;; [unrolled: 1-line block ×4, first 2 shown]
	v_lshl_add_u64 v[24:25], s[4:5], 0, v[24:25]
	global_load_dwordx4 v[56:59], v[24:25], off offset:48
	global_load_dwordx4 v[60:63], v[24:25], off offset:32
	;; [unrolled: 1-line block ×3, first 2 shown]
	global_load_dwordx4 v[68:71], v[24:25], off
	s_waitcnt vmcnt(4)
	v_cvt_f64_f32_e32 v[72:73], v52
	v_cvt_f64_f32_e32 v[52:53], v53
	s_waitcnt vmcnt(0)
	v_fmac_f64_e32 v[10:11], v[72:73], v[68:69]
	v_fma_f64 v[10:11], -v[52:53], v[70:71], v[10:11]
	v_fmac_f64_e32 v[42:43], v[52:53], v[68:69]
	v_cvt_f64_f32_e32 v[52:53], v55
	v_cvt_f64_f32_e32 v[24:25], v54
	v_fmac_f64_e32 v[40:41], v[52:53], v[68:69]
	v_fmac_f64_e32 v[12:13], v[24:25], v[68:69]
	;; [unrolled: 1-line block ×3, first 2 shown]
	v_cvt_f64_f32_e32 v[24:25], v48
	v_cvt_f64_f32_e32 v[48:49], v49
	v_fmac_f64_e32 v[14:15], v[24:25], v[68:69]
	v_fma_f64 v[14:15], -v[48:49], v[70:71], v[14:15]
	v_fmac_f64_e32 v[38:39], v[48:49], v[68:69]
	v_cvt_f64_f32_e32 v[48:49], v51
	v_fmac_f64_e32 v[38:39], v[24:25], v[70:71]
	v_cvt_f64_f32_e32 v[24:25], v50
	v_fmac_f64_e32 v[36:37], v[48:49], v[68:69]
	v_fmac_f64_e32 v[42:43], v[72:73], v[70:71]
	;; [unrolled: 1-line block ×4, first 2 shown]
	v_cvt_f64_f32_e32 v[24:25], v44
	v_cvt_f64_f32_e32 v[44:45], v45
	v_fmac_f64_e32 v[10:11], v[24:25], v[64:65]
	v_fmac_f64_e32 v[42:43], v[44:45], v[64:65]
	v_fma_f64 v[12:13], -v[52:53], v[70:71], v[12:13]
	v_fma_f64 v[16:17], -v[48:49], v[70:71], v[16:17]
	;; [unrolled: 1-line block ×3, first 2 shown]
	v_fmac_f64_e32 v[42:43], v[24:25], v[66:67]
	v_cvt_f64_f32_e32 v[10:11], v46
	v_cvt_f64_f32_e32 v[24:25], v47
	v_fmac_f64_e32 v[12:13], v[10:11], v[64:65]
	v_fmac_f64_e32 v[40:41], v[24:25], v[64:65]
	v_fma_f64 v[50:51], -v[24:25], v[66:67], v[12:13]
	v_fmac_f64_e32 v[40:41], v[10:11], v[66:67]
	v_cvt_f64_f32_e32 v[10:11], v20
	v_cvt_f64_f32_e32 v[12:13], v21
	v_fmac_f64_e32 v[14:15], v[10:11], v[64:65]
	v_fmac_f64_e32 v[38:39], v[12:13], v[64:65]
	v_fma_f64 v[24:25], -v[12:13], v[66:67], v[14:15]
	;; [unrolled: 6-line block ×3, first 2 shown]
	v_fmac_f64_e32 v[36:37], v[10:11], v[66:67]
	global_load_dwordx4 v[10:13], v[34:35], off offset:2160
	global_load_dwordx4 v[14:17], v[34:35], off offset:2144
	;; [unrolled: 1-line block ×4, first 2 shown]
	s_waitcnt vmcnt(0)
	v_cvt_f64_f32_e32 v[54:55], v44
	v_cvt_f64_f32_e32 v[44:45], v45
	v_fmac_f64_e32 v[48:49], v[54:55], v[60:61]
	v_fma_f64 v[48:49], -v[44:45], v[62:63], v[48:49]
	v_fmac_f64_e32 v[42:43], v[44:45], v[60:61]
	v_cvt_f64_f32_e32 v[44:45], v46
	v_cvt_f64_f32_e32 v[46:47], v47
	v_fmac_f64_e32 v[40:41], v[46:47], v[60:61]
	v_fmac_f64_e32 v[50:51], v[44:45], v[60:61]
	v_fmac_f64_e32 v[40:41], v[44:45], v[62:63]
	v_cvt_f64_f32_e32 v[44:45], v20
	v_cvt_f64_f32_e32 v[20:21], v21
	v_fmac_f64_e32 v[24:25], v[44:45], v[60:61]
	v_fma_f64 v[50:51], -v[46:47], v[62:63], v[50:51]
	v_fma_f64 v[46:47], -v[20:21], v[62:63], v[24:25]
	v_fmac_f64_e32 v[38:39], v[20:21], v[60:61]
	v_cvt_f64_f32_e32 v[20:21], v22
	v_cvt_f64_f32_e32 v[22:23], v23
	v_fmac_f64_e32 v[36:37], v[22:23], v[60:61]
	v_fmac_f64_e32 v[52:53], v[20:21], v[60:61]
	;; [unrolled: 1-line block ×3, first 2 shown]
	v_cvt_f64_f32_e32 v[20:21], v14
	v_fmac_f64_e32 v[42:43], v[54:55], v[62:63]
	v_cvt_f64_f32_e32 v[14:15], v15
	v_fmac_f64_e32 v[48:49], v[20:21], v[56:57]
	v_fmac_f64_e32 v[38:39], v[44:45], v[62:63]
	v_fma_f64 v[44:45], -v[14:15], v[58:59], v[48:49]
	v_fmac_f64_e32 v[42:43], v[14:15], v[56:57]
	v_cvt_f64_f32_e32 v[14:15], v16
	v_cvt_f64_f32_e32 v[16:17], v17
	v_fmac_f64_e32 v[40:41], v[16:17], v[56:57]
	v_fmac_f64_e32 v[50:51], v[14:15], v[56:57]
	;; [unrolled: 1-line block ×3, first 2 shown]
	v_cvt_f64_f32_e32 v[14:15], v10
	v_cvt_f64_f32_e32 v[10:11], v11
	v_fmac_f64_e32 v[46:47], v[14:15], v[56:57]
	v_fma_f64 v[52:53], -v[22:23], v[62:63], v[52:53]
	v_fma_f64 v[22:23], -v[10:11], v[58:59], v[46:47]
	v_fmac_f64_e32 v[38:39], v[10:11], v[56:57]
	v_cvt_f64_f32_e32 v[10:11], v12
	v_cvt_f64_f32_e32 v[12:13], v13
	v_fmac_f64_e32 v[36:37], v[12:13], v[56:57]
	v_fmac_f64_e32 v[52:53], v[10:11], v[56:57]
	;; [unrolled: 1-line block ×3, first 2 shown]
	global_load_dwordx2 v[10:11], v[18:19], off offset:64
	v_fmac_f64_e32 v[42:43], v[20:21], v[58:59]
	v_fma_f64 v[24:25], -v[16:17], v[58:59], v[50:51]
	v_fmac_f64_e32 v[38:39], v[14:15], v[58:59]
	v_fma_f64 v[20:21], -v[12:13], v[58:59], v[52:53]
	global_load_dwordx4 v[46:49], v[34:35], off offset:3120
	global_load_dwordx4 v[50:53], v[34:35], off offset:3104
	global_load_dwordx4 v[54:57], v[34:35], off offset:3088
	global_load_dwordx4 v[58:61], v[34:35], off offset:3072
	v_lshl_add_u64 v[18:19], v[18:19], 0, s[12:13]
	s_waitcnt vmcnt(4)
	v_sub_co_u32_e32 v10, vcc, v10, v28
	s_nop 1
	v_subb_co_u32_e32 v11, vcc, v11, v29, vcc
	v_lshlrev_b64 v[10:11], 6, v[10:11]
	v_lshl_add_u64 v[72:73], s[4:5], 0, v[10:11]
	global_load_dwordx4 v[10:13], v[72:73], off offset:48
	global_load_dwordx4 v[14:17], v[72:73], off offset:32
	;; [unrolled: 1-line block ×3, first 2 shown]
	global_load_dwordx4 v[66:69], v[72:73], off
	s_waitcnt vmcnt(4)
	v_cvt_f64_f32_e32 v[70:71], v58
	v_cvt_f64_f32_e32 v[58:59], v59
	v_cmp_ge_i64_e32 vcc, v[30:31], v[32:33]
	s_or_b64 s[8:9], vcc, s[8:9]
	s_waitcnt vmcnt(0)
	v_fmac_f64_e32 v[44:45], v[70:71], v[66:67]
	v_fma_f64 v[44:45], -v[58:59], v[68:69], v[44:45]
	v_fmac_f64_e32 v[42:43], v[58:59], v[66:67]
	v_cvt_f64_f32_e32 v[58:59], v60
	v_cvt_f64_f32_e32 v[60:61], v61
	v_fmac_f64_e32 v[40:41], v[60:61], v[66:67]
	v_fmac_f64_e32 v[24:25], v[58:59], v[66:67]
	;; [unrolled: 1-line block ×3, first 2 shown]
	v_cvt_f64_f32_e32 v[58:59], v54
	v_cvt_f64_f32_e32 v[54:55], v55
	v_fmac_f64_e32 v[22:23], v[58:59], v[66:67]
	v_fma_f64 v[22:23], -v[54:55], v[68:69], v[22:23]
	v_fmac_f64_e32 v[38:39], v[54:55], v[66:67]
	v_cvt_f64_f32_e32 v[54:55], v56
	v_cvt_f64_f32_e32 v[56:57], v57
	v_fmac_f64_e32 v[36:37], v[56:57], v[66:67]
	v_fmac_f64_e32 v[20:21], v[54:55], v[66:67]
	v_fmac_f64_e32 v[36:37], v[54:55], v[68:69]
	v_cvt_f64_f32_e32 v[54:55], v50
	v_fmac_f64_e32 v[42:43], v[70:71], v[68:69]
	v_cvt_f64_f32_e32 v[50:51], v51
	v_fmac_f64_e32 v[44:45], v[54:55], v[62:63]
	v_fma_f64 v[20:21], -v[56:57], v[68:69], v[20:21]
	v_fma_f64 v[56:57], -v[50:51], v[64:65], v[44:45]
	v_fmac_f64_e32 v[42:43], v[50:51], v[62:63]
	v_cvt_f64_f32_e32 v[50:51], v53
	v_fma_f64 v[24:25], -v[60:61], v[68:69], v[24:25]
	v_cvt_f64_f32_e32 v[44:45], v52
	v_fmac_f64_e32 v[40:41], v[50:51], v[62:63]
	v_fmac_f64_e32 v[38:39], v[58:59], v[68:69]
	;; [unrolled: 1-line block ×4, first 2 shown]
	v_cvt_f64_f32_e32 v[44:45], v46
	v_cvt_f64_f32_e32 v[46:47], v47
	v_fmac_f64_e32 v[22:23], v[44:45], v[62:63]
	v_fmac_f64_e32 v[38:39], v[46:47], v[62:63]
	v_fma_f64 v[58:59], -v[46:47], v[64:65], v[22:23]
	v_fmac_f64_e32 v[38:39], v[44:45], v[64:65]
	v_cvt_f64_f32_e32 v[22:23], v48
	v_cvt_f64_f32_e32 v[44:45], v49
	v_fmac_f64_e32 v[20:21], v[22:23], v[62:63]
	v_fmac_f64_e32 v[36:37], v[44:45], v[62:63]
	;; [unrolled: 1-line block ×3, first 2 shown]
	v_fma_f64 v[24:25], -v[50:51], v[64:65], v[24:25]
	v_fma_f64 v[60:61], -v[44:45], v[64:65], v[20:21]
	v_fmac_f64_e32 v[36:37], v[22:23], v[64:65]
	global_load_dwordx4 v[20:23], v[34:35], off offset:3184
	global_load_dwordx4 v[44:47], v[34:35], off offset:3168
	;; [unrolled: 1-line block ×4, first 2 shown]
	v_lshl_add_u64 v[34:35], v[34:35], 0, s[10:11]
	s_waitcnt vmcnt(0)
	v_cvt_f64_f32_e32 v[62:63], v52
	v_cvt_f64_f32_e32 v[52:53], v53
	v_fmac_f64_e32 v[56:57], v[62:63], v[14:15]
	v_fma_f64 v[56:57], -v[52:53], v[16:17], v[56:57]
	v_fmac_f64_e32 v[42:43], v[52:53], v[14:15]
	v_cvt_f64_f32_e32 v[52:53], v54
	v_cvt_f64_f32_e32 v[54:55], v55
	v_fmac_f64_e32 v[40:41], v[54:55], v[14:15]
	v_fmac_f64_e32 v[24:25], v[52:53], v[14:15]
	;; [unrolled: 1-line block ×3, first 2 shown]
	v_cvt_f64_f32_e32 v[52:53], v48
	v_cvt_f64_f32_e32 v[48:49], v49
	v_fmac_f64_e32 v[58:59], v[52:53], v[14:15]
	v_fma_f64 v[58:59], -v[48:49], v[16:17], v[58:59]
	v_fmac_f64_e32 v[38:39], v[48:49], v[14:15]
	v_cvt_f64_f32_e32 v[48:49], v50
	v_cvt_f64_f32_e32 v[50:51], v51
	v_fmac_f64_e32 v[60:61], v[48:49], v[14:15]
	v_fmac_f64_e32 v[36:37], v[50:51], v[14:15]
	;; [unrolled: 1-line block ×3, first 2 shown]
	v_fma_f64 v[24:25], -v[54:55], v[16:17], v[24:25]
	v_fmac_f64_e32 v[38:39], v[52:53], v[16:17]
	v_fma_f64 v[60:61], -v[50:51], v[16:17], v[60:61]
	v_fmac_f64_e32 v[36:37], v[48:49], v[16:17]
	v_cvt_f64_f32_e32 v[14:15], v44
	v_cvt_f64_f32_e32 v[16:17], v45
	v_fmac_f64_e32 v[56:57], v[14:15], v[10:11]
	v_fmac_f64_e32 v[42:43], v[16:17], v[10:11]
	v_fma_f64 v[54:55], -v[16:17], v[12:13], v[56:57]
	v_fmac_f64_e32 v[42:43], v[14:15], v[12:13]
	v_cvt_f64_f32_e32 v[14:15], v46
	v_cvt_f64_f32_e32 v[16:17], v47
	v_fmac_f64_e32 v[24:25], v[14:15], v[10:11]
	;; [unrolled: 6-line block ×4, first 2 shown]
	v_fmac_f64_e32 v[36:37], v[16:17], v[10:11]
	v_fma_f64 v[20:21], -v[16:17], v[12:13], v[60:61]
	v_fmac_f64_e32 v[36:37], v[14:15], v[12:13]
	s_andn2_b64 exec, exec, s[8:9]
	s_cbranch_execnz .LBB176_33
; %bb.34:
	s_or_b64 exec, exec, s[8:9]
.LBB176_35:
	s_or_b64 exec, exec, s[2:3]
.LBB176_36:
	s_or_b64 exec, exec, s[6:7]
.LBB176_37:
	v_mov_b32_dpp v14, v42 row_shr:1 row_mask:0xf bank_mask:0xf
	v_mov_b32_dpp v15, v43 row_shr:1 row_mask:0xf bank_mask:0xf
	;; [unrolled: 1-line block ×6, first 2 shown]
	v_add_f64 v[14:15], v[42:43], v[14:15]
	v_mov_b32_dpp v18, v56 row_shr:1 row_mask:0xf bank_mask:0xf
	v_mov_b32_dpp v19, v57 row_shr:1 row_mask:0xf bank_mask:0xf
	v_add_f64 v[24:25], v[40:41], v[24:25]
	v_mov_b32_dpp v30, v52 row_shr:1 row_mask:0xf bank_mask:0xf
	v_mov_b32_dpp v31, v53 row_shr:1 row_mask:0xf bank_mask:0xf
	;; [unrolled: 1-line block ×8, first 2 shown]
	v_add_f64 v[10:11], v[54:55], v[10:11]
	v_add_f64 v[18:19], v[56:57], v[18:19]
	;; [unrolled: 1-line block ×6, first 2 shown]
	v_mov_b32_dpp v12, v10 row_shr:2 row_mask:0xf bank_mask:0xf
	v_mov_b32_dpp v13, v11 row_shr:2 row_mask:0xf bank_mask:0xf
	;; [unrolled: 1-line block ×16, first 2 shown]
	v_add_f64 v[10:11], v[10:11], v[12:13]
	v_add_f64 v[14:15], v[14:15], v[16:17]
	;; [unrolled: 1-line block ×8, first 2 shown]
	v_mov_b32_dpp v12, v10 row_shr:4 row_mask:0xf bank_mask:0xe
	v_mov_b32_dpp v13, v11 row_shr:4 row_mask:0xf bank_mask:0xe
	;; [unrolled: 1-line block ×16, first 2 shown]
	v_cmp_eq_u32_e32 vcc, 7, v0
	s_and_b64 exec, exec, vcc
	s_cbranch_execz .LBB176_8
; %bb.38:
	s_load_dwordx2 s[2:3], s[0:1], 0x68
	v_add_f64 v[0:1], v[10:11], v[12:13]
	v_add_f64 v[10:11], v[14:15], v[16:17]
	;; [unrolled: 1-line block ×8, first 2 shown]
	v_cmp_eq_f64_e32 vcc, 0, v[2:3]
	v_cmp_eq_f64_e64 s[0:1], 0, v[4:5]
	v_mul_f64 v[22:23], v[10:11], -v[8:9]
	v_mul_f64 v[24:25], v[6:7], v[10:11]
	v_mul_f64 v[18:19], v[12:13], -v[8:9]
	v_mul_f64 v[20:21], v[6:7], v[12:13]
	v_mul_f64 v[14:15], v[16:17], -v[8:9]
	v_mul_f64 v[16:17], v[6:7], v[16:17]
	v_mul_f64 v[10:11], v[32:33], -v[8:9]
	v_mul_f64 v[12:13], v[6:7], v[32:33]
	s_and_b64 s[0:1], vcc, s[0:1]
	v_fmac_f64_e32 v[22:23], v[6:7], v[0:1]
	v_fmac_f64_e32 v[24:25], v[8:9], v[0:1]
	v_lshlrev_b64 v[0:1], 6, v[26:27]
	v_fmac_f64_e32 v[18:19], v[6:7], v[44:45]
	v_fmac_f64_e32 v[20:21], v[8:9], v[44:45]
	;; [unrolled: 1-line block ×6, first 2 shown]
	s_and_saveexec_b64 s[4:5], s[0:1]
	s_xor_b64 s[0:1], exec, s[4:5]
	s_cbranch_execz .LBB176_40
; %bb.39:
	s_waitcnt lgkmcnt(0)
	v_lshl_add_u64 v[0:1], s[2:3], 0, v[0:1]
	global_store_dwordx4 v[0:1], v[22:25], off
	global_store_dwordx4 v[0:1], v[18:21], off offset:16
	global_store_dwordx4 v[0:1], v[14:17], off offset:32
	;; [unrolled: 1-line block ×3, first 2 shown]
                                        ; implicit-def: $vgpr4_vgpr5
                                        ; implicit-def: $vgpr22_vgpr23
                                        ; implicit-def: $vgpr0_vgpr1
                                        ; implicit-def: $vgpr18_vgpr19
                                        ; implicit-def: $vgpr14_vgpr15
                                        ; implicit-def: $vgpr10_vgpr11
.LBB176_40:
	s_andn2_saveexec_b64 s[0:1], s[0:1]
	s_cbranch_execz .LBB176_8
; %bb.41:
	s_waitcnt lgkmcnt(0)
	v_lshl_add_u64 v[0:1], s[2:3], 0, v[0:1]
	global_load_dwordx4 v[6:9], v[0:1], off
	global_load_dwordx4 v[26:29], v[0:1], off offset:16
	global_load_dwordx4 v[30:33], v[0:1], off offset:32
	;; [unrolled: 1-line block ×3, first 2 shown]
	s_waitcnt vmcnt(3)
	v_fmac_f64_e32 v[22:23], v[2:3], v[6:7]
	v_fmac_f64_e32 v[24:25], v[4:5], v[6:7]
	s_waitcnt vmcnt(2)
	v_fmac_f64_e32 v[18:19], v[2:3], v[26:27]
	v_fmac_f64_e32 v[20:21], v[4:5], v[26:27]
	;; [unrolled: 3-line block ×4, first 2 shown]
	v_fma_f64 v[22:23], -v[4:5], v[8:9], v[22:23]
	v_fmac_f64_e32 v[24:25], v[2:3], v[8:9]
	v_fma_f64 v[18:19], -v[4:5], v[28:29], v[18:19]
	v_fmac_f64_e32 v[20:21], v[2:3], v[28:29]
	;; [unrolled: 2-line block ×4, first 2 shown]
	global_store_dwordx4 v[0:1], v[22:25], off
	global_store_dwordx4 v[0:1], v[18:21], off offset:16
	global_store_dwordx4 v[0:1], v[14:17], off offset:32
	;; [unrolled: 1-line block ×3, first 2 shown]
	s_endpgm
	.section	.rodata,"a",@progbits
	.p2align	6, 0x0
	.amdhsa_kernel _ZN9rocsparseL18bsrxmvn_4x4_kernelILj128ELj8E21rocsparse_complex_numIdEllS1_IfES2_S2_EEvT3_20rocsparse_direction_NS_24const_host_device_scalarIT1_EES4_PKS4_PKT2_SD_SA_PKT4_PKT5_S8_PT6_21rocsparse_index_base_b
		.amdhsa_group_segment_fixed_size 0
		.amdhsa_private_segment_fixed_size 0
		.amdhsa_kernarg_size 120
		.amdhsa_user_sgpr_count 2
		.amdhsa_user_sgpr_dispatch_ptr 0
		.amdhsa_user_sgpr_queue_ptr 0
		.amdhsa_user_sgpr_kernarg_segment_ptr 1
		.amdhsa_user_sgpr_dispatch_id 0
		.amdhsa_user_sgpr_kernarg_preload_length 0
		.amdhsa_user_sgpr_kernarg_preload_offset 0
		.amdhsa_user_sgpr_private_segment_size 0
		.amdhsa_uses_dynamic_stack 0
		.amdhsa_enable_private_segment 0
		.amdhsa_system_sgpr_workgroup_id_x 1
		.amdhsa_system_sgpr_workgroup_id_y 0
		.amdhsa_system_sgpr_workgroup_id_z 0
		.amdhsa_system_sgpr_workgroup_info 0
		.amdhsa_system_vgpr_workitem_id 0
		.amdhsa_next_free_vgpr 128
		.amdhsa_next_free_sgpr 18
		.amdhsa_accum_offset 128
		.amdhsa_reserve_vcc 1
		.amdhsa_float_round_mode_32 0
		.amdhsa_float_round_mode_16_64 0
		.amdhsa_float_denorm_mode_32 3
		.amdhsa_float_denorm_mode_16_64 3
		.amdhsa_dx10_clamp 1
		.amdhsa_ieee_mode 1
		.amdhsa_fp16_overflow 0
		.amdhsa_tg_split 0
		.amdhsa_exception_fp_ieee_invalid_op 0
		.amdhsa_exception_fp_denorm_src 0
		.amdhsa_exception_fp_ieee_div_zero 0
		.amdhsa_exception_fp_ieee_overflow 0
		.amdhsa_exception_fp_ieee_underflow 0
		.amdhsa_exception_fp_ieee_inexact 0
		.amdhsa_exception_int_div_zero 0
	.end_amdhsa_kernel
	.section	.text._ZN9rocsparseL18bsrxmvn_4x4_kernelILj128ELj8E21rocsparse_complex_numIdEllS1_IfES2_S2_EEvT3_20rocsparse_direction_NS_24const_host_device_scalarIT1_EES4_PKS4_PKT2_SD_SA_PKT4_PKT5_S8_PT6_21rocsparse_index_base_b,"axG",@progbits,_ZN9rocsparseL18bsrxmvn_4x4_kernelILj128ELj8E21rocsparse_complex_numIdEllS1_IfES2_S2_EEvT3_20rocsparse_direction_NS_24const_host_device_scalarIT1_EES4_PKS4_PKT2_SD_SA_PKT4_PKT5_S8_PT6_21rocsparse_index_base_b,comdat
.Lfunc_end176:
	.size	_ZN9rocsparseL18bsrxmvn_4x4_kernelILj128ELj8E21rocsparse_complex_numIdEllS1_IfES2_S2_EEvT3_20rocsparse_direction_NS_24const_host_device_scalarIT1_EES4_PKS4_PKT2_SD_SA_PKT4_PKT5_S8_PT6_21rocsparse_index_base_b, .Lfunc_end176-_ZN9rocsparseL18bsrxmvn_4x4_kernelILj128ELj8E21rocsparse_complex_numIdEllS1_IfES2_S2_EEvT3_20rocsparse_direction_NS_24const_host_device_scalarIT1_EES4_PKS4_PKT2_SD_SA_PKT4_PKT5_S8_PT6_21rocsparse_index_base_b
                                        ; -- End function
	.set _ZN9rocsparseL18bsrxmvn_4x4_kernelILj128ELj8E21rocsparse_complex_numIdEllS1_IfES2_S2_EEvT3_20rocsparse_direction_NS_24const_host_device_scalarIT1_EES4_PKS4_PKT2_SD_SA_PKT4_PKT5_S8_PT6_21rocsparse_index_base_b.num_vgpr, 128
	.set _ZN9rocsparseL18bsrxmvn_4x4_kernelILj128ELj8E21rocsparse_complex_numIdEllS1_IfES2_S2_EEvT3_20rocsparse_direction_NS_24const_host_device_scalarIT1_EES4_PKS4_PKT2_SD_SA_PKT4_PKT5_S8_PT6_21rocsparse_index_base_b.num_agpr, 0
	.set _ZN9rocsparseL18bsrxmvn_4x4_kernelILj128ELj8E21rocsparse_complex_numIdEllS1_IfES2_S2_EEvT3_20rocsparse_direction_NS_24const_host_device_scalarIT1_EES4_PKS4_PKT2_SD_SA_PKT4_PKT5_S8_PT6_21rocsparse_index_base_b.numbered_sgpr, 18
	.set _ZN9rocsparseL18bsrxmvn_4x4_kernelILj128ELj8E21rocsparse_complex_numIdEllS1_IfES2_S2_EEvT3_20rocsparse_direction_NS_24const_host_device_scalarIT1_EES4_PKS4_PKT2_SD_SA_PKT4_PKT5_S8_PT6_21rocsparse_index_base_b.num_named_barrier, 0
	.set _ZN9rocsparseL18bsrxmvn_4x4_kernelILj128ELj8E21rocsparse_complex_numIdEllS1_IfES2_S2_EEvT3_20rocsparse_direction_NS_24const_host_device_scalarIT1_EES4_PKS4_PKT2_SD_SA_PKT4_PKT5_S8_PT6_21rocsparse_index_base_b.private_seg_size, 0
	.set _ZN9rocsparseL18bsrxmvn_4x4_kernelILj128ELj8E21rocsparse_complex_numIdEllS1_IfES2_S2_EEvT3_20rocsparse_direction_NS_24const_host_device_scalarIT1_EES4_PKS4_PKT2_SD_SA_PKT4_PKT5_S8_PT6_21rocsparse_index_base_b.uses_vcc, 1
	.set _ZN9rocsparseL18bsrxmvn_4x4_kernelILj128ELj8E21rocsparse_complex_numIdEllS1_IfES2_S2_EEvT3_20rocsparse_direction_NS_24const_host_device_scalarIT1_EES4_PKS4_PKT2_SD_SA_PKT4_PKT5_S8_PT6_21rocsparse_index_base_b.uses_flat_scratch, 0
	.set _ZN9rocsparseL18bsrxmvn_4x4_kernelILj128ELj8E21rocsparse_complex_numIdEllS1_IfES2_S2_EEvT3_20rocsparse_direction_NS_24const_host_device_scalarIT1_EES4_PKS4_PKT2_SD_SA_PKT4_PKT5_S8_PT6_21rocsparse_index_base_b.has_dyn_sized_stack, 0
	.set _ZN9rocsparseL18bsrxmvn_4x4_kernelILj128ELj8E21rocsparse_complex_numIdEllS1_IfES2_S2_EEvT3_20rocsparse_direction_NS_24const_host_device_scalarIT1_EES4_PKS4_PKT2_SD_SA_PKT4_PKT5_S8_PT6_21rocsparse_index_base_b.has_recursion, 0
	.set _ZN9rocsparseL18bsrxmvn_4x4_kernelILj128ELj8E21rocsparse_complex_numIdEllS1_IfES2_S2_EEvT3_20rocsparse_direction_NS_24const_host_device_scalarIT1_EES4_PKS4_PKT2_SD_SA_PKT4_PKT5_S8_PT6_21rocsparse_index_base_b.has_indirect_call, 0
	.section	.AMDGPU.csdata,"",@progbits
; Kernel info:
; codeLenInByte = 8332
; TotalNumSgprs: 24
; NumVgprs: 128
; NumAgprs: 0
; TotalNumVgprs: 128
; ScratchSize: 0
; MemoryBound: 0
; FloatMode: 240
; IeeeMode: 1
; LDSByteSize: 0 bytes/workgroup (compile time only)
; SGPRBlocks: 2
; VGPRBlocks: 15
; NumSGPRsForWavesPerEU: 24
; NumVGPRsForWavesPerEU: 128
; AccumOffset: 128
; Occupancy: 4
; WaveLimiterHint : 1
; COMPUTE_PGM_RSRC2:SCRATCH_EN: 0
; COMPUTE_PGM_RSRC2:USER_SGPR: 2
; COMPUTE_PGM_RSRC2:TRAP_HANDLER: 0
; COMPUTE_PGM_RSRC2:TGID_X_EN: 1
; COMPUTE_PGM_RSRC2:TGID_Y_EN: 0
; COMPUTE_PGM_RSRC2:TGID_Z_EN: 0
; COMPUTE_PGM_RSRC2:TIDIG_COMP_CNT: 0
; COMPUTE_PGM_RSRC3_GFX90A:ACCUM_OFFSET: 31
; COMPUTE_PGM_RSRC3_GFX90A:TG_SPLIT: 0
	.section	.text._ZN9rocsparseL18bsrxmvn_4x4_kernelILj128ELj16E21rocsparse_complex_numIdEllS1_IfES2_S2_EEvT3_20rocsparse_direction_NS_24const_host_device_scalarIT1_EES4_PKS4_PKT2_SD_SA_PKT4_PKT5_S8_PT6_21rocsparse_index_base_b,"axG",@progbits,_ZN9rocsparseL18bsrxmvn_4x4_kernelILj128ELj16E21rocsparse_complex_numIdEllS1_IfES2_S2_EEvT3_20rocsparse_direction_NS_24const_host_device_scalarIT1_EES4_PKS4_PKT2_SD_SA_PKT4_PKT5_S8_PT6_21rocsparse_index_base_b,comdat
	.globl	_ZN9rocsparseL18bsrxmvn_4x4_kernelILj128ELj16E21rocsparse_complex_numIdEllS1_IfES2_S2_EEvT3_20rocsparse_direction_NS_24const_host_device_scalarIT1_EES4_PKS4_PKT2_SD_SA_PKT4_PKT5_S8_PT6_21rocsparse_index_base_b ; -- Begin function _ZN9rocsparseL18bsrxmvn_4x4_kernelILj128ELj16E21rocsparse_complex_numIdEllS1_IfES2_S2_EEvT3_20rocsparse_direction_NS_24const_host_device_scalarIT1_EES4_PKS4_PKT2_SD_SA_PKT4_PKT5_S8_PT6_21rocsparse_index_base_b
	.p2align	8
	.type	_ZN9rocsparseL18bsrxmvn_4x4_kernelILj128ELj16E21rocsparse_complex_numIdEllS1_IfES2_S2_EEvT3_20rocsparse_direction_NS_24const_host_device_scalarIT1_EES4_PKS4_PKT2_SD_SA_PKT4_PKT5_S8_PT6_21rocsparse_index_base_b,@function
_ZN9rocsparseL18bsrxmvn_4x4_kernelILj128ELj16E21rocsparse_complex_numIdEllS1_IfES2_S2_EEvT3_20rocsparse_direction_NS_24const_host_device_scalarIT1_EES4_PKS4_PKT2_SD_SA_PKT4_PKT5_S8_PT6_21rocsparse_index_base_b: ; @_ZN9rocsparseL18bsrxmvn_4x4_kernelILj128ELj16E21rocsparse_complex_numIdEllS1_IfES2_S2_EEvT3_20rocsparse_direction_NS_24const_host_device_scalarIT1_EES4_PKS4_PKT2_SD_SA_PKT4_PKT5_S8_PT6_21rocsparse_index_base_b
; %bb.0:
	s_load_dwordx2 s[4:5], s[0:1], 0x10
	s_load_dwordx2 s[6:7], s[0:1], 0x70
	s_add_u32 s3, s0, 16
	s_addc_u32 s10, s1, 0
	s_add_u32 s11, s0, 0x58
	s_load_dwordx2 s[8:9], s[0:1], 0x58
	s_addc_u32 s12, s1, 0
	s_waitcnt lgkmcnt(0)
	s_bitcmp1_b32 s7, 0
	s_cselect_b32 s5, s10, s5
	s_cselect_b32 s3, s3, s4
	v_mov_b32_e32 v2, s3
	v_mov_b32_e32 v3, s5
	flat_load_dwordx4 v[6:9], v[2:3]
	s_cselect_b32 s3, s12, s9
	s_cselect_b32 s4, s11, s8
	v_mov_b32_e32 v2, s4
	v_mov_b32_e32 v3, s3
	flat_load_dwordx4 v[2:5], v[2:3]
	s_waitcnt vmcnt(0) lgkmcnt(0)
	v_cmp_eq_f64_e32 vcc, 0, v[6:7]
	v_cmp_eq_f64_e64 s[4:5], 0, v[8:9]
	s_and_b64 s[10:11], vcc, s[4:5]
	s_mov_b64 s[4:5], -1
	s_and_saveexec_b64 s[8:9], s[10:11]
; %bb.1:
	v_cmp_neq_f64_e32 vcc, 1.0, v[2:3]
	v_cmp_neq_f64_e64 s[4:5], 0, v[4:5]
	s_or_b64 s[4:5], vcc, s[4:5]
	s_orn2_b64 s[4:5], s[4:5], exec
; %bb.2:
	s_or_b64 exec, exec, s[8:9]
	s_and_saveexec_b64 s[8:9], s[4:5]
	s_cbranch_execz .LBB177_8
; %bb.3:
	s_load_dwordx2 s[4:5], s[0:1], 0x28
	v_lshrrev_b32_e32 v1, 4, v0
	v_lshl_or_b32 v10, s2, 3, v1
	v_mov_b32_e32 v11, 0
	s_mov_b64 s[2:3], 0
	s_waitcnt lgkmcnt(0)
	s_cmp_lg_u64 s[4:5], 0
	s_cbranch_scc0 .LBB177_9
; %bb.4:
	s_load_dwordx2 s[8:9], s[0:1], 0x20
                                        ; implicit-def: $vgpr38_vgpr39
                                        ; implicit-def: $vgpr40_vgpr41
	s_waitcnt lgkmcnt(0)
	v_cmp_gt_i64_e32 vcc, s[8:9], v[10:11]
	s_and_saveexec_b64 s[8:9], vcc
	s_xor_b64 s[8:9], exec, s[8:9]
	s_cbranch_execz .LBB177_6
; %bb.5:
	v_lshl_add_u64 v[12:13], v[10:11], 3, s[4:5]
	global_load_dwordx2 v[12:13], v[12:13], off
	s_mov_b32 s7, 0
	s_mov_b64 s[2:3], exec
	v_mov_b64_e32 v[40:41], s[6:7]
	s_waitcnt vmcnt(0)
	v_subrev_co_u32_e32 v38, vcc, s6, v12
	s_nop 1
	v_subbrev_co_u32_e32 v39, vcc, 0, v13, vcc
.LBB177_6:
	s_or_b64 exec, exec, s[8:9]
.LBB177_7:
	s_and_b64 exec, exec, s[2:3]
	s_cbranch_execnz .LBB177_13
.LBB177_8:
	s_endpgm
.LBB177_9:
                                        ; implicit-def: $vgpr38_vgpr39
                                        ; implicit-def: $vgpr40_vgpr41
	s_cbranch_execz .LBB177_7
; %bb.10:
	s_load_dwordx2 s[4:5], s[0:1], 0x0
	s_waitcnt lgkmcnt(0)
	v_cmp_gt_i64_e32 vcc, s[4:5], v[10:11]
	s_and_saveexec_b64 s[4:5], vcc
; %bb.11:
	s_mov_b32 s7, 0
	s_or_b64 s[2:3], s[2:3], exec
; %bb.12:
	s_or_b64 exec, exec, s[4:5]
	v_mov_b64_e32 v[40:41], s[6:7]
	v_mov_b64_e32 v[38:39], v[10:11]
	s_and_b64 exec, exec, s[2:3]
	s_cbranch_execz .LBB177_8
.LBB177_13:
	s_load_dwordx8 s[4:11], s[0:1], 0x30
	v_lshlrev_b64 v[10:11], 3, v[38:39]
	v_and_b32_e32 v0, 15, v0
	v_mov_b32_e32 v1, 0
	s_waitcnt lgkmcnt(0)
	v_lshl_add_u64 v[12:13], s[4:5], 0, v[10:11]
	s_cmp_eq_u64 s[6:7], 0
	v_lshl_add_u64 v[10:11], s[6:7], 0, v[10:11]
	global_load_dwordx2 v[56:57], v[12:13], off
	v_lshl_add_u64 v[12:13], v[12:13], 0, 8
	s_cselect_b64 vcc, -1, 0
	v_cndmask_b32_e32 v11, v11, v13, vcc
	v_cndmask_b32_e32 v10, v10, v12, vcc
	global_load_dwordx2 v[10:11], v[10:11], off
	s_load_dword s2, s[0:1], 0x8
	s_load_dwordx2 s[4:5], s[0:1], 0x50
	s_waitcnt lgkmcnt(0)
	s_cmp_eq_u32 s2, 1
	s_waitcnt vmcnt(1)
	v_sub_co_u32_e32 v12, vcc, v56, v40
	s_nop 1
	v_subb_co_u32_e32 v13, vcc, v57, v41, vcc
	v_lshl_add_u64 v[44:45], v[12:13], 0, v[0:1]
	s_waitcnt vmcnt(0)
	v_sub_co_u32_e32 v48, vcc, v10, v40
	s_nop 1
	v_subb_co_u32_e32 v49, vcc, v11, v41, vcc
	v_lshlrev_b64 v[10:11], 7, v[44:45]
	v_lshl_add_u64 v[50:51], s[10:11], 0, v[10:11]
	v_cmp_lt_i64_e64 s[2:3], v[44:45], v[48:49]
	s_cbranch_scc1 .LBB177_25
; %bb.14:
	v_mov_b64_e32 v[54:55], 0
	v_mov_b64_e32 v[66:67], 0
	;; [unrolled: 1-line block ×8, first 2 shown]
	s_and_saveexec_b64 s[6:7], s[2:3]
	s_cbranch_execz .LBB177_24
; %bb.15:
	v_or_b32_e32 v1, 16, v0
	v_sub_co_u32_e32 v10, vcc, v1, v40
	v_not_b32_e32 v13, v57
	s_nop 0
	v_subb_co_u32_e32 v11, vcc, 0, v41, vcc
	v_lshl_add_u64 v[10:11], v[10:11], 0, v[56:57]
	v_cmp_gt_i64_e32 vcc, v[10:11], v[48:49]
	v_not_b32_e32 v12, v56
	v_mov_b64_e32 v[18:19], 0
	v_cndmask_b32_e32 v11, v49, v11, vcc
	v_cndmask_b32_e32 v10, v48, v10, vcc
	v_sub_co_u32_e32 v14, vcc, v40, v0
	v_mov_b64_e32 v[42:43], 0
	s_nop 0
	v_subbrev_co_u32_e32 v15, vcc, 0, v41, vcc
	v_lshl_add_u64 v[12:13], v[14:15], 0, v[12:13]
	v_lshl_add_u64 v[14:15], v[12:13], 0, v[10:11]
	v_and_b32_e32 v10, 48, v14
	v_mov_b32_e32 v11, 0
	v_cmp_ne_u64_e32 vcc, 48, v[10:11]
	v_mov_b64_e32 v[34:35], 0
	v_mov_b64_e32 v[46:47], 0
	;; [unrolled: 1-line block ×8, first 2 shown]
	s_and_saveexec_b64 s[10:11], vcc
	s_cbranch_execz .LBB177_19
; %bb.16:
	v_lshrrev_b32_e32 v1, 4, v14
	v_add_u32_e32 v1, 1, v1
	v_and_b32_e32 v1, 3, v1
	v_sub_co_u32_e32 v20, vcc, 0, v1
	v_lshl_add_u64 v[16:17], v[44:45], 3, s[8:9]
	s_nop 0
	v_subb_co_u32_e64 v21, s[14:15], 0, 0, vcc
	s_mov_b64 s[12:13], 0
	v_mov_b64_e32 v[54:55], 0
	s_mov_b64 s[14:15], 0x800
	s_mov_b64 s[16:17], 0x80
	v_mov_b64_e32 v[60:61], v[44:45]
	v_mov_b64_e32 v[58:59], v[50:51]
	;; [unrolled: 1-line block ×9, first 2 shown]
.LBB177_17:                             ; =>This Inner Loop Header: Depth=1
	global_load_dwordx2 v[36:37], v[16:17], off
	global_load_dwordx4 v[22:25], v[58:59], off
	global_load_dwordx4 v[10:13], v[58:59], off offset:32
	global_load_dwordx4 v[26:29], v[58:59], off offset:64
	;; [unrolled: 1-line block ×7, first 2 shown]
	v_lshl_add_u64 v[20:21], v[20:21], 0, 1
	v_cmp_eq_u64_e32 vcc, 0, v[20:21]
	s_or_b64 s[12:13], vcc, s[12:13]
	v_lshl_add_u64 v[58:59], v[58:59], 0, s[14:15]
	v_lshl_add_u64 v[60:61], v[60:61], 0, 16
	v_lshl_add_u64 v[16:17], v[16:17], 0, s[16:17]
	s_waitcnt vmcnt(8)
	v_sub_co_u32_e32 v36, vcc, v36, v40
	s_nop 1
	v_subb_co_u32_e32 v37, vcc, v37, v41, vcc
	s_waitcnt vmcnt(7)
	v_cvt_f64_f32_e32 v[62:63], v22
	v_cvt_f64_f32_e32 v[92:93], v23
	v_lshlrev_b64 v[22:23], 6, v[36:37]
	v_lshl_add_u64 v[36:37], s[4:5], 0, v[22:23]
	v_cvt_f64_f32_e32 v[94:95], v24
	v_cvt_f64_f32_e32 v[96:97], v25
	s_waitcnt vmcnt(3)
	v_cvt_f64_f32_e32 v[104:105], v68
	v_cvt_f64_f32_e32 v[106:107], v69
	;; [unrolled: 1-line block ×4, first 2 shown]
	global_load_dwordx4 v[22:25], v[36:37], off
	global_load_dwordx4 v[68:71], v[36:37], off offset:16
	global_load_dwordx4 v[84:87], v[36:37], off offset:32
	;; [unrolled: 1-line block ×3, first 2 shown]
	v_cvt_f64_f32_e32 v[98:99], v10
	v_cvt_f64_f32_e32 v[10:11], v11
	;; [unrolled: 1-line block ×12, first 2 shown]
	s_waitcnt vmcnt(6)
	v_cvt_f64_f32_e32 v[36:37], v72
	v_cvt_f64_f32_e32 v[72:73], v73
	s_waitcnt vmcnt(5)
	v_cvt_f64_f32_e32 v[120:121], v76
	v_cvt_f64_f32_e32 v[76:77], v77
	;; [unrolled: 3-line block ×3, first 2 shown]
	v_cvt_f64_f32_e32 v[114:115], v74
	v_cvt_f64_f32_e32 v[74:75], v75
	;; [unrolled: 1-line block ×6, first 2 shown]
	s_waitcnt vmcnt(3)
	v_fmac_f64_e32 v[66:67], v[62:63], v[22:23]
	v_fmac_f64_e32 v[54:55], v[92:93], v[22:23]
	v_fmac_f64_e32 v[64:65], v[98:99], v[22:23]
	v_fmac_f64_e32 v[52:53], v[10:11], v[22:23]
	v_fmac_f64_e32 v[34:35], v[100:101], v[22:23]
	v_fmac_f64_e32 v[46:47], v[26:27], v[22:23]
	v_fmac_f64_e32 v[18:19], v[102:103], v[22:23]
	v_fmac_f64_e32 v[42:43], v[30:31], v[22:23]
	v_fma_f64 v[22:23], -v[92:93], v[24:25], v[66:67]
	v_fmac_f64_e32 v[54:55], v[62:63], v[24:25]
	v_fma_f64 v[10:11], -v[10:11], v[24:25], v[64:65]
	v_fmac_f64_e32 v[52:53], v[98:99], v[24:25]
	v_fma_f64 v[26:27], -v[26:27], v[24:25], v[34:35]
	v_fmac_f64_e32 v[46:47], v[100:101], v[24:25]
	v_fma_f64 v[18:19], -v[30:31], v[24:25], v[18:19]
	v_fmac_f64_e32 v[42:43], v[102:103], v[24:25]
	s_waitcnt vmcnt(2)
	v_fmac_f64_e32 v[22:23], v[94:95], v[68:69]
	v_fmac_f64_e32 v[54:55], v[96:97], v[68:69]
	v_fmac_f64_e32 v[10:11], v[112:113], v[68:69]
	v_fmac_f64_e32 v[52:53], v[12:13], v[68:69]
	v_fmac_f64_e32 v[26:27], v[116:117], v[68:69]
	v_fmac_f64_e32 v[46:47], v[28:29], v[68:69]
	v_fmac_f64_e32 v[18:19], v[118:119], v[68:69]
	v_fmac_f64_e32 v[42:43], v[32:33], v[68:69]
	v_fma_f64 v[22:23], -v[96:97], v[70:71], v[22:23]
	v_fmac_f64_e32 v[54:55], v[94:95], v[70:71]
	v_fma_f64 v[10:11], -v[12:13], v[70:71], v[10:11]
	v_fmac_f64_e32 v[52:53], v[112:113], v[70:71]
	v_fma_f64 v[12:13], -v[28:29], v[70:71], v[26:27]
	v_fmac_f64_e32 v[46:47], v[116:117], v[70:71]
	v_fma_f64 v[18:19], -v[32:33], v[70:71], v[18:19]
	v_fmac_f64_e32 v[42:43], v[118:119], v[70:71]
	;; [unrolled: 17-line block ×4, first 2 shown]
	s_andn2_b64 exec, exec, s[12:13]
	s_cbranch_execnz .LBB177_17
; %bb.18:
	s_or_b64 exec, exec, s[12:13]
.LBB177_19:
	s_or_b64 exec, exec, s[10:11]
	v_cmp_lt_u64_e32 vcc, 47, v[14:15]
	s_and_saveexec_b64 s[10:11], vcc
	s_cbranch_execz .LBB177_23
; %bb.20:
	v_lshl_add_u64 v[10:11], v[60:61], 3, s[8:9]
	s_mov_b64 s[12:13], 0x100
	v_lshl_add_u64 v[62:63], v[10:11], 0, s[12:13]
	s_mov_b64 s[12:13], 0
	s_mov_b64 s[14:15], 0x1000
	s_movk_i32 s20, 0x1000
	s_mov_b64 s[16:17], 0x200
	s_mov_b64 s[18:19], 0x2000
.LBB177_21:                             ; =>This Inner Loop Header: Depth=1
	global_load_dwordx2 v[10:11], v[62:63], off offset:-256
	global_load_dwordx4 v[22:25], v[58:59], off offset:48
	global_load_dwordx4 v[26:29], v[58:59], off offset:32
	;; [unrolled: 1-line block ×3, first 2 shown]
	global_load_dwordx4 v[68:71], v[58:59], off
	v_lshl_add_u64 v[60:61], v[60:61], 0, 64
	s_waitcnt vmcnt(4)
	v_sub_co_u32_e32 v10, vcc, v10, v40
	s_nop 1
	v_subb_co_u32_e32 v11, vcc, v11, v41, vcc
	v_lshlrev_b64 v[10:11], 6, v[10:11]
	s_waitcnt vmcnt(0)
	v_cvt_f64_f32_e32 v[20:21], v68
	v_cvt_f64_f32_e32 v[36:37], v69
	v_lshl_add_u64 v[68:69], s[4:5], 0, v[10:11]
	global_load_dwordx4 v[10:13], v[68:69], off offset:48
	global_load_dwordx4 v[14:17], v[68:69], off offset:32
	global_load_dwordx4 v[72:75], v[68:69], off offset:16
	global_load_dwordx4 v[76:79], v[68:69], off
	s_waitcnt vmcnt(0)
	v_fmac_f64_e32 v[66:67], v[20:21], v[76:77]
	v_fmac_f64_e32 v[54:55], v[36:37], v[76:77]
	v_fma_f64 v[66:67], -v[36:37], v[78:79], v[66:67]
	v_fmac_f64_e32 v[54:55], v[20:21], v[78:79]
	v_cvt_f64_f32_e32 v[20:21], v70
	v_cvt_f64_f32_e32 v[36:37], v71
	v_fmac_f64_e32 v[66:67], v[20:21], v[72:73]
	v_fmac_f64_e32 v[54:55], v[36:37], v[72:73]
	v_fma_f64 v[66:67], -v[36:37], v[74:75], v[66:67]
	v_fmac_f64_e32 v[54:55], v[20:21], v[74:75]
	v_cvt_f64_f32_e32 v[20:21], v30
	v_cvt_f64_f32_e32 v[30:31], v31
	;; [unrolled: 6-line block ×3, first 2 shown]
	v_fmac_f64_e32 v[54:55], v[32:33], v[10:11]
	v_fmac_f64_e32 v[36:37], v[30:31], v[10:11]
	;; [unrolled: 1-line block ×3, first 2 shown]
	v_cvt_f64_f32_e32 v[30:31], v26
	v_cvt_f64_f32_e32 v[26:27], v27
	v_fmac_f64_e32 v[64:65], v[30:31], v[76:77]
	v_fmac_f64_e32 v[52:53], v[26:27], v[76:77]
	v_fma_f64 v[20:21], -v[32:33], v[12:13], v[36:37]
	v_fma_f64 v[32:33], -v[26:27], v[78:79], v[64:65]
	v_fmac_f64_e32 v[52:53], v[30:31], v[78:79]
	v_cvt_f64_f32_e32 v[26:27], v28
	v_cvt_f64_f32_e32 v[28:29], v29
	v_fmac_f64_e32 v[32:33], v[26:27], v[72:73]
	v_fmac_f64_e32 v[52:53], v[28:29], v[72:73]
	v_fma_f64 v[30:31], -v[28:29], v[74:75], v[32:33]
	v_fmac_f64_e32 v[52:53], v[26:27], v[74:75]
	v_cvt_f64_f32_e32 v[26:27], v22
	v_cvt_f64_f32_e32 v[22:23], v23
	v_fmac_f64_e32 v[30:31], v[26:27], v[14:15]
	v_fmac_f64_e32 v[52:53], v[22:23], v[14:15]
	;; [unrolled: 6-line block ×3, first 2 shown]
	v_fma_f64 v[22:23], -v[24:25], v[12:13], v[28:29]
	v_fmac_f64_e32 v[52:53], v[26:27], v[12:13]
	global_load_dwordx4 v[24:27], v[58:59], off offset:112
	global_load_dwordx4 v[28:31], v[58:59], off offset:96
	;; [unrolled: 1-line block ×4, first 2 shown]
	s_waitcnt vmcnt(0)
	v_cvt_f64_f32_e32 v[32:33], v68
	v_cvt_f64_f32_e32 v[36:37], v69
	v_fmac_f64_e32 v[34:35], v[32:33], v[76:77]
	v_fmac_f64_e32 v[46:47], v[36:37], v[76:77]
	v_fma_f64 v[34:35], -v[36:37], v[78:79], v[34:35]
	v_fmac_f64_e32 v[46:47], v[32:33], v[78:79]
	v_cvt_f64_f32_e32 v[32:33], v70
	v_cvt_f64_f32_e32 v[36:37], v71
	v_fmac_f64_e32 v[34:35], v[32:33], v[72:73]
	v_fmac_f64_e32 v[46:47], v[36:37], v[72:73]
	v_fma_f64 v[34:35], -v[36:37], v[74:75], v[34:35]
	v_fmac_f64_e32 v[46:47], v[32:33], v[74:75]
	;; [unrolled: 6-line block ×3, first 2 shown]
	v_cvt_f64_f32_e32 v[36:37], v67
	v_cvt_f64_f32_e32 v[32:33], v66
	v_fmac_f64_e32 v[46:47], v[36:37], v[10:11]
	v_fmac_f64_e32 v[34:35], v[32:33], v[10:11]
	;; [unrolled: 1-line block ×3, first 2 shown]
	v_cvt_f64_f32_e32 v[32:33], v28
	v_cvt_f64_f32_e32 v[28:29], v29
	v_fmac_f64_e32 v[18:19], v[32:33], v[76:77]
	v_fmac_f64_e32 v[42:43], v[28:29], v[76:77]
	v_fma_f64 v[18:19], -v[28:29], v[78:79], v[18:19]
	v_fmac_f64_e32 v[42:43], v[32:33], v[78:79]
	v_cvt_f64_f32_e32 v[28:29], v30
	v_cvt_f64_f32_e32 v[30:31], v31
	v_fmac_f64_e32 v[18:19], v[28:29], v[72:73]
	v_fmac_f64_e32 v[42:43], v[30:31], v[72:73]
	v_fma_f64 v[18:19], -v[30:31], v[74:75], v[18:19]
	v_fmac_f64_e32 v[42:43], v[28:29], v[74:75]
	;; [unrolled: 6-line block ×3, first 2 shown]
	v_cvt_f64_f32_e32 v[14:15], v26
	v_cvt_f64_f32_e32 v[16:17], v27
	v_fmac_f64_e32 v[18:19], v[14:15], v[10:11]
	v_fmac_f64_e32 v[42:43], v[16:17], v[10:11]
	global_load_dwordx2 v[10:11], v[62:63], off offset:-128
	v_fma_f64 v[80:81], -v[36:37], v[12:13], v[34:35]
	v_fma_f64 v[36:37], -v[16:17], v[12:13], v[18:19]
	v_fmac_f64_e32 v[42:43], v[14:15], v[12:13]
	global_load_dwordx4 v[12:15], v[58:59], off offset:2096
	global_load_dwordx4 v[16:19], v[58:59], off offset:2080
	;; [unrolled: 1-line block ×4, first 2 shown]
	s_waitcnt vmcnt(4)
	v_sub_co_u32_e32 v10, vcc, v10, v40
	s_nop 1
	v_subb_co_u32_e32 v11, vcc, v11, v41, vcc
	v_lshlrev_b64 v[10:11], 6, v[10:11]
	v_lshl_add_u64 v[10:11], s[4:5], 0, v[10:11]
	global_load_dwordx4 v[32:35], v[10:11], off offset:48
	global_load_dwordx4 v[64:67], v[10:11], off offset:32
	;; [unrolled: 1-line block ×3, first 2 shown]
	global_load_dwordx4 v[72:75], v[10:11], off
	s_waitcnt vmcnt(4)
	v_cvt_f64_f32_e32 v[76:77], v28
	v_cvt_f64_f32_e32 v[28:29], v29
	s_waitcnt vmcnt(0)
	v_fmac_f64_e32 v[20:21], v[76:77], v[72:73]
	v_fmac_f64_e32 v[54:55], v[28:29], v[72:73]
	v_fma_f64 v[10:11], -v[28:29], v[74:75], v[20:21]
	v_fmac_f64_e32 v[54:55], v[76:77], v[74:75]
	v_cvt_f64_f32_e32 v[20:21], v30
	v_cvt_f64_f32_e32 v[28:29], v31
	v_fmac_f64_e32 v[10:11], v[20:21], v[68:69]
	v_fmac_f64_e32 v[54:55], v[28:29], v[68:69]
	v_fma_f64 v[10:11], -v[28:29], v[70:71], v[10:11]
	v_fmac_f64_e32 v[54:55], v[20:21], v[70:71]
	v_cvt_f64_f32_e32 v[20:21], v24
	v_cvt_f64_f32_e32 v[24:25], v25
	;; [unrolled: 6-line block ×3, first 2 shown]
	v_fmac_f64_e32 v[54:55], v[24:25], v[32:33]
	v_fmac_f64_e32 v[10:11], v[20:21], v[32:33]
	;; [unrolled: 1-line block ×3, first 2 shown]
	v_cvt_f64_f32_e32 v[20:21], v16
	v_cvt_f64_f32_e32 v[16:17], v17
	v_fmac_f64_e32 v[22:23], v[20:21], v[72:73]
	v_fmac_f64_e32 v[52:53], v[16:17], v[72:73]
	v_fma_f64 v[22:23], -v[16:17], v[74:75], v[22:23]
	v_fmac_f64_e32 v[52:53], v[20:21], v[74:75]
	v_cvt_f64_f32_e32 v[16:17], v18
	v_cvt_f64_f32_e32 v[18:19], v19
	v_fmac_f64_e32 v[22:23], v[16:17], v[68:69]
	v_fmac_f64_e32 v[52:53], v[18:19], v[68:69]
	v_fma_f64 v[20:21], -v[18:19], v[70:71], v[22:23]
	v_fmac_f64_e32 v[52:53], v[16:17], v[70:71]
	;; [unrolled: 6-line block ×3, first 2 shown]
	v_cvt_f64_f32_e32 v[16:17], v14
	v_cvt_f64_f32_e32 v[14:15], v15
	v_fmac_f64_e32 v[18:19], v[16:17], v[32:33]
	v_fmac_f64_e32 v[52:53], v[14:15], v[32:33]
	v_fma_f64 v[10:11], -v[24:25], v[34:35], v[10:11]
	v_fma_f64 v[12:13], -v[14:15], v[34:35], v[18:19]
	v_fmac_f64_e32 v[52:53], v[16:17], v[34:35]
	global_load_dwordx4 v[16:19], v[58:59], off offset:2160
	global_load_dwordx4 v[20:23], v[58:59], off offset:2144
	;; [unrolled: 1-line block ×4, first 2 shown]
	s_waitcnt vmcnt(0)
	v_cvt_f64_f32_e32 v[14:15], v28
	v_cvt_f64_f32_e32 v[28:29], v29
	v_fmac_f64_e32 v[80:81], v[14:15], v[72:73]
	v_fmac_f64_e32 v[46:47], v[28:29], v[72:73]
	v_fma_f64 v[76:77], -v[28:29], v[74:75], v[80:81]
	v_fmac_f64_e32 v[46:47], v[14:15], v[74:75]
	v_cvt_f64_f32_e32 v[14:15], v30
	v_cvt_f64_f32_e32 v[28:29], v31
	v_fmac_f64_e32 v[76:77], v[14:15], v[68:69]
	v_fmac_f64_e32 v[46:47], v[28:29], v[68:69]
	v_fma_f64 v[30:31], -v[28:29], v[70:71], v[76:77]
	v_fmac_f64_e32 v[46:47], v[14:15], v[70:71]
	;; [unrolled: 6-line block ×3, first 2 shown]
	v_cvt_f64_f32_e32 v[24:25], v26
	v_cvt_f64_f32_e32 v[26:27], v27
	v_fmac_f64_e32 v[46:47], v[26:27], v[32:33]
	v_fmac_f64_e32 v[28:29], v[24:25], v[32:33]
	;; [unrolled: 1-line block ×3, first 2 shown]
	v_cvt_f64_f32_e32 v[24:25], v20
	v_cvt_f64_f32_e32 v[20:21], v21
	v_fmac_f64_e32 v[36:37], v[24:25], v[72:73]
	v_fmac_f64_e32 v[42:43], v[20:21], v[72:73]
	v_fma_f64 v[14:15], -v[26:27], v[34:35], v[28:29]
	v_fma_f64 v[26:27], -v[20:21], v[74:75], v[36:37]
	v_fmac_f64_e32 v[42:43], v[24:25], v[74:75]
	v_cvt_f64_f32_e32 v[20:21], v22
	v_cvt_f64_f32_e32 v[22:23], v23
	v_fmac_f64_e32 v[26:27], v[20:21], v[68:69]
	v_fmac_f64_e32 v[42:43], v[22:23], v[68:69]
	v_fma_f64 v[24:25], -v[22:23], v[70:71], v[26:27]
	v_fmac_f64_e32 v[42:43], v[20:21], v[70:71]
	v_cvt_f64_f32_e32 v[20:21], v16
	v_cvt_f64_f32_e32 v[16:17], v17
	v_fmac_f64_e32 v[24:25], v[20:21], v[64:65]
	v_fmac_f64_e32 v[42:43], v[16:17], v[64:65]
	v_fma_f64 v[22:23], -v[16:17], v[66:67], v[24:25]
	v_fmac_f64_e32 v[42:43], v[20:21], v[66:67]
	v_cvt_f64_f32_e32 v[20:21], v18
	v_cvt_f64_f32_e32 v[18:19], v19
	v_fmac_f64_e32 v[22:23], v[20:21], v[32:33]
	v_fma_f64 v[16:17], -v[18:19], v[34:35], v[22:23]
	v_fmac_f64_e32 v[42:43], v[18:19], v[32:33]
	global_load_dwordx2 v[18:19], v[62:63], off
	v_fmac_f64_e32 v[42:43], v[20:21], v[34:35]
	v_lshl_add_u64 v[68:69], v[58:59], 0, s[14:15]
	s_waitcnt vmcnt(0)
	v_sub_co_u32_e32 v26, vcc, v18, v40
	s_nop 1
	v_subb_co_u32_e32 v27, vcc, v19, v41, vcc
	v_add_co_u32_e32 v36, vcc, s20, v58
	v_lshlrev_b64 v[26:27], 6, v[26:27]
	s_nop 0
	v_addc_co_u32_e32 v37, vcc, 0, v59, vcc
	v_lshl_add_u64 v[26:27], s[4:5], 0, v[26:27]
	global_load_dwordx4 v[18:21], v[36:37], off
	global_load_dwordx4 v[22:25], v[68:69], off offset:48
	global_load_dwordx4 v[28:31], v[68:69], off offset:32
	;; [unrolled: 1-line block ×6, first 2 shown]
	global_load_dwordx4 v[82:85], v[26:27], off
	v_lshl_add_u64 v[58:59], v[58:59], 0, s[18:19]
	s_waitcnt vmcnt(7)
	v_cvt_f64_f32_e32 v[36:37], v18
	v_cvt_f64_f32_e32 v[18:19], v19
	s_waitcnt vmcnt(0)
	v_fmac_f64_e32 v[10:11], v[36:37], v[82:83]
	v_fmac_f64_e32 v[54:55], v[18:19], v[82:83]
	v_fma_f64 v[10:11], -v[18:19], v[84:85], v[10:11]
	v_fmac_f64_e32 v[54:55], v[36:37], v[84:85]
	v_cvt_f64_f32_e32 v[18:19], v20
	v_cvt_f64_f32_e32 v[20:21], v21
	v_fmac_f64_e32 v[10:11], v[18:19], v[78:79]
	v_fmac_f64_e32 v[54:55], v[20:21], v[78:79]
	v_fma_f64 v[10:11], -v[20:21], v[80:81], v[10:11]
	v_fmac_f64_e32 v[54:55], v[18:19], v[80:81]
	v_cvt_f64_f32_e32 v[18:19], v32
	v_cvt_f64_f32_e32 v[20:21], v33
	;; [unrolled: 6-line block ×7, first 2 shown]
	v_fmac_f64_e32 v[12:13], v[10:11], v[64:65]
	v_fmac_f64_e32 v[52:53], v[18:19], v[64:65]
	v_fma_f64 v[28:29], -v[18:19], v[66:67], v[12:13]
	v_fmac_f64_e32 v[52:53], v[10:11], v[66:67]
	global_load_dwordx4 v[10:13], v[68:69], off offset:112
	global_load_dwordx4 v[18:21], v[68:69], off offset:96
	;; [unrolled: 1-line block ×4, first 2 shown]
	s_waitcnt vmcnt(0)
	v_cvt_f64_f32_e32 v[34:35], v30
	v_cvt_f64_f32_e32 v[30:31], v31
	v_fmac_f64_e32 v[14:15], v[34:35], v[82:83]
	v_fmac_f64_e32 v[46:47], v[30:31], v[82:83]
	v_fma_f64 v[14:15], -v[30:31], v[84:85], v[14:15]
	v_fmac_f64_e32 v[46:47], v[34:35], v[84:85]
	v_cvt_f64_f32_e32 v[30:31], v32
	v_cvt_f64_f32_e32 v[32:33], v33
	v_fmac_f64_e32 v[14:15], v[30:31], v[78:79]
	v_fmac_f64_e32 v[46:47], v[32:33], v[78:79]
	v_fma_f64 v[14:15], -v[32:33], v[80:81], v[14:15]
	v_fmac_f64_e32 v[46:47], v[30:31], v[80:81]
	v_cvt_f64_f32_e32 v[30:31], v22
	v_cvt_f64_f32_e32 v[22:23], v23
	v_fmac_f64_e32 v[14:15], v[30:31], v[74:75]
	v_fma_f64 v[14:15], -v[22:23], v[76:77], v[14:15]
	v_fmac_f64_e32 v[46:47], v[22:23], v[74:75]
	v_cvt_f64_f32_e32 v[22:23], v24
	v_cvt_f64_f32_e32 v[24:25], v25
	v_fmac_f64_e32 v[14:15], v[22:23], v[64:65]
	v_fma_f64 v[72:73], -v[24:25], v[66:67], v[14:15]
	v_cvt_f64_f32_e32 v[14:15], v18
	v_cvt_f64_f32_e32 v[18:19], v19
	v_fmac_f64_e32 v[16:17], v[14:15], v[82:83]
	v_fmac_f64_e32 v[42:43], v[18:19], v[82:83]
	v_fma_f64 v[16:17], -v[18:19], v[84:85], v[16:17]
	v_fmac_f64_e32 v[42:43], v[14:15], v[84:85]
	v_cvt_f64_f32_e32 v[14:15], v20
	v_cvt_f64_f32_e32 v[18:19], v21
	v_fmac_f64_e32 v[16:17], v[14:15], v[78:79]
	v_fmac_f64_e32 v[42:43], v[18:19], v[78:79]
	v_fma_f64 v[16:17], -v[18:19], v[80:81], v[16:17]
	v_fmac_f64_e32 v[42:43], v[14:15], v[80:81]
	;; [unrolled: 6-line block ×3, first 2 shown]
	v_cvt_f64_f32_e32 v[10:11], v12
	v_cvt_f64_f32_e32 v[12:13], v13
	v_fmac_f64_e32 v[42:43], v[12:13], v[64:65]
	v_fmac_f64_e32 v[16:17], v[10:11], v[64:65]
	;; [unrolled: 1-line block ×3, first 2 shown]
	global_load_dwordx2 v[10:11], v[62:63], off offset:128
	v_fmac_f64_e32 v[46:47], v[30:31], v[76:77]
	v_fmac_f64_e32 v[46:47], v[24:25], v[64:65]
	;; [unrolled: 1-line block ×3, first 2 shown]
	v_fma_f64 v[70:71], -v[12:13], v[66:67], v[16:17]
	global_load_dwordx4 v[30:33], v[68:69], off offset:2096
	global_load_dwordx4 v[34:37], v[68:69], off offset:2080
	;; [unrolled: 1-line block ×4, first 2 shown]
	v_lshl_add_u64 v[62:63], v[62:63], 0, s[16:17]
	s_waitcnt vmcnt(4)
	v_sub_co_u32_e32 v10, vcc, v10, v40
	s_nop 1
	v_subb_co_u32_e32 v11, vcc, v11, v41, vcc
	v_lshlrev_b64 v[10:11], 6, v[10:11]
	v_lshl_add_u64 v[80:81], s[4:5], 0, v[10:11]
	global_load_dwordx4 v[10:13], v[80:81], off offset:48
	global_load_dwordx4 v[14:17], v[80:81], off offset:32
	;; [unrolled: 1-line block ×3, first 2 shown]
	global_load_dwordx4 v[22:25], v[80:81], off
	s_waitcnt vmcnt(4)
	v_cvt_f64_f32_e32 v[78:79], v74
	v_cvt_f64_f32_e32 v[74:75], v75
	v_cmp_ge_i64_e32 vcc, v[60:61], v[48:49]
	s_or_b64 s[12:13], vcc, s[12:13]
	s_waitcnt vmcnt(0)
	v_fmac_f64_e32 v[26:27], v[78:79], v[22:23]
	v_fmac_f64_e32 v[54:55], v[74:75], v[22:23]
	v_fma_f64 v[26:27], -v[74:75], v[24:25], v[26:27]
	v_fmac_f64_e32 v[54:55], v[78:79], v[24:25]
	v_cvt_f64_f32_e32 v[74:75], v76
	v_cvt_f64_f32_e32 v[76:77], v77
	v_fmac_f64_e32 v[26:27], v[74:75], v[18:19]
	v_fmac_f64_e32 v[54:55], v[76:77], v[18:19]
	v_fma_f64 v[26:27], -v[76:77], v[20:21], v[26:27]
	v_fmac_f64_e32 v[54:55], v[74:75], v[20:21]
	v_cvt_f64_f32_e32 v[74:75], v64
	v_cvt_f64_f32_e32 v[64:65], v65
	v_fmac_f64_e32 v[26:27], v[74:75], v[14:15]
	v_fma_f64 v[26:27], -v[64:65], v[16:17], v[26:27]
	v_fmac_f64_e32 v[54:55], v[64:65], v[14:15]
	v_cvt_f64_f32_e32 v[64:65], v66
	v_fmac_f64_e32 v[54:55], v[74:75], v[16:17]
	v_cvt_f64_f32_e32 v[74:75], v67
	v_fmac_f64_e32 v[26:27], v[64:65], v[10:11]
	v_fma_f64 v[66:67], -v[74:75], v[12:13], v[26:27]
	v_cvt_f64_f32_e32 v[26:27], v34
	v_cvt_f64_f32_e32 v[34:35], v35
	v_fmac_f64_e32 v[28:29], v[26:27], v[22:23]
	v_fmac_f64_e32 v[52:53], v[34:35], v[22:23]
	v_fma_f64 v[28:29], -v[34:35], v[24:25], v[28:29]
	v_fmac_f64_e32 v[52:53], v[26:27], v[24:25]
	v_cvt_f64_f32_e32 v[26:27], v36
	v_cvt_f64_f32_e32 v[34:35], v37
	v_fmac_f64_e32 v[28:29], v[26:27], v[18:19]
	v_fmac_f64_e32 v[52:53], v[34:35], v[18:19]
	v_fma_f64 v[28:29], -v[34:35], v[20:21], v[28:29]
	v_fmac_f64_e32 v[52:53], v[26:27], v[20:21]
	v_cvt_f64_f32_e32 v[26:27], v30
	v_cvt_f64_f32_e32 v[30:31], v31
	v_fmac_f64_e32 v[28:29], v[26:27], v[14:15]
	v_fmac_f64_e32 v[52:53], v[30:31], v[14:15]
	v_fma_f64 v[28:29], -v[30:31], v[16:17], v[28:29]
	v_fmac_f64_e32 v[52:53], v[26:27], v[16:17]
	v_cvt_f64_f32_e32 v[26:27], v32
	v_cvt_f64_f32_e32 v[30:31], v33
	v_fmac_f64_e32 v[54:55], v[74:75], v[10:11]
	v_fmac_f64_e32 v[28:29], v[26:27], v[10:11]
	;; [unrolled: 1-line block ×4, first 2 shown]
	v_fma_f64 v[64:65], -v[30:31], v[12:13], v[28:29]
	v_fmac_f64_e32 v[52:53], v[26:27], v[12:13]
	global_load_dwordx4 v[26:29], v[68:69], off offset:2160
	global_load_dwordx4 v[30:33], v[68:69], off offset:2144
	;; [unrolled: 1-line block ×4, first 2 shown]
	s_waitcnt vmcnt(0)
	v_cvt_f64_f32_e32 v[68:69], v74
	v_cvt_f64_f32_e32 v[74:75], v75
	v_fmac_f64_e32 v[72:73], v[68:69], v[22:23]
	v_fmac_f64_e32 v[46:47], v[74:75], v[22:23]
	v_fma_f64 v[72:73], -v[74:75], v[24:25], v[72:73]
	v_fmac_f64_e32 v[46:47], v[68:69], v[24:25]
	v_cvt_f64_f32_e32 v[68:69], v76
	v_cvt_f64_f32_e32 v[74:75], v77
	v_fmac_f64_e32 v[72:73], v[68:69], v[18:19]
	v_fmac_f64_e32 v[46:47], v[74:75], v[18:19]
	v_fma_f64 v[72:73], -v[74:75], v[20:21], v[72:73]
	v_fmac_f64_e32 v[46:47], v[68:69], v[20:21]
	;; [unrolled: 6-line block ×3, first 2 shown]
	v_cvt_f64_f32_e32 v[68:69], v36
	v_cvt_f64_f32_e32 v[36:37], v37
	v_fmac_f64_e32 v[72:73], v[68:69], v[10:11]
	v_fma_f64 v[34:35], -v[36:37], v[12:13], v[72:73]
	v_fmac_f64_e32 v[46:47], v[36:37], v[10:11]
	v_cvt_f64_f32_e32 v[36:37], v30
	v_cvt_f64_f32_e32 v[30:31], v31
	v_fmac_f64_e32 v[70:71], v[36:37], v[22:23]
	v_fmac_f64_e32 v[42:43], v[30:31], v[22:23]
	;; [unrolled: 1-line block ×3, first 2 shown]
	v_fma_f64 v[68:69], -v[30:31], v[24:25], v[70:71]
	v_fmac_f64_e32 v[42:43], v[36:37], v[24:25]
	v_cvt_f64_f32_e32 v[22:23], v32
	v_cvt_f64_f32_e32 v[24:25], v33
	v_fmac_f64_e32 v[68:69], v[22:23], v[18:19]
	v_fmac_f64_e32 v[42:43], v[24:25], v[18:19]
	v_fma_f64 v[30:31], -v[24:25], v[20:21], v[68:69]
	v_fmac_f64_e32 v[42:43], v[22:23], v[20:21]
	v_cvt_f64_f32_e32 v[18:19], v26
	v_cvt_f64_f32_e32 v[20:21], v27
	v_fmac_f64_e32 v[30:31], v[18:19], v[14:15]
	v_fmac_f64_e32 v[42:43], v[20:21], v[14:15]
	;; [unrolled: 6-line block ×3, first 2 shown]
	v_fma_f64 v[18:19], -v[16:17], v[12:13], v[22:23]
	v_fmac_f64_e32 v[42:43], v[14:15], v[12:13]
	s_andn2_b64 exec, exec, s[12:13]
	s_cbranch_execnz .LBB177_21
; %bb.22:
	s_or_b64 exec, exec, s[12:13]
.LBB177_23:
	s_or_b64 exec, exec, s[10:11]
.LBB177_24:
	s_or_b64 exec, exec, s[6:7]
	s_cbranch_execz .LBB177_26
	s_branch .LBB177_37
.LBB177_25:
                                        ; implicit-def: $vgpr54_vgpr55
                                        ; implicit-def: $vgpr66_vgpr67
                                        ; implicit-def: $vgpr52_vgpr53
                                        ; implicit-def: $vgpr64_vgpr65
                                        ; implicit-def: $vgpr46_vgpr47
                                        ; implicit-def: $vgpr34_vgpr35
                                        ; implicit-def: $vgpr42_vgpr43
                                        ; implicit-def: $vgpr18_vgpr19
.LBB177_26:
	v_mov_b64_e32 v[54:55], 0
	v_mov_b64_e32 v[66:67], 0
	;; [unrolled: 1-line block ×8, first 2 shown]
	s_and_saveexec_b64 s[6:7], s[2:3]
	s_cbranch_execz .LBB177_36
; %bb.27:
	v_or_b32_e32 v1, 16, v0
	v_sub_co_u32_e32 v10, vcc, v1, v40
	v_not_b32_e32 v13, v57
	s_nop 0
	v_subb_co_u32_e32 v11, vcc, 0, v41, vcc
	v_lshl_add_u64 v[10:11], v[10:11], 0, v[56:57]
	v_cmp_gt_i64_e32 vcc, v[10:11], v[48:49]
	v_not_b32_e32 v12, v56
	v_mov_b64_e32 v[18:19], 0
	v_cndmask_b32_e32 v11, v49, v11, vcc
	v_cndmask_b32_e32 v10, v48, v10, vcc
	v_sub_co_u32_e32 v14, vcc, v40, v0
	v_mov_b64_e32 v[42:43], 0
	s_nop 0
	v_subbrev_co_u32_e32 v15, vcc, 0, v41, vcc
	v_lshl_add_u64 v[12:13], v[14:15], 0, v[12:13]
	v_lshl_add_u64 v[10:11], v[12:13], 0, v[10:11]
	v_and_b32_e32 v12, 48, v10
	v_mov_b32_e32 v13, 0
	v_cmp_ne_u64_e32 vcc, 48, v[12:13]
	v_mov_b64_e32 v[34:35], 0
	v_mov_b64_e32 v[46:47], 0
	;; [unrolled: 1-line block ×6, first 2 shown]
	s_and_saveexec_b64 s[2:3], vcc
	s_cbranch_execz .LBB177_31
; %bb.28:
	v_lshrrev_b32_e32 v1, 4, v10
	v_add_u32_e32 v1, 1, v1
	v_and_b32_e32 v1, 3, v1
	v_sub_co_u32_e32 v14, vcc, 0, v1
	v_lshl_add_u64 v[12:13], v[44:45], 3, s[8:9]
	s_nop 0
	v_subb_co_u32_e64 v15, s[12:13], 0, 0, vcc
	s_mov_b64 s[10:11], 0
	v_mov_b64_e32 v[54:55], 0
	s_mov_b64 s[12:13], 0x800
	s_mov_b64 s[14:15], 0x80
	v_mov_b64_e32 v[66:67], 0
	v_mov_b64_e32 v[52:53], 0
	;; [unrolled: 1-line block ×7, first 2 shown]
.LBB177_29:                             ; =>This Inner Loop Header: Depth=1
	global_load_dwordx2 v[16:17], v[12:13], off
	global_load_dwordx4 v[20:23], v[50:51], off
	global_load_dwordx4 v[24:27], v[50:51], off offset:16
	global_load_dwordx4 v[28:31], v[50:51], off offset:32
	;; [unrolled: 1-line block ×7, first 2 shown]
	v_lshl_add_u64 v[14:15], v[14:15], 0, 1
	v_cmp_eq_u64_e32 vcc, 0, v[14:15]
	s_or_b64 s[10:11], vcc, s[10:11]
	v_lshl_add_u64 v[50:51], v[50:51], 0, s[12:13]
	v_lshl_add_u64 v[44:45], v[44:45], 0, 16
	;; [unrolled: 1-line block ×3, first 2 shown]
	s_waitcnt vmcnt(8)
	v_sub_co_u32_e32 v16, vcc, v16, v40
	s_nop 1
	v_subb_co_u32_e32 v17, vcc, v17, v41, vcc
	v_lshlrev_b64 v[16:17], 6, v[16:17]
	v_lshl_add_u64 v[16:17], s[4:5], 0, v[16:17]
	s_waitcnt vmcnt(7)
	v_cvt_f64_f32_e32 v[32:33], v20
	v_cvt_f64_f32_e32 v[36:37], v21
	v_cvt_f64_f32_e32 v[84:85], v22
	v_cvt_f64_f32_e32 v[86:87], v23
	s_waitcnt vmcnt(6)
	v_cvt_f64_f32_e32 v[88:89], v24
	v_cvt_f64_f32_e32 v[90:91], v25
	v_cvt_f64_f32_e32 v[92:93], v26
	v_cvt_f64_f32_e32 v[94:95], v27
	s_waitcnt vmcnt(5)
	v_cvt_f64_f32_e32 v[96:97], v28
	v_cvt_f64_f32_e32 v[98:99], v29
	v_cvt_f64_f32_e32 v[100:101], v30
	v_cvt_f64_f32_e32 v[102:103], v31
	global_load_dwordx4 v[20:23], v[16:17], off
	global_load_dwordx4 v[24:27], v[16:17], off offset:16
	global_load_dwordx4 v[28:31], v[16:17], off offset:32
	global_load_dwordx4 v[80:83], v[16:17], off offset:48
	s_waitcnt vmcnt(8)
	v_cvt_f64_f32_e32 v[104:105], v56
	v_cvt_f64_f32_e32 v[56:57], v57
	v_cvt_f64_f32_e32 v[106:107], v58
	v_cvt_f64_f32_e32 v[16:17], v59
	s_waitcnt vmcnt(7)
	v_cvt_f64_f32_e32 v[58:59], v60
	v_cvt_f64_f32_e32 v[60:61], v61
	v_cvt_f64_f32_e32 v[108:109], v62
	v_cvt_f64_f32_e32 v[62:63], v63
	s_waitcnt vmcnt(6)
	v_cvt_f64_f32_e32 v[110:111], v68
	v_cvt_f64_f32_e32 v[68:69], v69
	v_cvt_f64_f32_e32 v[112:113], v70
	v_cvt_f64_f32_e32 v[70:71], v71
	s_waitcnt vmcnt(5)
	v_cvt_f64_f32_e32 v[114:115], v72
	v_cvt_f64_f32_e32 v[72:73], v73
	v_cvt_f64_f32_e32 v[116:117], v74
	v_cvt_f64_f32_e32 v[74:75], v75
	s_waitcnt vmcnt(4)
	v_cvt_f64_f32_e32 v[118:119], v76
	v_cvt_f64_f32_e32 v[76:77], v77
	v_cvt_f64_f32_e32 v[120:121], v78
	v_cvt_f64_f32_e32 v[78:79], v79
	s_waitcnt vmcnt(3)
	v_fmac_f64_e32 v[66:67], v[32:33], v[20:21]
	v_fmac_f64_e32 v[54:55], v[36:37], v[20:21]
	v_fmac_f64_e32 v[64:65], v[84:85], v[20:21]
	v_fmac_f64_e32 v[52:53], v[86:87], v[20:21]
	v_fmac_f64_e32 v[34:35], v[88:89], v[20:21]
	v_fmac_f64_e32 v[46:47], v[90:91], v[20:21]
	v_fmac_f64_e32 v[18:19], v[92:93], v[20:21]
	v_fmac_f64_e32 v[42:43], v[94:95], v[20:21]
	v_fma_f64 v[20:21], -v[36:37], v[22:23], v[66:67]
	v_fmac_f64_e32 v[54:55], v[32:33], v[22:23]
	v_fma_f64 v[32:33], -v[86:87], v[22:23], v[64:65]
	v_fmac_f64_e32 v[52:53], v[84:85], v[22:23]
	v_fma_f64 v[34:35], -v[90:91], v[22:23], v[34:35]
	v_fmac_f64_e32 v[46:47], v[88:89], v[22:23]
	v_fma_f64 v[18:19], -v[94:95], v[22:23], v[18:19]
	v_fmac_f64_e32 v[42:43], v[92:93], v[22:23]
	s_waitcnt vmcnt(2)
	v_fmac_f64_e32 v[20:21], v[96:97], v[24:25]
	v_fmac_f64_e32 v[54:55], v[98:99], v[24:25]
	v_fmac_f64_e32 v[32:33], v[100:101], v[24:25]
	v_fmac_f64_e32 v[52:53], v[102:103], v[24:25]
	v_fmac_f64_e32 v[34:35], v[104:105], v[24:25]
	v_fmac_f64_e32 v[46:47], v[56:57], v[24:25]
	v_fmac_f64_e32 v[18:19], v[106:107], v[24:25]
	v_fmac_f64_e32 v[42:43], v[16:17], v[24:25]
	v_fma_f64 v[20:21], -v[98:99], v[26:27], v[20:21]
	v_fmac_f64_e32 v[54:55], v[96:97], v[26:27]
	v_fma_f64 v[22:23], -v[102:103], v[26:27], v[32:33]
	v_fmac_f64_e32 v[52:53], v[100:101], v[26:27]
	v_fma_f64 v[24:25], -v[56:57], v[26:27], v[34:35]
	v_fmac_f64_e32 v[46:47], v[104:105], v[26:27]
	v_fma_f64 v[16:17], -v[16:17], v[26:27], v[18:19]
	v_fmac_f64_e32 v[42:43], v[106:107], v[26:27]
	;; [unrolled: 17-line block ×4, first 2 shown]
	s_andn2_b64 exec, exec, s[10:11]
	s_cbranch_execnz .LBB177_29
; %bb.30:
	s_or_b64 exec, exec, s[10:11]
.LBB177_31:
	s_or_b64 exec, exec, s[2:3]
	v_cmp_lt_u64_e32 vcc, 47, v[10:11]
	s_and_saveexec_b64 s[2:3], vcc
	s_cbranch_execz .LBB177_35
; %bb.32:
	v_lshl_add_u64 v[10:11], v[44:45], 3, s[8:9]
	s_mov_b64 s[8:9], 0x100
	v_lshl_add_u64 v[30:31], v[10:11], 0, s[8:9]
	s_mov_b64 s[8:9], 0
	s_mov_b64 s[10:11], 0x1000
	s_movk_i32 s16, 0x1000
	s_mov_b64 s[12:13], 0x200
	s_mov_b64 s[14:15], 0x2000
.LBB177_33:                             ; =>This Inner Loop Header: Depth=1
	global_load_dwordx2 v[10:11], v[30:31], off offset:-256
	global_load_dwordx4 v[14:17], v[50:51], off offset:48
	global_load_dwordx4 v[20:23], v[50:51], off offset:32
	;; [unrolled: 1-line block ×3, first 2 shown]
	global_load_dwordx4 v[56:59], v[50:51], off
	v_lshl_add_u64 v[44:45], v[44:45], 0, 64
	s_waitcnt vmcnt(4)
	v_sub_co_u32_e32 v10, vcc, v10, v40
	s_nop 1
	v_subb_co_u32_e32 v11, vcc, v11, v41, vcc
	v_lshlrev_b64 v[10:11], 6, v[10:11]
	v_lshl_add_u64 v[36:37], s[4:5], 0, v[10:11]
	global_load_dwordx4 v[10:13], v[36:37], off offset:48
	global_load_dwordx4 v[60:63], v[36:37], off offset:32
	;; [unrolled: 1-line block ×3, first 2 shown]
	global_load_dwordx4 v[72:75], v[36:37], off
	s_waitcnt vmcnt(4)
	v_cvt_f64_f32_e32 v[28:29], v56
	v_cvt_f64_f32_e32 v[32:33], v57
	s_waitcnt vmcnt(0)
	v_fmac_f64_e32 v[66:67], v[28:29], v[72:73]
	v_fma_f64 v[36:37], -v[32:33], v[74:75], v[66:67]
	v_fmac_f64_e32 v[54:55], v[32:33], v[72:73]
	v_cvt_f64_f32_e32 v[32:33], v59
	v_fmac_f64_e32 v[54:55], v[28:29], v[74:75]
	v_cvt_f64_f32_e32 v[28:29], v58
	v_fmac_f64_e32 v[52:53], v[32:33], v[72:73]
	v_fmac_f64_e32 v[64:65], v[28:29], v[72:73]
	;; [unrolled: 1-line block ×3, first 2 shown]
	v_cvt_f64_f32_e32 v[28:29], v24
	v_cvt_f64_f32_e32 v[24:25], v25
	v_fmac_f64_e32 v[34:35], v[28:29], v[72:73]
	v_fma_f64 v[56:57], -v[32:33], v[74:75], v[64:65]
	v_fma_f64 v[32:33], -v[24:25], v[74:75], v[34:35]
	v_fmac_f64_e32 v[46:47], v[24:25], v[72:73]
	v_cvt_f64_f32_e32 v[24:25], v26
	v_cvt_f64_f32_e32 v[26:27], v27
	v_fmac_f64_e32 v[42:43], v[26:27], v[72:73]
	v_fmac_f64_e32 v[18:19], v[24:25], v[72:73]
	;; [unrolled: 1-line block ×3, first 2 shown]
	v_cvt_f64_f32_e32 v[24:25], v20
	v_cvt_f64_f32_e32 v[20:21], v21
	v_fmac_f64_e32 v[36:37], v[24:25], v[68:69]
	v_fma_f64 v[34:35], -v[20:21], v[70:71], v[36:37]
	v_fmac_f64_e32 v[54:55], v[20:21], v[68:69]
	v_cvt_f64_f32_e32 v[20:21], v22
	v_cvt_f64_f32_e32 v[22:23], v23
	v_fmac_f64_e32 v[52:53], v[22:23], v[68:69]
	v_fmac_f64_e32 v[56:57], v[20:21], v[68:69]
	v_fmac_f64_e32 v[52:53], v[20:21], v[70:71]
	v_cvt_f64_f32_e32 v[20:21], v14
	v_fmac_f64_e32 v[46:47], v[28:29], v[74:75]
	v_cvt_f64_f32_e32 v[14:15], v15
	v_fmac_f64_e32 v[32:33], v[20:21], v[68:69]
	v_fma_f64 v[18:19], -v[26:27], v[74:75], v[18:19]
	v_fma_f64 v[32:33], -v[14:15], v[70:71], v[32:33]
	v_fmac_f64_e32 v[46:47], v[14:15], v[68:69]
	v_cvt_f64_f32_e32 v[14:15], v16
	v_cvt_f64_f32_e32 v[16:17], v17
	v_fmac_f64_e32 v[18:19], v[14:15], v[68:69]
	v_fmac_f64_e32 v[42:43], v[16:17], v[68:69]
	;; [unrolled: 1-line block ×3, first 2 shown]
	v_fma_f64 v[36:37], -v[22:23], v[70:71], v[56:57]
	v_fmac_f64_e32 v[46:47], v[20:21], v[70:71]
	v_fma_f64 v[56:57], -v[16:17], v[70:71], v[18:19]
	v_fmac_f64_e32 v[42:43], v[14:15], v[70:71]
	global_load_dwordx4 v[14:17], v[50:51], off offset:112
	global_load_dwordx4 v[18:21], v[50:51], off offset:96
	;; [unrolled: 1-line block ×4, first 2 shown]
	s_waitcnt vmcnt(0)
	v_cvt_f64_f32_e32 v[58:59], v26
	v_cvt_f64_f32_e32 v[26:27], v27
	v_fmac_f64_e32 v[34:35], v[58:59], v[60:61]
	v_fma_f64 v[34:35], -v[26:27], v[62:63], v[34:35]
	v_fmac_f64_e32 v[54:55], v[26:27], v[60:61]
	v_cvt_f64_f32_e32 v[26:27], v28
	v_cvt_f64_f32_e32 v[28:29], v29
	v_fmac_f64_e32 v[52:53], v[28:29], v[60:61]
	v_fmac_f64_e32 v[36:37], v[26:27], v[60:61]
	;; [unrolled: 1-line block ×3, first 2 shown]
	v_cvt_f64_f32_e32 v[26:27], v22
	v_cvt_f64_f32_e32 v[22:23], v23
	v_fmac_f64_e32 v[32:33], v[26:27], v[60:61]
	v_fma_f64 v[36:37], -v[28:29], v[62:63], v[36:37]
	v_fma_f64 v[28:29], -v[22:23], v[62:63], v[32:33]
	v_fmac_f64_e32 v[46:47], v[22:23], v[60:61]
	v_cvt_f64_f32_e32 v[22:23], v24
	v_cvt_f64_f32_e32 v[24:25], v25
	v_fmac_f64_e32 v[42:43], v[24:25], v[60:61]
	v_fmac_f64_e32 v[56:57], v[22:23], v[60:61]
	;; [unrolled: 1-line block ×3, first 2 shown]
	v_cvt_f64_f32_e32 v[22:23], v18
	v_fmac_f64_e32 v[54:55], v[58:59], v[62:63]
	v_cvt_f64_f32_e32 v[18:19], v19
	v_fmac_f64_e32 v[34:35], v[22:23], v[10:11]
	v_fma_f64 v[64:65], -v[18:19], v[12:13], v[34:35]
	v_fmac_f64_e32 v[54:55], v[18:19], v[10:11]
	v_cvt_f64_f32_e32 v[18:19], v20
	v_cvt_f64_f32_e32 v[20:21], v21
	v_fmac_f64_e32 v[52:53], v[20:21], v[10:11]
	v_fmac_f64_e32 v[36:37], v[18:19], v[10:11]
	;; [unrolled: 1-line block ×3, first 2 shown]
	v_cvt_f64_f32_e32 v[18:19], v14
	v_fmac_f64_e32 v[46:47], v[26:27], v[62:63]
	v_cvt_f64_f32_e32 v[14:15], v15
	v_fmac_f64_e32 v[28:29], v[18:19], v[10:11]
	v_fma_f64 v[26:27], -v[24:25], v[62:63], v[56:57]
	v_fma_f64 v[66:67], -v[14:15], v[12:13], v[28:29]
	v_fmac_f64_e32 v[46:47], v[14:15], v[10:11]
	v_cvt_f64_f32_e32 v[14:15], v16
	v_cvt_f64_f32_e32 v[16:17], v17
	v_fmac_f64_e32 v[26:27], v[14:15], v[10:11]
	v_fmac_f64_e32 v[42:43], v[16:17], v[10:11]
	global_load_dwordx2 v[10:11], v[30:31], off offset:-128
	v_fma_f64 v[68:69], -v[16:17], v[12:13], v[26:27]
	v_fmac_f64_e32 v[54:55], v[22:23], v[12:13]
	v_fma_f64 v[36:37], -v[20:21], v[12:13], v[36:37]
	v_fmac_f64_e32 v[46:47], v[18:19], v[12:13]
	v_fmac_f64_e32 v[42:43], v[14:15], v[12:13]
	s_waitcnt vmcnt(0)
	v_sub_co_u32_e32 v26, vcc, v10, v40
	s_nop 1
	v_subb_co_u32_e32 v27, vcc, v11, v41, vcc
	v_lshlrev_b64 v[26:27], 6, v[26:27]
	global_load_dwordx4 v[10:13], v[50:51], off offset:2096
	global_load_dwordx4 v[14:17], v[50:51], off offset:2080
	;; [unrolled: 1-line block ×4, first 2 shown]
	v_lshl_add_u64 v[72:73], s[4:5], 0, v[26:27]
	global_load_dwordx4 v[26:29], v[72:73], off offset:48
	global_load_dwordx4 v[32:35], v[72:73], off offset:32
	;; [unrolled: 1-line block ×3, first 2 shown]
	global_load_dwordx4 v[60:63], v[72:73], off
	s_waitcnt vmcnt(4)
	v_cvt_f64_f32_e32 v[70:71], v22
	v_cvt_f64_f32_e32 v[22:23], v23
	s_waitcnt vmcnt(0)
	v_fmac_f64_e32 v[64:65], v[70:71], v[60:61]
	v_fma_f64 v[64:65], -v[22:23], v[62:63], v[64:65]
	v_fmac_f64_e32 v[54:55], v[22:23], v[60:61]
	v_cvt_f64_f32_e32 v[22:23], v24
	v_cvt_f64_f32_e32 v[24:25], v25
	v_fmac_f64_e32 v[52:53], v[24:25], v[60:61]
	v_fmac_f64_e32 v[36:37], v[22:23], v[60:61]
	;; [unrolled: 1-line block ×3, first 2 shown]
	v_cvt_f64_f32_e32 v[22:23], v18
	v_cvt_f64_f32_e32 v[18:19], v19
	v_fmac_f64_e32 v[66:67], v[22:23], v[60:61]
	v_fma_f64 v[36:37], -v[24:25], v[62:63], v[36:37]
	v_fma_f64 v[24:25], -v[18:19], v[62:63], v[66:67]
	v_fmac_f64_e32 v[46:47], v[18:19], v[60:61]
	v_cvt_f64_f32_e32 v[18:19], v20
	v_cvt_f64_f32_e32 v[20:21], v21
	v_fmac_f64_e32 v[42:43], v[20:21], v[60:61]
	v_fmac_f64_e32 v[68:69], v[18:19], v[60:61]
	;; [unrolled: 1-line block ×3, first 2 shown]
	v_cvt_f64_f32_e32 v[18:19], v14
	v_fmac_f64_e32 v[54:55], v[70:71], v[62:63]
	v_cvt_f64_f32_e32 v[14:15], v15
	v_fmac_f64_e32 v[64:65], v[18:19], v[56:57]
	v_fma_f64 v[60:61], -v[14:15], v[58:59], v[64:65]
	v_fmac_f64_e32 v[54:55], v[14:15], v[56:57]
	v_cvt_f64_f32_e32 v[14:15], v16
	v_cvt_f64_f32_e32 v[16:17], v17
	v_fmac_f64_e32 v[52:53], v[16:17], v[56:57]
	v_fmac_f64_e32 v[36:37], v[14:15], v[56:57]
	v_fmac_f64_e32 v[52:53], v[14:15], v[58:59]
	v_cvt_f64_f32_e32 v[14:15], v10
	v_fmac_f64_e32 v[46:47], v[22:23], v[62:63]
	v_cvt_f64_f32_e32 v[10:11], v11
	v_fmac_f64_e32 v[24:25], v[14:15], v[56:57]
	v_fma_f64 v[22:23], -v[20:21], v[62:63], v[68:69]
	v_fma_f64 v[62:63], -v[10:11], v[58:59], v[24:25]
	v_fmac_f64_e32 v[46:47], v[10:11], v[56:57]
	v_cvt_f64_f32_e32 v[10:11], v12
	v_cvt_f64_f32_e32 v[12:13], v13
	v_fmac_f64_e32 v[22:23], v[10:11], v[56:57]
	v_fmac_f64_e32 v[42:43], v[12:13], v[56:57]
	;; [unrolled: 1-line block ×3, first 2 shown]
	v_fma_f64 v[36:37], -v[16:17], v[58:59], v[36:37]
	v_fmac_f64_e32 v[46:47], v[14:15], v[58:59]
	v_fma_f64 v[64:65], -v[12:13], v[58:59], v[22:23]
	v_fmac_f64_e32 v[42:43], v[10:11], v[58:59]
	global_load_dwordx4 v[14:17], v[50:51], off offset:2160
	global_load_dwordx4 v[10:13], v[50:51], off offset:2144
	;; [unrolled: 1-line block ×4, first 2 shown]
	s_waitcnt vmcnt(0)
	v_cvt_f64_f32_e32 v[56:57], v22
	v_cvt_f64_f32_e32 v[22:23], v23
	v_fmac_f64_e32 v[60:61], v[56:57], v[32:33]
	v_fma_f64 v[58:59], -v[22:23], v[34:35], v[60:61]
	v_fmac_f64_e32 v[54:55], v[22:23], v[32:33]
	v_cvt_f64_f32_e32 v[22:23], v24
	v_cvt_f64_f32_e32 v[24:25], v25
	v_fmac_f64_e32 v[52:53], v[24:25], v[32:33]
	v_fmac_f64_e32 v[36:37], v[22:23], v[32:33]
	;; [unrolled: 1-line block ×3, first 2 shown]
	v_cvt_f64_f32_e32 v[22:23], v18
	v_cvt_f64_f32_e32 v[18:19], v19
	v_fmac_f64_e32 v[62:63], v[22:23], v[32:33]
	v_fma_f64 v[36:37], -v[24:25], v[34:35], v[36:37]
	v_fma_f64 v[24:25], -v[18:19], v[34:35], v[62:63]
	v_fmac_f64_e32 v[46:47], v[18:19], v[32:33]
	v_cvt_f64_f32_e32 v[18:19], v20
	v_cvt_f64_f32_e32 v[20:21], v21
	v_fmac_f64_e32 v[42:43], v[20:21], v[32:33]
	v_fmac_f64_e32 v[64:65], v[18:19], v[32:33]
	;; [unrolled: 1-line block ×3, first 2 shown]
	v_cvt_f64_f32_e32 v[18:19], v10
	v_fmac_f64_e32 v[54:55], v[56:57], v[34:35]
	v_fmac_f64_e32 v[46:47], v[22:23], v[34:35]
	v_fma_f64 v[22:23], -v[20:21], v[34:35], v[64:65]
	v_cvt_f64_f32_e32 v[20:21], v11
	v_fmac_f64_e32 v[58:59], v[18:19], v[26:27]
	v_fma_f64 v[10:11], -v[20:21], v[28:29], v[58:59]
	v_fmac_f64_e32 v[54:55], v[20:21], v[26:27]
	v_cvt_f64_f32_e32 v[20:21], v13
	v_fmac_f64_e32 v[54:55], v[18:19], v[28:29]
	v_cvt_f64_f32_e32 v[18:19], v12
	v_fmac_f64_e32 v[52:53], v[20:21], v[26:27]
	v_fmac_f64_e32 v[36:37], v[18:19], v[26:27]
	;; [unrolled: 1-line block ×3, first 2 shown]
	v_cvt_f64_f32_e32 v[18:19], v14
	v_fma_f64 v[12:13], -v[20:21], v[28:29], v[36:37]
	v_cvt_f64_f32_e32 v[20:21], v15
	v_fmac_f64_e32 v[24:25], v[18:19], v[26:27]
	v_fma_f64 v[14:15], -v[20:21], v[28:29], v[24:25]
	v_fmac_f64_e32 v[46:47], v[20:21], v[26:27]
	v_cvt_f64_f32_e32 v[20:21], v17
	v_fmac_f64_e32 v[46:47], v[18:19], v[28:29]
	v_cvt_f64_f32_e32 v[18:19], v16
	v_fmac_f64_e32 v[42:43], v[20:21], v[26:27]
	v_fmac_f64_e32 v[22:23], v[18:19], v[26:27]
	;; [unrolled: 1-line block ×3, first 2 shown]
	global_load_dwordx2 v[18:19], v[30:31], off
	v_fma_f64 v[16:17], -v[20:21], v[28:29], v[22:23]
	v_lshl_add_u64 v[32:33], v[50:51], 0, s[10:11]
	s_waitcnt vmcnt(0)
	v_sub_co_u32_e32 v56, vcc, v18, v40
	s_nop 1
	v_subb_co_u32_e32 v57, vcc, v19, v41, vcc
	v_add_co_u32_e32 v58, vcc, s16, v50
	v_lshlrev_b64 v[56:57], 6, v[56:57]
	s_nop 0
	v_addc_co_u32_e32 v59, vcc, 0, v51, vcc
	v_lshl_add_u64 v[74:75], s[4:5], 0, v[56:57]
	global_load_dwordx4 v[18:21], v[58:59], off
	global_load_dwordx4 v[22:25], v[32:33], off offset:48
	global_load_dwordx4 v[26:29], v[32:33], off offset:32
	;; [unrolled: 1-line block ×3, first 2 shown]
	s_nop 0
	global_load_dwordx4 v[56:59], v[74:75], off offset:48
	global_load_dwordx4 v[60:63], v[74:75], off offset:32
	;; [unrolled: 1-line block ×3, first 2 shown]
	global_load_dwordx4 v[68:71], v[74:75], off
	v_lshl_add_u64 v[50:51], v[50:51], 0, s[14:15]
	s_waitcnt vmcnt(7)
	v_cvt_f64_f32_e32 v[72:73], v18
	v_cvt_f64_f32_e32 v[18:19], v19
	s_waitcnt vmcnt(0)
	v_fmac_f64_e32 v[10:11], v[72:73], v[68:69]
	v_fma_f64 v[10:11], -v[18:19], v[70:71], v[10:11]
	v_fmac_f64_e32 v[54:55], v[18:19], v[68:69]
	v_cvt_f64_f32_e32 v[18:19], v20
	v_cvt_f64_f32_e32 v[20:21], v21
	v_fmac_f64_e32 v[12:13], v[18:19], v[68:69]
	v_fmac_f64_e32 v[52:53], v[20:21], v[68:69]
	v_fma_f64 v[12:13], -v[20:21], v[70:71], v[12:13]
	v_fmac_f64_e32 v[52:53], v[18:19], v[70:71]
	v_cvt_f64_f32_e32 v[18:19], v34
	v_cvt_f64_f32_e32 v[20:21], v35
	v_fmac_f64_e32 v[14:15], v[18:19], v[68:69]
	v_fmac_f64_e32 v[46:47], v[20:21], v[68:69]
	v_fma_f64 v[14:15], -v[20:21], v[70:71], v[14:15]
	v_fmac_f64_e32 v[46:47], v[18:19], v[70:71]
	v_cvt_f64_f32_e32 v[18:19], v36
	v_cvt_f64_f32_e32 v[20:21], v37
	v_fmac_f64_e32 v[16:17], v[18:19], v[68:69]
	v_fmac_f64_e32 v[42:43], v[20:21], v[68:69]
	v_fmac_f64_e32 v[54:55], v[72:73], v[70:71]
	v_fma_f64 v[16:17], -v[20:21], v[70:71], v[16:17]
	v_fmac_f64_e32 v[42:43], v[18:19], v[70:71]
	v_cvt_f64_f32_e32 v[18:19], v26
	v_cvt_f64_f32_e32 v[20:21], v27
	v_fmac_f64_e32 v[10:11], v[18:19], v[64:65]
	v_fmac_f64_e32 v[54:55], v[20:21], v[64:65]
	v_fma_f64 v[26:27], -v[20:21], v[66:67], v[10:11]
	v_fmac_f64_e32 v[54:55], v[18:19], v[66:67]
	v_cvt_f64_f32_e32 v[10:11], v28
	v_cvt_f64_f32_e32 v[18:19], v29
	;; [unrolled: 6-line block ×4, first 2 shown]
	v_fmac_f64_e32 v[16:17], v[10:11], v[64:65]
	v_fmac_f64_e32 v[42:43], v[12:13], v[64:65]
	v_fma_f64 v[36:37], -v[12:13], v[66:67], v[16:17]
	v_fmac_f64_e32 v[42:43], v[10:11], v[66:67]
	global_load_dwordx4 v[10:13], v[32:33], off offset:112
	global_load_dwordx4 v[14:17], v[32:33], off offset:96
	;; [unrolled: 1-line block ×4, first 2 shown]
	s_waitcnt vmcnt(0)
	v_cvt_f64_f32_e32 v[64:65], v22
	v_cvt_f64_f32_e32 v[22:23], v23
	v_fmac_f64_e32 v[26:27], v[64:65], v[60:61]
	v_fma_f64 v[26:27], -v[22:23], v[62:63], v[26:27]
	v_fmac_f64_e32 v[54:55], v[22:23], v[60:61]
	v_cvt_f64_f32_e32 v[22:23], v24
	v_cvt_f64_f32_e32 v[24:25], v25
	v_fmac_f64_e32 v[52:53], v[24:25], v[60:61]
	v_fmac_f64_e32 v[28:29], v[22:23], v[60:61]
	;; [unrolled: 1-line block ×3, first 2 shown]
	v_cvt_f64_f32_e32 v[22:23], v18
	v_cvt_f64_f32_e32 v[18:19], v19
	v_fmac_f64_e32 v[34:35], v[22:23], v[60:61]
	v_fma_f64 v[28:29], -v[24:25], v[62:63], v[28:29]
	v_fma_f64 v[24:25], -v[18:19], v[62:63], v[34:35]
	v_fmac_f64_e32 v[46:47], v[18:19], v[60:61]
	v_cvt_f64_f32_e32 v[18:19], v20
	v_cvt_f64_f32_e32 v[20:21], v21
	v_fmac_f64_e32 v[36:37], v[18:19], v[60:61]
	v_fma_f64 v[34:35], -v[20:21], v[62:63], v[36:37]
	v_fmac_f64_e32 v[42:43], v[20:21], v[60:61]
	v_cvt_f64_f32_e32 v[20:21], v14
	v_fmac_f64_e32 v[54:55], v[64:65], v[62:63]
	v_cvt_f64_f32_e32 v[14:15], v15
	v_fmac_f64_e32 v[26:27], v[20:21], v[56:57]
	v_fmac_f64_e32 v[42:43], v[18:19], v[62:63]
	v_fma_f64 v[18:19], -v[14:15], v[58:59], v[26:27]
	v_fmac_f64_e32 v[54:55], v[14:15], v[56:57]
	v_cvt_f64_f32_e32 v[14:15], v16
	v_cvt_f64_f32_e32 v[16:17], v17
	v_fmac_f64_e32 v[52:53], v[16:17], v[56:57]
	v_fmac_f64_e32 v[28:29], v[14:15], v[56:57]
	;; [unrolled: 1-line block ×3, first 2 shown]
	v_cvt_f64_f32_e32 v[14:15], v10
	v_fmac_f64_e32 v[46:47], v[22:23], v[62:63]
	v_cvt_f64_f32_e32 v[10:11], v11
	v_fmac_f64_e32 v[24:25], v[14:15], v[56:57]
	v_fma_f64 v[22:23], -v[10:11], v[58:59], v[24:25]
	v_fmac_f64_e32 v[46:47], v[10:11], v[56:57]
	v_cvt_f64_f32_e32 v[10:11], v12
	v_cvt_f64_f32_e32 v[12:13], v13
	v_fmac_f64_e32 v[42:43], v[12:13], v[56:57]
	v_fmac_f64_e32 v[34:35], v[10:11], v[56:57]
	;; [unrolled: 1-line block ×3, first 2 shown]
	global_load_dwordx2 v[10:11], v[30:31], off offset:128
	v_fmac_f64_e32 v[54:55], v[20:21], v[58:59]
	v_fma_f64 v[20:21], -v[16:17], v[58:59], v[28:29]
	v_fmac_f64_e32 v[46:47], v[14:15], v[58:59]
	v_fma_f64 v[24:25], -v[12:13], v[58:59], v[34:35]
	global_load_dwordx4 v[26:29], v[32:33], off offset:2096
	global_load_dwordx4 v[34:37], v[32:33], off offset:2080
	;; [unrolled: 1-line block ×4, first 2 shown]
	v_lshl_add_u64 v[30:31], v[30:31], 0, s[12:13]
	s_waitcnt vmcnt(4)
	v_sub_co_u32_e32 v10, vcc, v10, v40
	s_nop 1
	v_subb_co_u32_e32 v11, vcc, v11, v41, vcc
	v_lshlrev_b64 v[10:11], 6, v[10:11]
	v_lshl_add_u64 v[74:75], s[4:5], 0, v[10:11]
	global_load_dwordx4 v[10:13], v[74:75], off offset:48
	global_load_dwordx4 v[14:17], v[74:75], off offset:32
	;; [unrolled: 1-line block ×3, first 2 shown]
	global_load_dwordx4 v[68:71], v[74:75], off
	s_waitcnt vmcnt(4)
	v_cvt_f64_f32_e32 v[72:73], v60
	v_cvt_f64_f32_e32 v[60:61], v61
	v_cmp_ge_i64_e32 vcc, v[44:45], v[48:49]
	s_or_b64 s[8:9], vcc, s[8:9]
	s_waitcnt vmcnt(0)
	v_fmac_f64_e32 v[18:19], v[72:73], v[68:69]
	v_fma_f64 v[18:19], -v[60:61], v[70:71], v[18:19]
	v_fmac_f64_e32 v[54:55], v[60:61], v[68:69]
	v_cvt_f64_f32_e32 v[60:61], v62
	v_cvt_f64_f32_e32 v[62:63], v63
	v_fmac_f64_e32 v[52:53], v[62:63], v[68:69]
	v_fmac_f64_e32 v[20:21], v[60:61], v[68:69]
	;; [unrolled: 1-line block ×3, first 2 shown]
	v_cvt_f64_f32_e32 v[60:61], v56
	v_cvt_f64_f32_e32 v[56:57], v57
	v_fmac_f64_e32 v[22:23], v[60:61], v[68:69]
	v_fma_f64 v[22:23], -v[56:57], v[70:71], v[22:23]
	v_fmac_f64_e32 v[46:47], v[56:57], v[68:69]
	v_cvt_f64_f32_e32 v[56:57], v58
	v_cvt_f64_f32_e32 v[58:59], v59
	v_fmac_f64_e32 v[42:43], v[58:59], v[68:69]
	v_fmac_f64_e32 v[24:25], v[56:57], v[68:69]
	v_fmac_f64_e32 v[42:43], v[56:57], v[70:71]
	v_cvt_f64_f32_e32 v[56:57], v34
	v_fmac_f64_e32 v[54:55], v[72:73], v[70:71]
	v_cvt_f64_f32_e32 v[34:35], v35
	v_fmac_f64_e32 v[18:19], v[56:57], v[64:65]
	v_fma_f64 v[20:21], -v[62:63], v[70:71], v[20:21]
	v_fma_f64 v[24:25], -v[58:59], v[70:71], v[24:25]
	;; [unrolled: 1-line block ×3, first 2 shown]
	v_fmac_f64_e32 v[54:55], v[34:35], v[64:65]
	v_cvt_f64_f32_e32 v[18:19], v36
	v_cvt_f64_f32_e32 v[34:35], v37
	v_fmac_f64_e32 v[20:21], v[18:19], v[64:65]
	v_fmac_f64_e32 v[52:53], v[34:35], v[64:65]
	;; [unrolled: 1-line block ×4, first 2 shown]
	v_fma_f64 v[56:57], -v[34:35], v[66:67], v[20:21]
	v_fmac_f64_e32 v[52:53], v[18:19], v[66:67]
	v_cvt_f64_f32_e32 v[18:19], v26
	v_cvt_f64_f32_e32 v[20:21], v27
	v_fmac_f64_e32 v[22:23], v[18:19], v[64:65]
	v_fmac_f64_e32 v[46:47], v[20:21], v[64:65]
	v_fma_f64 v[36:37], -v[20:21], v[66:67], v[22:23]
	v_fmac_f64_e32 v[46:47], v[18:19], v[66:67]
	v_cvt_f64_f32_e32 v[18:19], v28
	v_cvt_f64_f32_e32 v[20:21], v29
	v_fmac_f64_e32 v[24:25], v[18:19], v[64:65]
	v_fmac_f64_e32 v[42:43], v[20:21], v[64:65]
	v_fma_f64 v[34:35], -v[20:21], v[66:67], v[24:25]
	v_fmac_f64_e32 v[42:43], v[18:19], v[66:67]
	global_load_dwordx4 v[18:21], v[32:33], off offset:2160
	global_load_dwordx4 v[22:25], v[32:33], off offset:2144
	;; [unrolled: 1-line block ×4, first 2 shown]
	s_waitcnt vmcnt(0)
	v_cvt_f64_f32_e32 v[32:33], v60
	v_cvt_f64_f32_e32 v[60:61], v61
	v_fmac_f64_e32 v[58:59], v[32:33], v[14:15]
	v_fma_f64 v[58:59], -v[60:61], v[16:17], v[58:59]
	v_fmac_f64_e32 v[54:55], v[60:61], v[14:15]
	v_cvt_f64_f32_e32 v[60:61], v63
	v_fmac_f64_e32 v[54:55], v[32:33], v[16:17]
	v_cvt_f64_f32_e32 v[32:33], v62
	v_fmac_f64_e32 v[52:53], v[60:61], v[14:15]
	v_fmac_f64_e32 v[56:57], v[32:33], v[14:15]
	;; [unrolled: 1-line block ×3, first 2 shown]
	v_cvt_f64_f32_e32 v[32:33], v26
	v_cvt_f64_f32_e32 v[26:27], v27
	v_fmac_f64_e32 v[36:37], v[32:33], v[14:15]
	v_fma_f64 v[36:37], -v[26:27], v[16:17], v[36:37]
	v_fmac_f64_e32 v[46:47], v[26:27], v[14:15]
	v_cvt_f64_f32_e32 v[26:27], v28
	v_cvt_f64_f32_e32 v[28:29], v29
	v_fmac_f64_e32 v[34:35], v[26:27], v[14:15]
	v_fmac_f64_e32 v[42:43], v[28:29], v[14:15]
	v_fma_f64 v[56:57], -v[60:61], v[16:17], v[56:57]
	v_fmac_f64_e32 v[46:47], v[32:33], v[16:17]
	v_fma_f64 v[32:33], -v[28:29], v[16:17], v[34:35]
	v_fmac_f64_e32 v[42:43], v[26:27], v[16:17]
	v_cvt_f64_f32_e32 v[14:15], v22
	v_cvt_f64_f32_e32 v[16:17], v23
	v_fmac_f64_e32 v[58:59], v[14:15], v[10:11]
	v_fmac_f64_e32 v[54:55], v[16:17], v[10:11]
	v_fma_f64 v[66:67], -v[16:17], v[12:13], v[58:59]
	v_fmac_f64_e32 v[54:55], v[14:15], v[12:13]
	v_cvt_f64_f32_e32 v[14:15], v24
	v_cvt_f64_f32_e32 v[16:17], v25
	v_fmac_f64_e32 v[56:57], v[14:15], v[10:11]
	;; [unrolled: 6-line block ×4, first 2 shown]
	v_fmac_f64_e32 v[42:43], v[16:17], v[10:11]
	v_fma_f64 v[18:19], -v[16:17], v[12:13], v[32:33]
	v_fmac_f64_e32 v[42:43], v[14:15], v[12:13]
	s_andn2_b64 exec, exec, s[8:9]
	s_cbranch_execnz .LBB177_33
; %bb.34:
	s_or_b64 exec, exec, s[8:9]
.LBB177_35:
	s_or_b64 exec, exec, s[2:3]
.LBB177_36:
	s_or_b64 exec, exec, s[6:7]
.LBB177_37:
	v_mov_b32_dpp v10, v66 row_shr:1 row_mask:0xf bank_mask:0xf
	v_mov_b32_dpp v11, v67 row_shr:1 row_mask:0xf bank_mask:0xf
	v_mov_b32_dpp v14, v54 row_shr:1 row_mask:0xf bank_mask:0xf
	v_mov_b32_dpp v15, v55 row_shr:1 row_mask:0xf bank_mask:0xf
	v_mov_b32_dpp v20, v64 row_shr:1 row_mask:0xf bank_mask:0xf
	v_mov_b32_dpp v21, v65 row_shr:1 row_mask:0xf bank_mask:0xf
	v_mov_b32_dpp v24, v52 row_shr:1 row_mask:0xf bank_mask:0xf
	v_mov_b32_dpp v25, v53 row_shr:1 row_mask:0xf bank_mask:0xf
	v_mov_b32_dpp v28, v34 row_shr:1 row_mask:0xf bank_mask:0xf
	v_mov_b32_dpp v29, v35 row_shr:1 row_mask:0xf bank_mask:0xf
	v_mov_b32_dpp v32, v46 row_shr:1 row_mask:0xf bank_mask:0xf
	v_mov_b32_dpp v33, v47 row_shr:1 row_mask:0xf bank_mask:0xf
	v_mov_b32_dpp v36, v18 row_shr:1 row_mask:0xf bank_mask:0xf
	v_mov_b32_dpp v37, v19 row_shr:1 row_mask:0xf bank_mask:0xf
	v_mov_b32_dpp v40, v42 row_shr:1 row_mask:0xf bank_mask:0xf
	v_mov_b32_dpp v41, v43 row_shr:1 row_mask:0xf bank_mask:0xf
	v_add_f64 v[10:11], v[66:67], v[10:11]
	v_add_f64 v[14:15], v[54:55], v[14:15]
	v_add_f64 v[20:21], v[64:65], v[20:21]
	v_add_f64 v[24:25], v[52:53], v[24:25]
	v_add_f64 v[28:29], v[34:35], v[28:29]
	v_add_f64 v[32:33], v[46:47], v[32:33]
	v_add_f64 v[18:19], v[18:19], v[36:37]
	v_add_f64 v[40:41], v[42:43], v[40:41]
	v_mov_b32_dpp v12, v10 row_shr:2 row_mask:0xf bank_mask:0xf
	v_mov_b32_dpp v13, v11 row_shr:2 row_mask:0xf bank_mask:0xf
	v_mov_b32_dpp v16, v14 row_shr:2 row_mask:0xf bank_mask:0xf
	v_mov_b32_dpp v17, v15 row_shr:2 row_mask:0xf bank_mask:0xf
	v_mov_b32_dpp v22, v20 row_shr:2 row_mask:0xf bank_mask:0xf
	v_mov_b32_dpp v23, v21 row_shr:2 row_mask:0xf bank_mask:0xf
	v_mov_b32_dpp v26, v24 row_shr:2 row_mask:0xf bank_mask:0xf
	v_mov_b32_dpp v27, v25 row_shr:2 row_mask:0xf bank_mask:0xf
	v_mov_b32_dpp v30, v28 row_shr:2 row_mask:0xf bank_mask:0xf
	v_mov_b32_dpp v31, v29 row_shr:2 row_mask:0xf bank_mask:0xf
	v_mov_b32_dpp v34, v32 row_shr:2 row_mask:0xf bank_mask:0xf
	v_mov_b32_dpp v35, v33 row_shr:2 row_mask:0xf bank_mask:0xf
	v_mov_b32_dpp v36, v18 row_shr:2 row_mask:0xf bank_mask:0xf
	v_mov_b32_dpp v37, v19 row_shr:2 row_mask:0xf bank_mask:0xf
	v_mov_b32_dpp v42, v40 row_shr:2 row_mask:0xf bank_mask:0xf
	v_mov_b32_dpp v43, v41 row_shr:2 row_mask:0xf bank_mask:0xf
	v_add_f64 v[10:11], v[10:11], v[12:13]
	v_add_f64 v[14:15], v[14:15], v[16:17]
	v_add_f64 v[20:21], v[20:21], v[22:23]
	v_add_f64 v[24:25], v[24:25], v[26:27]
	v_add_f64 v[28:29], v[28:29], v[30:31]
	v_add_f64 v[32:33], v[32:33], v[34:35]
	v_add_f64 v[18:19], v[18:19], v[36:37]
	v_add_f64 v[40:41], v[40:41], v[42:43]
	;; [unrolled: 24-line block ×3, first 2 shown]
	v_mov_b32_dpp v12, v10 row_shr:8 row_mask:0xf bank_mask:0xc
	v_mov_b32_dpp v13, v11 row_shr:8 row_mask:0xf bank_mask:0xc
	;; [unrolled: 1-line block ×16, first 2 shown]
	v_cmp_eq_u32_e32 vcc, 15, v0
	s_and_b64 exec, exec, vcc
	s_cbranch_execz .LBB177_8
; %bb.38:
	s_load_dwordx2 s[2:3], s[0:1], 0x68
	v_add_f64 v[0:1], v[10:11], v[12:13]
	v_add_f64 v[10:11], v[14:15], v[16:17]
	v_add_f64 v[12:13], v[24:25], v[26:27]
	v_add_f64 v[26:27], v[28:29], v[30:31]
	v_add_f64 v[16:17], v[32:33], v[34:35]
	v_add_f64 v[30:31], v[40:41], v[42:43]
	v_add_f64 v[44:45], v[20:21], v[22:23]
	v_add_f64 v[28:29], v[18:19], v[36:37]
	v_cmp_eq_f64_e32 vcc, 0, v[2:3]
	v_cmp_eq_f64_e64 s[0:1], 0, v[4:5]
	v_mul_f64 v[22:23], v[10:11], -v[8:9]
	v_mul_f64 v[24:25], v[6:7], v[10:11]
	v_mul_f64 v[18:19], v[12:13], -v[8:9]
	v_mul_f64 v[20:21], v[6:7], v[12:13]
	v_mul_f64 v[14:15], v[16:17], -v[8:9]
	v_mul_f64 v[16:17], v[6:7], v[16:17]
	v_mul_f64 v[10:11], v[30:31], -v[8:9]
	v_mul_f64 v[12:13], v[6:7], v[30:31]
	s_and_b64 s[0:1], vcc, s[0:1]
	v_fmac_f64_e32 v[22:23], v[6:7], v[0:1]
	v_fmac_f64_e32 v[24:25], v[8:9], v[0:1]
	v_lshlrev_b64 v[0:1], 6, v[38:39]
	v_fmac_f64_e32 v[18:19], v[6:7], v[44:45]
	v_fmac_f64_e32 v[20:21], v[8:9], v[44:45]
	;; [unrolled: 1-line block ×6, first 2 shown]
	s_and_saveexec_b64 s[4:5], s[0:1]
	s_xor_b64 s[0:1], exec, s[4:5]
	s_cbranch_execz .LBB177_40
; %bb.39:
	s_waitcnt lgkmcnt(0)
	v_lshl_add_u64 v[0:1], s[2:3], 0, v[0:1]
	global_store_dwordx4 v[0:1], v[22:25], off
	global_store_dwordx4 v[0:1], v[18:21], off offset:16
	global_store_dwordx4 v[0:1], v[14:17], off offset:32
	;; [unrolled: 1-line block ×3, first 2 shown]
                                        ; implicit-def: $vgpr4_vgpr5
                                        ; implicit-def: $vgpr22_vgpr23
                                        ; implicit-def: $vgpr0_vgpr1
                                        ; implicit-def: $vgpr18_vgpr19
                                        ; implicit-def: $vgpr14_vgpr15
                                        ; implicit-def: $vgpr10_vgpr11
.LBB177_40:
	s_andn2_saveexec_b64 s[0:1], s[0:1]
	s_cbranch_execz .LBB177_8
; %bb.41:
	s_waitcnt lgkmcnt(0)
	v_lshl_add_u64 v[0:1], s[2:3], 0, v[0:1]
	global_load_dwordx4 v[6:9], v[0:1], off
	global_load_dwordx4 v[26:29], v[0:1], off offset:16
	global_load_dwordx4 v[30:33], v[0:1], off offset:32
	;; [unrolled: 1-line block ×3, first 2 shown]
	s_waitcnt vmcnt(3)
	v_fmac_f64_e32 v[22:23], v[2:3], v[6:7]
	v_fmac_f64_e32 v[24:25], v[4:5], v[6:7]
	s_waitcnt vmcnt(2)
	v_fmac_f64_e32 v[18:19], v[2:3], v[26:27]
	v_fmac_f64_e32 v[20:21], v[4:5], v[26:27]
	;; [unrolled: 3-line block ×4, first 2 shown]
	v_fma_f64 v[22:23], -v[4:5], v[8:9], v[22:23]
	v_fmac_f64_e32 v[24:25], v[2:3], v[8:9]
	v_fma_f64 v[18:19], -v[4:5], v[28:29], v[18:19]
	v_fmac_f64_e32 v[20:21], v[2:3], v[28:29]
	;; [unrolled: 2-line block ×4, first 2 shown]
	global_store_dwordx4 v[0:1], v[22:25], off
	global_store_dwordx4 v[0:1], v[18:21], off offset:16
	global_store_dwordx4 v[0:1], v[14:17], off offset:32
	;; [unrolled: 1-line block ×3, first 2 shown]
	s_endpgm
	.section	.rodata,"a",@progbits
	.p2align	6, 0x0
	.amdhsa_kernel _ZN9rocsparseL18bsrxmvn_4x4_kernelILj128ELj16E21rocsparse_complex_numIdEllS1_IfES2_S2_EEvT3_20rocsparse_direction_NS_24const_host_device_scalarIT1_EES4_PKS4_PKT2_SD_SA_PKT4_PKT5_S8_PT6_21rocsparse_index_base_b
		.amdhsa_group_segment_fixed_size 0
		.amdhsa_private_segment_fixed_size 0
		.amdhsa_kernarg_size 120
		.amdhsa_user_sgpr_count 2
		.amdhsa_user_sgpr_dispatch_ptr 0
		.amdhsa_user_sgpr_queue_ptr 0
		.amdhsa_user_sgpr_kernarg_segment_ptr 1
		.amdhsa_user_sgpr_dispatch_id 0
		.amdhsa_user_sgpr_kernarg_preload_length 0
		.amdhsa_user_sgpr_kernarg_preload_offset 0
		.amdhsa_user_sgpr_private_segment_size 0
		.amdhsa_uses_dynamic_stack 0
		.amdhsa_enable_private_segment 0
		.amdhsa_system_sgpr_workgroup_id_x 1
		.amdhsa_system_sgpr_workgroup_id_y 0
		.amdhsa_system_sgpr_workgroup_id_z 0
		.amdhsa_system_sgpr_workgroup_info 0
		.amdhsa_system_vgpr_workitem_id 0
		.amdhsa_next_free_vgpr 128
		.amdhsa_next_free_sgpr 21
		.amdhsa_accum_offset 128
		.amdhsa_reserve_vcc 1
		.amdhsa_float_round_mode_32 0
		.amdhsa_float_round_mode_16_64 0
		.amdhsa_float_denorm_mode_32 3
		.amdhsa_float_denorm_mode_16_64 3
		.amdhsa_dx10_clamp 1
		.amdhsa_ieee_mode 1
		.amdhsa_fp16_overflow 0
		.amdhsa_tg_split 0
		.amdhsa_exception_fp_ieee_invalid_op 0
		.amdhsa_exception_fp_denorm_src 0
		.amdhsa_exception_fp_ieee_div_zero 0
		.amdhsa_exception_fp_ieee_overflow 0
		.amdhsa_exception_fp_ieee_underflow 0
		.amdhsa_exception_fp_ieee_inexact 0
		.amdhsa_exception_int_div_zero 0
	.end_amdhsa_kernel
	.section	.text._ZN9rocsparseL18bsrxmvn_4x4_kernelILj128ELj16E21rocsparse_complex_numIdEllS1_IfES2_S2_EEvT3_20rocsparse_direction_NS_24const_host_device_scalarIT1_EES4_PKS4_PKT2_SD_SA_PKT4_PKT5_S8_PT6_21rocsparse_index_base_b,"axG",@progbits,_ZN9rocsparseL18bsrxmvn_4x4_kernelILj128ELj16E21rocsparse_complex_numIdEllS1_IfES2_S2_EEvT3_20rocsparse_direction_NS_24const_host_device_scalarIT1_EES4_PKS4_PKT2_SD_SA_PKT4_PKT5_S8_PT6_21rocsparse_index_base_b,comdat
.Lfunc_end177:
	.size	_ZN9rocsparseL18bsrxmvn_4x4_kernelILj128ELj16E21rocsparse_complex_numIdEllS1_IfES2_S2_EEvT3_20rocsparse_direction_NS_24const_host_device_scalarIT1_EES4_PKS4_PKT2_SD_SA_PKT4_PKT5_S8_PT6_21rocsparse_index_base_b, .Lfunc_end177-_ZN9rocsparseL18bsrxmvn_4x4_kernelILj128ELj16E21rocsparse_complex_numIdEllS1_IfES2_S2_EEvT3_20rocsparse_direction_NS_24const_host_device_scalarIT1_EES4_PKS4_PKT2_SD_SA_PKT4_PKT5_S8_PT6_21rocsparse_index_base_b
                                        ; -- End function
	.set _ZN9rocsparseL18bsrxmvn_4x4_kernelILj128ELj16E21rocsparse_complex_numIdEllS1_IfES2_S2_EEvT3_20rocsparse_direction_NS_24const_host_device_scalarIT1_EES4_PKS4_PKT2_SD_SA_PKT4_PKT5_S8_PT6_21rocsparse_index_base_b.num_vgpr, 128
	.set _ZN9rocsparseL18bsrxmvn_4x4_kernelILj128ELj16E21rocsparse_complex_numIdEllS1_IfES2_S2_EEvT3_20rocsparse_direction_NS_24const_host_device_scalarIT1_EES4_PKS4_PKT2_SD_SA_PKT4_PKT5_S8_PT6_21rocsparse_index_base_b.num_agpr, 0
	.set _ZN9rocsparseL18bsrxmvn_4x4_kernelILj128ELj16E21rocsparse_complex_numIdEllS1_IfES2_S2_EEvT3_20rocsparse_direction_NS_24const_host_device_scalarIT1_EES4_PKS4_PKT2_SD_SA_PKT4_PKT5_S8_PT6_21rocsparse_index_base_b.numbered_sgpr, 21
	.set _ZN9rocsparseL18bsrxmvn_4x4_kernelILj128ELj16E21rocsparse_complex_numIdEllS1_IfES2_S2_EEvT3_20rocsparse_direction_NS_24const_host_device_scalarIT1_EES4_PKS4_PKT2_SD_SA_PKT4_PKT5_S8_PT6_21rocsparse_index_base_b.num_named_barrier, 0
	.set _ZN9rocsparseL18bsrxmvn_4x4_kernelILj128ELj16E21rocsparse_complex_numIdEllS1_IfES2_S2_EEvT3_20rocsparse_direction_NS_24const_host_device_scalarIT1_EES4_PKS4_PKT2_SD_SA_PKT4_PKT5_S8_PT6_21rocsparse_index_base_b.private_seg_size, 0
	.set _ZN9rocsparseL18bsrxmvn_4x4_kernelILj128ELj16E21rocsparse_complex_numIdEllS1_IfES2_S2_EEvT3_20rocsparse_direction_NS_24const_host_device_scalarIT1_EES4_PKS4_PKT2_SD_SA_PKT4_PKT5_S8_PT6_21rocsparse_index_base_b.uses_vcc, 1
	.set _ZN9rocsparseL18bsrxmvn_4x4_kernelILj128ELj16E21rocsparse_complex_numIdEllS1_IfES2_S2_EEvT3_20rocsparse_direction_NS_24const_host_device_scalarIT1_EES4_PKS4_PKT2_SD_SA_PKT4_PKT5_S8_PT6_21rocsparse_index_base_b.uses_flat_scratch, 0
	.set _ZN9rocsparseL18bsrxmvn_4x4_kernelILj128ELj16E21rocsparse_complex_numIdEllS1_IfES2_S2_EEvT3_20rocsparse_direction_NS_24const_host_device_scalarIT1_EES4_PKS4_PKT2_SD_SA_PKT4_PKT5_S8_PT6_21rocsparse_index_base_b.has_dyn_sized_stack, 0
	.set _ZN9rocsparseL18bsrxmvn_4x4_kernelILj128ELj16E21rocsparse_complex_numIdEllS1_IfES2_S2_EEvT3_20rocsparse_direction_NS_24const_host_device_scalarIT1_EES4_PKS4_PKT2_SD_SA_PKT4_PKT5_S8_PT6_21rocsparse_index_base_b.has_recursion, 0
	.set _ZN9rocsparseL18bsrxmvn_4x4_kernelILj128ELj16E21rocsparse_complex_numIdEllS1_IfES2_S2_EEvT3_20rocsparse_direction_NS_24const_host_device_scalarIT1_EES4_PKS4_PKT2_SD_SA_PKT4_PKT5_S8_PT6_21rocsparse_index_base_b.has_indirect_call, 0
	.section	.AMDGPU.csdata,"",@progbits
; Kernel info:
; codeLenInByte = 8608
; TotalNumSgprs: 27
; NumVgprs: 128
; NumAgprs: 0
; TotalNumVgprs: 128
; ScratchSize: 0
; MemoryBound: 0
; FloatMode: 240
; IeeeMode: 1
; LDSByteSize: 0 bytes/workgroup (compile time only)
; SGPRBlocks: 3
; VGPRBlocks: 15
; NumSGPRsForWavesPerEU: 27
; NumVGPRsForWavesPerEU: 128
; AccumOffset: 128
; Occupancy: 4
; WaveLimiterHint : 1
; COMPUTE_PGM_RSRC2:SCRATCH_EN: 0
; COMPUTE_PGM_RSRC2:USER_SGPR: 2
; COMPUTE_PGM_RSRC2:TRAP_HANDLER: 0
; COMPUTE_PGM_RSRC2:TGID_X_EN: 1
; COMPUTE_PGM_RSRC2:TGID_Y_EN: 0
; COMPUTE_PGM_RSRC2:TGID_Z_EN: 0
; COMPUTE_PGM_RSRC2:TIDIG_COMP_CNT: 0
; COMPUTE_PGM_RSRC3_GFX90A:ACCUM_OFFSET: 31
; COMPUTE_PGM_RSRC3_GFX90A:TG_SPLIT: 0
	.section	.text._ZN9rocsparseL18bsrxmvn_4x4_kernelILj128ELj32E21rocsparse_complex_numIdEllS1_IfES2_S2_EEvT3_20rocsparse_direction_NS_24const_host_device_scalarIT1_EES4_PKS4_PKT2_SD_SA_PKT4_PKT5_S8_PT6_21rocsparse_index_base_b,"axG",@progbits,_ZN9rocsparseL18bsrxmvn_4x4_kernelILj128ELj32E21rocsparse_complex_numIdEllS1_IfES2_S2_EEvT3_20rocsparse_direction_NS_24const_host_device_scalarIT1_EES4_PKS4_PKT2_SD_SA_PKT4_PKT5_S8_PT6_21rocsparse_index_base_b,comdat
	.globl	_ZN9rocsparseL18bsrxmvn_4x4_kernelILj128ELj32E21rocsparse_complex_numIdEllS1_IfES2_S2_EEvT3_20rocsparse_direction_NS_24const_host_device_scalarIT1_EES4_PKS4_PKT2_SD_SA_PKT4_PKT5_S8_PT6_21rocsparse_index_base_b ; -- Begin function _ZN9rocsparseL18bsrxmvn_4x4_kernelILj128ELj32E21rocsparse_complex_numIdEllS1_IfES2_S2_EEvT3_20rocsparse_direction_NS_24const_host_device_scalarIT1_EES4_PKS4_PKT2_SD_SA_PKT4_PKT5_S8_PT6_21rocsparse_index_base_b
	.p2align	8
	.type	_ZN9rocsparseL18bsrxmvn_4x4_kernelILj128ELj32E21rocsparse_complex_numIdEllS1_IfES2_S2_EEvT3_20rocsparse_direction_NS_24const_host_device_scalarIT1_EES4_PKS4_PKT2_SD_SA_PKT4_PKT5_S8_PT6_21rocsparse_index_base_b,@function
_ZN9rocsparseL18bsrxmvn_4x4_kernelILj128ELj32E21rocsparse_complex_numIdEllS1_IfES2_S2_EEvT3_20rocsparse_direction_NS_24const_host_device_scalarIT1_EES4_PKS4_PKT2_SD_SA_PKT4_PKT5_S8_PT6_21rocsparse_index_base_b: ; @_ZN9rocsparseL18bsrxmvn_4x4_kernelILj128ELj32E21rocsparse_complex_numIdEllS1_IfES2_S2_EEvT3_20rocsparse_direction_NS_24const_host_device_scalarIT1_EES4_PKS4_PKT2_SD_SA_PKT4_PKT5_S8_PT6_21rocsparse_index_base_b
; %bb.0:
	s_load_dwordx2 s[4:5], s[0:1], 0x10
	s_load_dwordx2 s[6:7], s[0:1], 0x70
	s_add_u32 s3, s0, 16
	s_addc_u32 s10, s1, 0
	s_add_u32 s11, s0, 0x58
	s_load_dwordx2 s[8:9], s[0:1], 0x58
	s_addc_u32 s12, s1, 0
	s_waitcnt lgkmcnt(0)
	s_bitcmp1_b32 s7, 0
	s_cselect_b32 s5, s10, s5
	s_cselect_b32 s3, s3, s4
	v_mov_b32_e32 v2, s3
	v_mov_b32_e32 v3, s5
	flat_load_dwordx4 v[6:9], v[2:3]
	s_cselect_b32 s3, s12, s9
	s_cselect_b32 s4, s11, s8
	v_mov_b32_e32 v2, s4
	v_mov_b32_e32 v3, s3
	flat_load_dwordx4 v[2:5], v[2:3]
	s_waitcnt vmcnt(0) lgkmcnt(0)
	v_cmp_eq_f64_e32 vcc, 0, v[6:7]
	v_cmp_eq_f64_e64 s[4:5], 0, v[8:9]
	s_and_b64 s[10:11], vcc, s[4:5]
	s_mov_b64 s[4:5], -1
	s_and_saveexec_b64 s[8:9], s[10:11]
; %bb.1:
	v_cmp_neq_f64_e32 vcc, 1.0, v[2:3]
	v_cmp_neq_f64_e64 s[4:5], 0, v[4:5]
	s_or_b64 s[4:5], vcc, s[4:5]
	s_orn2_b64 s[4:5], s[4:5], exec
; %bb.2:
	s_or_b64 exec, exec, s[8:9]
	s_and_saveexec_b64 s[8:9], s[4:5]
	s_cbranch_execz .LBB178_8
; %bb.3:
	s_load_dwordx2 s[4:5], s[0:1], 0x28
	v_lshrrev_b32_e32 v1, 5, v0
	v_lshl_or_b32 v10, s2, 2, v1
	v_mov_b32_e32 v11, 0
	s_mov_b64 s[2:3], 0
	s_waitcnt lgkmcnt(0)
	s_cmp_lg_u64 s[4:5], 0
	s_cbranch_scc0 .LBB178_9
; %bb.4:
	s_load_dwordx2 s[8:9], s[0:1], 0x20
                                        ; implicit-def: $vgpr30_vgpr31
                                        ; implicit-def: $vgpr32_vgpr33
	s_waitcnt lgkmcnt(0)
	v_cmp_gt_i64_e32 vcc, s[8:9], v[10:11]
	s_and_saveexec_b64 s[8:9], vcc
	s_xor_b64 s[8:9], exec, s[8:9]
	s_cbranch_execz .LBB178_6
; %bb.5:
	v_lshl_add_u64 v[12:13], v[10:11], 3, s[4:5]
	global_load_dwordx2 v[12:13], v[12:13], off
	s_mov_b32 s7, 0
	s_mov_b64 s[2:3], exec
	v_mov_b64_e32 v[32:33], s[6:7]
	s_waitcnt vmcnt(0)
	v_subrev_co_u32_e32 v30, vcc, s6, v12
	s_nop 1
	v_subbrev_co_u32_e32 v31, vcc, 0, v13, vcc
.LBB178_6:
	s_or_b64 exec, exec, s[8:9]
.LBB178_7:
	s_and_b64 exec, exec, s[2:3]
	s_cbranch_execnz .LBB178_13
.LBB178_8:
	s_endpgm
.LBB178_9:
                                        ; implicit-def: $vgpr30_vgpr31
                                        ; implicit-def: $vgpr32_vgpr33
	s_cbranch_execz .LBB178_7
; %bb.10:
	s_load_dwordx2 s[4:5], s[0:1], 0x0
	s_waitcnt lgkmcnt(0)
	v_cmp_gt_i64_e32 vcc, s[4:5], v[10:11]
	s_and_saveexec_b64 s[4:5], vcc
; %bb.11:
	s_mov_b32 s7, 0
	s_or_b64 s[2:3], s[2:3], exec
; %bb.12:
	s_or_b64 exec, exec, s[4:5]
	v_mov_b64_e32 v[32:33], s[6:7]
	v_mov_b64_e32 v[30:31], v[10:11]
	s_and_b64 exec, exec, s[2:3]
	s_cbranch_execz .LBB178_8
.LBB178_13:
	s_load_dwordx8 s[4:11], s[0:1], 0x30
	v_lshlrev_b64 v[10:11], 3, v[30:31]
	v_and_b32_e32 v0, 31, v0
	v_mov_b32_e32 v1, 0
	s_waitcnt lgkmcnt(0)
	v_lshl_add_u64 v[12:13], s[4:5], 0, v[10:11]
	s_cmp_eq_u64 s[6:7], 0
	v_lshl_add_u64 v[10:11], s[6:7], 0, v[10:11]
	global_load_dwordx2 v[48:49], v[12:13], off
	v_lshl_add_u64 v[12:13], v[12:13], 0, 8
	s_cselect_b64 vcc, -1, 0
	v_cndmask_b32_e32 v11, v11, v13, vcc
	v_cndmask_b32_e32 v10, v10, v12, vcc
	global_load_dwordx2 v[10:11], v[10:11], off
	s_load_dword s2, s[0:1], 0x8
	s_load_dwordx2 s[4:5], s[0:1], 0x50
	s_waitcnt lgkmcnt(0)
	s_cmp_eq_u32 s2, 1
	s_waitcnt vmcnt(1)
	v_sub_co_u32_e32 v12, vcc, v48, v32
	s_nop 1
	v_subb_co_u32_e32 v13, vcc, v49, v33, vcc
	v_lshl_add_u64 v[38:39], v[12:13], 0, v[0:1]
	s_waitcnt vmcnt(0)
	v_sub_co_u32_e32 v40, vcc, v10, v32
	s_nop 1
	v_subb_co_u32_e32 v41, vcc, v11, v33, vcc
	v_lshlrev_b64 v[10:11], 7, v[38:39]
	v_lshl_add_u64 v[42:43], s[10:11], 0, v[10:11]
	v_cmp_lt_i64_e64 s[2:3], v[38:39], v[40:41]
	s_cbranch_scc1 .LBB178_25
; %bb.14:
	v_mov_b64_e32 v[46:47], 0
	v_mov_b64_e32 v[58:59], 0
	;; [unrolled: 1-line block ×8, first 2 shown]
	s_and_saveexec_b64 s[6:7], s[2:3]
	s_cbranch_execz .LBB178_24
; %bb.15:
	v_or_b32_e32 v1, 32, v0
	v_sub_co_u32_e32 v10, vcc, v1, v32
	v_not_b32_e32 v13, v49
	s_nop 0
	v_subb_co_u32_e32 v11, vcc, 0, v33, vcc
	v_lshl_add_u64 v[10:11], v[10:11], 0, v[48:49]
	v_cmp_gt_i64_e32 vcc, v[10:11], v[40:41]
	v_not_b32_e32 v12, v48
	s_mov_b64 s[10:11], 0x60
	v_cndmask_b32_e32 v11, v41, v11, vcc
	v_cndmask_b32_e32 v10, v40, v10, vcc
	v_sub_co_u32_e32 v14, vcc, v32, v0
	v_mov_b64_e32 v[18:19], 0
	s_nop 0
	v_subbrev_co_u32_e32 v15, vcc, 0, v33, vcc
	v_lshl_add_u64 v[12:13], v[14:15], 0, v[12:13]
	v_lshl_add_u64 v[14:15], v[12:13], 0, v[10:11]
	v_and_b32_e32 v10, 0x60, v14
	v_mov_b32_e32 v11, 0
	v_cmp_ne_u64_e32 vcc, s[10:11], v[10:11]
	v_mov_b64_e32 v[34:35], 0
	v_mov_b64_e32 v[60:61], 0
	;; [unrolled: 1-line block ×9, first 2 shown]
	s_and_saveexec_b64 s[10:11], vcc
	s_cbranch_execz .LBB178_19
; %bb.16:
	v_lshrrev_b32_e32 v1, 5, v14
	v_add_u32_e32 v1, 1, v1
	v_and_b32_e32 v1, 3, v1
	v_sub_co_u32_e32 v20, vcc, 0, v1
	v_lshl_add_u64 v[16:17], v[38:39], 3, s[8:9]
	s_nop 0
	v_subb_co_u32_e64 v21, s[14:15], 0, 0, vcc
	s_mov_b64 s[12:13], 0
	v_mov_b64_e32 v[46:47], 0
	s_mov_b64 s[14:15], 0x1000
	s_mov_b64 s[16:17], 0x100
	v_mov_b64_e32 v[52:53], v[38:39]
	v_mov_b64_e32 v[50:51], v[42:43]
	;; [unrolled: 1-line block ×9, first 2 shown]
.LBB178_17:                             ; =>This Inner Loop Header: Depth=1
	global_load_dwordx2 v[54:55], v[16:17], off
	global_load_dwordx4 v[22:25], v[50:51], off
	global_load_dwordx4 v[10:13], v[50:51], off offset:32
	global_load_dwordx4 v[26:29], v[50:51], off offset:64
	;; [unrolled: 1-line block ×7, first 2 shown]
	v_lshl_add_u64 v[20:21], v[20:21], 0, 1
	v_cmp_eq_u64_e32 vcc, 0, v[20:21]
	s_or_b64 s[12:13], vcc, s[12:13]
	v_lshl_add_u64 v[50:51], v[50:51], 0, s[14:15]
	v_lshl_add_u64 v[52:53], v[52:53], 0, 32
	;; [unrolled: 1-line block ×3, first 2 shown]
	s_waitcnt vmcnt(8)
	v_sub_co_u32_e32 v54, vcc, v54, v32
	s_nop 1
	v_subb_co_u32_e32 v55, vcc, v55, v33, vcc
	s_waitcnt vmcnt(7)
	v_cvt_f64_f32_e32 v[90:91], v22
	v_cvt_f64_f32_e32 v[92:93], v23
	v_lshlrev_b64 v[22:23], 6, v[54:55]
	v_lshl_add_u64 v[54:55], s[4:5], 0, v[22:23]
	v_cvt_f64_f32_e32 v[94:95], v24
	v_cvt_f64_f32_e32 v[96:97], v25
	s_waitcnt vmcnt(3)
	v_cvt_f64_f32_e32 v[104:105], v66
	v_cvt_f64_f32_e32 v[106:107], v67
	;; [unrolled: 1-line block ×4, first 2 shown]
	global_load_dwordx4 v[22:25], v[54:55], off
	global_load_dwordx4 v[66:69], v[54:55], off offset:16
	global_load_dwordx4 v[82:85], v[54:55], off offset:32
	;; [unrolled: 1-line block ×3, first 2 shown]
	v_cvt_f64_f32_e32 v[98:99], v10
	v_cvt_f64_f32_e32 v[10:11], v11
	;; [unrolled: 1-line block ×12, first 2 shown]
	s_waitcnt vmcnt(6)
	v_cvt_f64_f32_e32 v[54:55], v70
	v_cvt_f64_f32_e32 v[70:71], v71
	s_waitcnt vmcnt(5)
	v_cvt_f64_f32_e32 v[120:121], v74
	v_cvt_f64_f32_e32 v[74:75], v75
	;; [unrolled: 3-line block ×3, first 2 shown]
	v_cvt_f64_f32_e32 v[114:115], v72
	v_cvt_f64_f32_e32 v[72:73], v73
	;; [unrolled: 1-line block ×6, first 2 shown]
	s_waitcnt vmcnt(3)
	v_fmac_f64_e32 v[58:59], v[90:91], v[22:23]
	v_fmac_f64_e32 v[46:47], v[92:93], v[22:23]
	v_fmac_f64_e32 v[56:57], v[98:99], v[22:23]
	v_fmac_f64_e32 v[44:45], v[10:11], v[22:23]
	v_fmac_f64_e32 v[60:61], v[100:101], v[22:23]
	v_fmac_f64_e32 v[36:37], v[26:27], v[22:23]
	v_fmac_f64_e32 v[18:19], v[102:103], v[22:23]
	v_fmac_f64_e32 v[34:35], v[62:63], v[22:23]
	v_fma_f64 v[22:23], -v[92:93], v[24:25], v[58:59]
	v_fmac_f64_e32 v[46:47], v[90:91], v[24:25]
	v_fma_f64 v[10:11], -v[10:11], v[24:25], v[56:57]
	v_fmac_f64_e32 v[44:45], v[98:99], v[24:25]
	v_fma_f64 v[26:27], -v[26:27], v[24:25], v[60:61]
	v_fmac_f64_e32 v[36:37], v[100:101], v[24:25]
	v_fma_f64 v[18:19], -v[62:63], v[24:25], v[18:19]
	v_fmac_f64_e32 v[34:35], v[102:103], v[24:25]
	s_waitcnt vmcnt(2)
	v_fmac_f64_e32 v[22:23], v[94:95], v[66:67]
	v_fmac_f64_e32 v[46:47], v[96:97], v[66:67]
	v_fmac_f64_e32 v[10:11], v[112:113], v[66:67]
	v_fmac_f64_e32 v[44:45], v[12:13], v[66:67]
	v_fmac_f64_e32 v[26:27], v[116:117], v[66:67]
	v_fmac_f64_e32 v[36:37], v[28:29], v[66:67]
	v_fmac_f64_e32 v[18:19], v[118:119], v[66:67]
	v_fmac_f64_e32 v[34:35], v[64:65], v[66:67]
	v_fma_f64 v[22:23], -v[96:97], v[68:69], v[22:23]
	v_fmac_f64_e32 v[46:47], v[94:95], v[68:69]
	v_fma_f64 v[10:11], -v[12:13], v[68:69], v[10:11]
	v_fmac_f64_e32 v[44:45], v[112:113], v[68:69]
	v_fma_f64 v[12:13], -v[28:29], v[68:69], v[26:27]
	v_fmac_f64_e32 v[36:37], v[116:117], v[68:69]
	v_fma_f64 v[18:19], -v[64:65], v[68:69], v[18:19]
	v_fmac_f64_e32 v[34:35], v[118:119], v[68:69]
	;; [unrolled: 17-line block ×4, first 2 shown]
	s_andn2_b64 exec, exec, s[12:13]
	s_cbranch_execnz .LBB178_17
; %bb.18:
	s_or_b64 exec, exec, s[12:13]
.LBB178_19:
	s_or_b64 exec, exec, s[10:11]
	s_mov_b64 s[10:11], 0x5f
	v_cmp_lt_u64_e32 vcc, s[10:11], v[14:15]
	s_and_saveexec_b64 s[10:11], vcc
	s_cbranch_execz .LBB178_23
; %bb.20:
	v_lshl_add_u64 v[10:11], v[52:53], 3, s[8:9]
	s_mov_b64 s[12:13], 0x200
	v_lshl_add_u64 v[54:55], v[10:11], 0, s[12:13]
	s_mov_b64 s[12:13], 0
	s_mov_b64 s[14:15], 0x1000
	;; [unrolled: 1-line block ×3, first 2 shown]
	s_movk_i32 s26, 0x2000
	s_mov_b64 s[18:19], 0x3000
	s_movk_i32 s27, 0x3000
	s_mov_b64 s[20:21], 0x80
	s_mov_b64 s[22:23], 0x400
	;; [unrolled: 1-line block ×3, first 2 shown]
.LBB178_21:                             ; =>This Inner Loop Header: Depth=1
	global_load_dwordx2 v[10:11], v[54:55], off offset:-512
	global_load_dwordx4 v[22:25], v[50:51], off offset:48
	global_load_dwordx4 v[26:29], v[50:51], off offset:32
	;; [unrolled: 1-line block ×3, first 2 shown]
	global_load_dwordx4 v[66:69], v[50:51], off
	v_lshl_add_u64 v[80:81], v[50:51], 0, s[14:15]
	v_lshl_add_u64 v[52:53], v[52:53], 0, s[20:21]
	s_waitcnt vmcnt(4)
	v_sub_co_u32_e32 v10, vcc, v10, v32
	s_nop 1
	v_subb_co_u32_e32 v11, vcc, v11, v33, vcc
	v_lshlrev_b64 v[10:11], 6, v[10:11]
	v_lshl_add_u64 v[78:79], s[4:5], 0, v[10:11]
	global_load_dwordx4 v[10:13], v[78:79], off offset:48
	global_load_dwordx4 v[14:17], v[78:79], off offset:32
	;; [unrolled: 1-line block ×3, first 2 shown]
	global_load_dwordx4 v[74:77], v[78:79], off
	s_waitcnt vmcnt(4)
	v_cvt_f64_f32_e32 v[20:21], v66
	v_cvt_f64_f32_e32 v[66:67], v67
	s_waitcnt vmcnt(0)
	v_fmac_f64_e32 v[58:59], v[20:21], v[74:75]
	v_fmac_f64_e32 v[46:47], v[66:67], v[74:75]
	v_fma_f64 v[58:59], -v[66:67], v[76:77], v[58:59]
	v_fmac_f64_e32 v[46:47], v[20:21], v[76:77]
	v_cvt_f64_f32_e32 v[20:21], v68
	v_cvt_f64_f32_e32 v[66:67], v69
	v_fmac_f64_e32 v[58:59], v[20:21], v[70:71]
	v_fmac_f64_e32 v[46:47], v[66:67], v[70:71]
	v_fma_f64 v[58:59], -v[66:67], v[72:73], v[58:59]
	v_fmac_f64_e32 v[46:47], v[20:21], v[72:73]
	v_cvt_f64_f32_e32 v[20:21], v62
	v_cvt_f64_f32_e32 v[62:63], v63
	v_fmac_f64_e32 v[58:59], v[20:21], v[14:15]
	v_fma_f64 v[58:59], -v[62:63], v[16:17], v[58:59]
	v_fmac_f64_e32 v[46:47], v[62:63], v[14:15]
	v_cvt_f64_f32_e32 v[62:63], v64
	v_cvt_f64_f32_e32 v[64:65], v65
	v_fmac_f64_e32 v[58:59], v[62:63], v[10:11]
	v_fmac_f64_e32 v[46:47], v[20:21], v[16:17]
	v_fma_f64 v[20:21], -v[64:65], v[12:13], v[58:59]
	v_cvt_f64_f32_e32 v[58:59], v26
	v_cvt_f64_f32_e32 v[26:27], v27
	v_fmac_f64_e32 v[56:57], v[58:59], v[74:75]
	v_fmac_f64_e32 v[44:45], v[26:27], v[74:75]
	v_fma_f64 v[56:57], -v[26:27], v[76:77], v[56:57]
	v_fmac_f64_e32 v[44:45], v[58:59], v[76:77]
	v_cvt_f64_f32_e32 v[26:27], v28
	v_cvt_f64_f32_e32 v[28:29], v29
	v_fmac_f64_e32 v[56:57], v[26:27], v[70:71]
	v_fmac_f64_e32 v[44:45], v[28:29], v[70:71]
	v_fma_f64 v[56:57], -v[28:29], v[72:73], v[56:57]
	v_fmac_f64_e32 v[44:45], v[26:27], v[72:73]
	;; [unrolled: 6-line block ×3, first 2 shown]
	v_cvt_f64_f32_e32 v[26:27], v24
	v_cvt_f64_f32_e32 v[24:25], v25
	v_fmac_f64_e32 v[46:47], v[64:65], v[10:11]
	v_fmac_f64_e32 v[28:29], v[26:27], v[10:11]
	v_fmac_f64_e32 v[44:45], v[24:25], v[10:11]
	v_fmac_f64_e32 v[46:47], v[62:63], v[12:13]
	v_fma_f64 v[22:23], -v[24:25], v[12:13], v[28:29]
	v_fmac_f64_e32 v[44:45], v[26:27], v[12:13]
	global_load_dwordx4 v[24:27], v[50:51], off offset:112
	global_load_dwordx4 v[56:59], v[50:51], off offset:96
	;; [unrolled: 1-line block ×4, first 2 shown]
	s_waitcnt vmcnt(0)
	v_cvt_f64_f32_e32 v[28:29], v66
	v_cvt_f64_f32_e32 v[66:67], v67
	v_fmac_f64_e32 v[60:61], v[28:29], v[74:75]
	v_fmac_f64_e32 v[36:37], v[66:67], v[74:75]
	v_fma_f64 v[60:61], -v[66:67], v[76:77], v[60:61]
	v_fmac_f64_e32 v[36:37], v[28:29], v[76:77]
	v_cvt_f64_f32_e32 v[28:29], v68
	v_cvt_f64_f32_e32 v[66:67], v69
	v_fmac_f64_e32 v[60:61], v[28:29], v[70:71]
	v_fmac_f64_e32 v[36:37], v[66:67], v[70:71]
	v_fma_f64 v[60:61], -v[66:67], v[72:73], v[60:61]
	v_fmac_f64_e32 v[36:37], v[28:29], v[72:73]
	;; [unrolled: 6-line block ×3, first 2 shown]
	v_cvt_f64_f32_e32 v[62:63], v65
	v_cvt_f64_f32_e32 v[28:29], v64
	v_fmac_f64_e32 v[36:37], v[62:63], v[10:11]
	v_fmac_f64_e32 v[60:61], v[28:29], v[10:11]
	;; [unrolled: 1-line block ×3, first 2 shown]
	v_cvt_f64_f32_e32 v[28:29], v56
	v_cvt_f64_f32_e32 v[56:57], v57
	v_fmac_f64_e32 v[18:19], v[28:29], v[74:75]
	v_fmac_f64_e32 v[34:35], v[56:57], v[74:75]
	v_fma_f64 v[18:19], -v[56:57], v[76:77], v[18:19]
	v_fmac_f64_e32 v[34:35], v[28:29], v[76:77]
	v_cvt_f64_f32_e32 v[28:29], v58
	v_cvt_f64_f32_e32 v[56:57], v59
	v_fmac_f64_e32 v[18:19], v[28:29], v[70:71]
	v_fmac_f64_e32 v[34:35], v[56:57], v[70:71]
	v_fma_f64 v[18:19], -v[56:57], v[72:73], v[18:19]
	v_fmac_f64_e32 v[34:35], v[28:29], v[72:73]
	;; [unrolled: 6-line block ×3, first 2 shown]
	v_cvt_f64_f32_e32 v[14:15], v26
	v_cvt_f64_f32_e32 v[16:17], v27
	v_fmac_f64_e32 v[18:19], v[14:15], v[10:11]
	v_fmac_f64_e32 v[34:35], v[16:17], v[10:11]
	global_load_dwordx2 v[10:11], v[54:55], off offset:-256
	v_fma_f64 v[78:79], -v[62:63], v[12:13], v[60:61]
	v_fma_f64 v[76:77], -v[16:17], v[12:13], v[18:19]
	v_fmac_f64_e32 v[34:35], v[14:15], v[12:13]
	s_waitcnt vmcnt(0)
	v_sub_co_u32_e32 v28, vcc, v10, v32
	s_nop 1
	v_subb_co_u32_e32 v29, vcc, v11, v33, vcc
	v_add_co_u32_e32 v10, vcc, s26, v50
	v_lshlrev_b64 v[28:29], 6, v[28:29]
	s_nop 0
	v_addc_co_u32_e32 v11, vcc, 0, v51, vcc
	v_lshl_add_u64 v[28:29], s[4:5], 0, v[28:29]
	global_load_dwordx4 v[12:15], v[10:11], off offset:-4096
	global_load_dwordx4 v[16:19], v[80:81], off offset:48
	global_load_dwordx4 v[24:27], v[80:81], off offset:32
	;; [unrolled: 1-line block ×6, first 2 shown]
	global_load_dwordx4 v[72:75], v[28:29], off
	s_waitcnt vmcnt(7)
	v_cvt_f64_f32_e32 v[82:83], v12
	v_cvt_f64_f32_e32 v[12:13], v13
	s_waitcnt vmcnt(4)
	v_cvt_f64_f32_e32 v[28:29], v59
	s_waitcnt vmcnt(0)
	v_fmac_f64_e32 v[20:21], v[82:83], v[72:73]
	v_fmac_f64_e32 v[46:47], v[12:13], v[72:73]
	v_fma_f64 v[20:21], -v[12:13], v[74:75], v[20:21]
	v_fmac_f64_e32 v[46:47], v[82:83], v[74:75]
	v_cvt_f64_f32_e32 v[12:13], v14
	v_cvt_f64_f32_e32 v[14:15], v15
	v_fmac_f64_e32 v[20:21], v[12:13], v[68:69]
	v_fmac_f64_e32 v[46:47], v[14:15], v[68:69]
	v_fma_f64 v[20:21], -v[14:15], v[70:71], v[20:21]
	v_fmac_f64_e32 v[46:47], v[12:13], v[70:71]
	v_cvt_f64_f32_e32 v[12:13], v56
	v_cvt_f64_f32_e32 v[14:15], v57
	v_fmac_f64_e32 v[20:21], v[12:13], v[64:65]
	v_fmac_f64_e32 v[46:47], v[14:15], v[64:65]
	v_fma_f64 v[20:21], -v[14:15], v[66:67], v[20:21]
	v_fmac_f64_e32 v[46:47], v[12:13], v[66:67]
	v_cvt_f64_f32_e32 v[14:15], v58
	v_fmac_f64_e32 v[20:21], v[14:15], v[60:61]
	v_fmac_f64_e32 v[46:47], v[28:29], v[60:61]
	v_fma_f64 v[12:13], -v[28:29], v[62:63], v[20:21]
	v_fmac_f64_e32 v[46:47], v[14:15], v[62:63]
	v_cvt_f64_f32_e32 v[14:15], v24
	v_cvt_f64_f32_e32 v[20:21], v25
	v_fmac_f64_e32 v[22:23], v[14:15], v[72:73]
	v_fmac_f64_e32 v[44:45], v[20:21], v[72:73]
	v_fma_f64 v[22:23], -v[20:21], v[74:75], v[22:23]
	v_fmac_f64_e32 v[44:45], v[14:15], v[74:75]
	v_cvt_f64_f32_e32 v[14:15], v26
	;; [unrolled: 6-line block ×3, first 2 shown]
	v_cvt_f64_f32_e32 v[16:17], v17
	v_fmac_f64_e32 v[22:23], v[14:15], v[64:65]
	v_fma_f64 v[20:21], -v[16:17], v[66:67], v[22:23]
	v_fmac_f64_e32 v[44:45], v[16:17], v[64:65]
	v_cvt_f64_f32_e32 v[16:17], v18
	v_fmac_f64_e32 v[44:45], v[14:15], v[66:67]
	v_cvt_f64_f32_e32 v[18:19], v19
	v_fmac_f64_e32 v[20:21], v[16:17], v[60:61]
	v_fma_f64 v[14:15], -v[18:19], v[62:63], v[20:21]
	v_fmac_f64_e32 v[44:45], v[18:19], v[60:61]
	global_load_dwordx4 v[18:21], v[80:81], off offset:112
	global_load_dwordx4 v[22:25], v[80:81], off offset:96
	;; [unrolled: 1-line block ×4, first 2 shown]
	v_fmac_f64_e32 v[44:45], v[16:17], v[62:63]
	v_lshl_add_u64 v[80:81], v[50:51], 0, s[16:17]
	s_waitcnt vmcnt(0)
	v_cvt_f64_f32_e32 v[16:17], v56
	v_cvt_f64_f32_e32 v[56:57], v57
	v_fmac_f64_e32 v[78:79], v[16:17], v[72:73]
	v_fmac_f64_e32 v[36:37], v[56:57], v[72:73]
	v_fma_f64 v[78:79], -v[56:57], v[74:75], v[78:79]
	v_fmac_f64_e32 v[36:37], v[16:17], v[74:75]
	v_cvt_f64_f32_e32 v[16:17], v58
	v_cvt_f64_f32_e32 v[56:57], v59
	v_fmac_f64_e32 v[78:79], v[16:17], v[68:69]
	v_fmac_f64_e32 v[36:37], v[56:57], v[68:69]
	v_fma_f64 v[58:59], -v[56:57], v[70:71], v[78:79]
	v_fmac_f64_e32 v[36:37], v[16:17], v[70:71]
	;; [unrolled: 6-line block ×3, first 2 shown]
	v_cvt_f64_f32_e32 v[26:27], v28
	v_cvt_f64_f32_e32 v[28:29], v29
	v_fmac_f64_e32 v[36:37], v[28:29], v[60:61]
	v_fmac_f64_e32 v[56:57], v[26:27], v[60:61]
	v_fmac_f64_e32 v[36:37], v[26:27], v[62:63]
	v_cvt_f64_f32_e32 v[26:27], v22
	v_cvt_f64_f32_e32 v[22:23], v23
	v_fmac_f64_e32 v[76:77], v[26:27], v[72:73]
	v_fmac_f64_e32 v[34:35], v[22:23], v[72:73]
	v_fma_f64 v[16:17], -v[28:29], v[62:63], v[56:57]
	v_fma_f64 v[28:29], -v[22:23], v[74:75], v[76:77]
	v_fmac_f64_e32 v[34:35], v[26:27], v[74:75]
	v_cvt_f64_f32_e32 v[22:23], v24
	v_cvt_f64_f32_e32 v[24:25], v25
	v_fmac_f64_e32 v[28:29], v[22:23], v[68:69]
	v_fmac_f64_e32 v[34:35], v[24:25], v[68:69]
	v_fma_f64 v[26:27], -v[24:25], v[70:71], v[28:29]
	v_fmac_f64_e32 v[34:35], v[22:23], v[70:71]
	v_cvt_f64_f32_e32 v[22:23], v18
	v_cvt_f64_f32_e32 v[18:19], v19
	v_fmac_f64_e32 v[26:27], v[22:23], v[64:65]
	v_fmac_f64_e32 v[34:35], v[18:19], v[64:65]
	v_fma_f64 v[24:25], -v[18:19], v[66:67], v[26:27]
	v_fmac_f64_e32 v[34:35], v[22:23], v[66:67]
	v_cvt_f64_f32_e32 v[22:23], v20
	v_cvt_f64_f32_e32 v[20:21], v21
	v_fmac_f64_e32 v[24:25], v[22:23], v[60:61]
	v_fma_f64 v[18:19], -v[20:21], v[62:63], v[24:25]
	v_fmac_f64_e32 v[34:35], v[20:21], v[60:61]
	global_load_dwordx2 v[20:21], v[54:55], off
	v_fmac_f64_e32 v[34:35], v[22:23], v[62:63]
	s_waitcnt vmcnt(0)
	v_sub_co_u32_e32 v28, vcc, v20, v32
	s_nop 1
	v_subb_co_u32_e32 v29, vcc, v21, v33, vcc
	v_lshlrev_b64 v[28:29], 6, v[28:29]
	v_lshl_add_u64 v[28:29], s[4:5], 0, v[28:29]
	global_load_dwordx4 v[20:23], v[10:11], off
	global_load_dwordx4 v[56:59], v[80:81], off offset:48
	global_load_dwordx4 v[60:63], v[80:81], off offset:32
	;; [unrolled: 1-line block ×6, first 2 shown]
	global_load_dwordx4 v[76:79], v[28:29], off
	s_waitcnt vmcnt(7)
	v_cvt_f64_f32_e32 v[10:11], v20
	v_cvt_f64_f32_e32 v[20:21], v21
	s_waitcnt vmcnt(0)
	v_fmac_f64_e32 v[12:13], v[10:11], v[76:77]
	v_fmac_f64_e32 v[46:47], v[20:21], v[76:77]
	v_fma_f64 v[12:13], -v[20:21], v[78:79], v[12:13]
	v_fmac_f64_e32 v[46:47], v[10:11], v[78:79]
	v_cvt_f64_f32_e32 v[10:11], v22
	v_cvt_f64_f32_e32 v[20:21], v23
	v_fmac_f64_e32 v[12:13], v[10:11], v[72:73]
	v_fmac_f64_e32 v[46:47], v[20:21], v[72:73]
	v_fma_f64 v[12:13], -v[20:21], v[74:75], v[12:13]
	v_fmac_f64_e32 v[46:47], v[10:11], v[74:75]
	v_cvt_f64_f32_e32 v[10:11], v24
	v_cvt_f64_f32_e32 v[20:21], v25
	;; [unrolled: 6-line block ×7, first 2 shown]
	v_fmac_f64_e32 v[14:15], v[10:11], v[64:65]
	v_fmac_f64_e32 v[44:45], v[12:13], v[64:65]
	v_fma_f64 v[28:29], -v[12:13], v[66:67], v[14:15]
	v_fmac_f64_e32 v[44:45], v[10:11], v[66:67]
	global_load_dwordx4 v[10:13], v[80:81], off offset:112
	global_load_dwordx4 v[20:23], v[80:81], off offset:96
	;; [unrolled: 1-line block ×4, first 2 shown]
	s_waitcnt vmcnt(0)
	v_cvt_f64_f32_e32 v[14:15], v60
	v_cvt_f64_f32_e32 v[24:25], v61
	v_fmac_f64_e32 v[16:17], v[14:15], v[76:77]
	v_fmac_f64_e32 v[36:37], v[24:25], v[76:77]
	v_fma_f64 v[16:17], -v[24:25], v[78:79], v[16:17]
	v_fmac_f64_e32 v[36:37], v[14:15], v[78:79]
	v_cvt_f64_f32_e32 v[14:15], v62
	v_cvt_f64_f32_e32 v[24:25], v63
	v_fmac_f64_e32 v[16:17], v[14:15], v[72:73]
	v_fmac_f64_e32 v[36:37], v[24:25], v[72:73]
	v_fma_f64 v[16:17], -v[24:25], v[74:75], v[16:17]
	v_fmac_f64_e32 v[36:37], v[14:15], v[74:75]
	;; [unrolled: 6-line block ×7, first 2 shown]
	v_cvt_f64_f32_e32 v[10:11], v12
	v_cvt_f64_f32_e32 v[12:13], v13
	v_fmac_f64_e32 v[34:35], v[12:13], v[64:65]
	v_fmac_f64_e32 v[16:17], v[10:11], v[64:65]
	;; [unrolled: 1-line block ×3, first 2 shown]
	global_load_dwordx2 v[10:11], v[54:55], off offset:256
	v_fma_f64 v[62:63], -v[12:13], v[66:67], v[16:17]
	v_lshl_add_u64 v[64:65], v[50:51], 0, s[18:19]
	v_lshl_add_u64 v[54:55], v[54:55], 0, s[22:23]
	s_waitcnt vmcnt(0)
	v_sub_co_u32_e32 v10, vcc, v10, v32
	s_nop 1
	v_subb_co_u32_e32 v11, vcc, v11, v33, vcc
	v_add_co_u32_e32 v12, vcc, s27, v50
	v_lshlrev_b64 v[10:11], 6, v[10:11]
	s_nop 0
	v_addc_co_u32_e32 v13, vcc, 0, v51, vcc
	v_lshl_add_u64 v[80:81], s[4:5], 0, v[10:11]
	global_load_dwordx4 v[56:59], v[12:13], off
	global_load_dwordx4 v[66:69], v[64:65], off offset:48
	global_load_dwordx4 v[70:73], v[64:65], off offset:32
	;; [unrolled: 1-line block ×3, first 2 shown]
	s_nop 0
	global_load_dwordx4 v[10:13], v[80:81], off offset:48
	global_load_dwordx4 v[14:17], v[80:81], off offset:32
	;; [unrolled: 1-line block ×3, first 2 shown]
	global_load_dwordx4 v[22:25], v[80:81], off
	v_cmp_ge_i64_e32 vcc, v[52:53], v[40:41]
	v_lshl_add_u64 v[50:51], v[50:51], 0, s[24:25]
	s_or_b64 s[12:13], vcc, s[12:13]
	s_waitcnt vmcnt(7)
	v_cvt_f64_f32_e32 v[78:79], v56
	v_cvt_f64_f32_e32 v[56:57], v57
	s_waitcnt vmcnt(0)
	v_fmac_f64_e32 v[26:27], v[78:79], v[22:23]
	v_fmac_f64_e32 v[46:47], v[56:57], v[22:23]
	v_fma_f64 v[26:27], -v[56:57], v[24:25], v[26:27]
	v_fmac_f64_e32 v[46:47], v[78:79], v[24:25]
	v_cvt_f64_f32_e32 v[56:57], v58
	v_cvt_f64_f32_e32 v[58:59], v59
	v_fmac_f64_e32 v[26:27], v[56:57], v[18:19]
	v_fmac_f64_e32 v[46:47], v[58:59], v[18:19]
	v_fma_f64 v[26:27], -v[58:59], v[20:21], v[26:27]
	v_fmac_f64_e32 v[46:47], v[56:57], v[20:21]
	v_cvt_f64_f32_e32 v[56:57], v74
	v_cvt_f64_f32_e32 v[58:59], v75
	;; [unrolled: 6-line block ×7, first 2 shown]
	v_fmac_f64_e32 v[28:29], v[26:27], v[10:11]
	v_fmac_f64_e32 v[44:45], v[66:67], v[10:11]
	v_fma_f64 v[56:57], -v[66:67], v[12:13], v[28:29]
	v_fmac_f64_e32 v[44:45], v[26:27], v[12:13]
	global_load_dwordx4 v[26:29], v[64:65], off offset:112
	global_load_dwordx4 v[66:69], v[64:65], off offset:96
	;; [unrolled: 1-line block ×4, first 2 shown]
	s_waitcnt vmcnt(0)
	v_cvt_f64_f32_e32 v[64:65], v74
	v_cvt_f64_f32_e32 v[74:75], v75
	v_fmac_f64_e32 v[60:61], v[64:65], v[22:23]
	v_fmac_f64_e32 v[36:37], v[74:75], v[22:23]
	v_fma_f64 v[60:61], -v[74:75], v[24:25], v[60:61]
	v_fmac_f64_e32 v[36:37], v[64:65], v[24:25]
	v_cvt_f64_f32_e32 v[64:65], v76
	v_cvt_f64_f32_e32 v[74:75], v77
	v_fmac_f64_e32 v[60:61], v[64:65], v[18:19]
	v_fmac_f64_e32 v[36:37], v[74:75], v[18:19]
	v_fma_f64 v[60:61], -v[74:75], v[20:21], v[60:61]
	v_fmac_f64_e32 v[36:37], v[64:65], v[20:21]
	;; [unrolled: 6-line block ×3, first 2 shown]
	v_cvt_f64_f32_e32 v[70:71], v73
	v_cvt_f64_f32_e32 v[64:65], v72
	v_fmac_f64_e32 v[36:37], v[70:71], v[10:11]
	v_fmac_f64_e32 v[60:61], v[64:65], v[10:11]
	;; [unrolled: 1-line block ×3, first 2 shown]
	v_cvt_f64_f32_e32 v[64:65], v66
	v_cvt_f64_f32_e32 v[66:67], v67
	v_fmac_f64_e32 v[62:63], v[64:65], v[22:23]
	v_fmac_f64_e32 v[34:35], v[66:67], v[22:23]
	v_fma_f64 v[62:63], -v[66:67], v[24:25], v[62:63]
	v_fmac_f64_e32 v[34:35], v[64:65], v[24:25]
	v_cvt_f64_f32_e32 v[22:23], v68
	v_cvt_f64_f32_e32 v[24:25], v69
	v_fmac_f64_e32 v[62:63], v[22:23], v[18:19]
	v_fmac_f64_e32 v[34:35], v[24:25], v[18:19]
	v_fma_f64 v[62:63], -v[24:25], v[20:21], v[62:63]
	v_fmac_f64_e32 v[34:35], v[22:23], v[20:21]
	;; [unrolled: 6-line block ×3, first 2 shown]
	v_cvt_f64_f32_e32 v[14:15], v28
	v_cvt_f64_f32_e32 v[16:17], v29
	v_fmac_f64_e32 v[22:23], v[14:15], v[10:11]
	v_fmac_f64_e32 v[34:35], v[16:17], v[10:11]
	v_fma_f64 v[60:61], -v[70:71], v[12:13], v[60:61]
	v_fma_f64 v[18:19], -v[16:17], v[12:13], v[22:23]
	v_fmac_f64_e32 v[34:35], v[14:15], v[12:13]
	s_andn2_b64 exec, exec, s[12:13]
	s_cbranch_execnz .LBB178_21
; %bb.22:
	s_or_b64 exec, exec, s[12:13]
.LBB178_23:
	s_or_b64 exec, exec, s[10:11]
.LBB178_24:
	s_or_b64 exec, exec, s[6:7]
	s_cbranch_execz .LBB178_26
	s_branch .LBB178_37
.LBB178_25:
                                        ; implicit-def: $vgpr46_vgpr47
                                        ; implicit-def: $vgpr58_vgpr59
                                        ; implicit-def: $vgpr44_vgpr45
                                        ; implicit-def: $vgpr56_vgpr57
                                        ; implicit-def: $vgpr36_vgpr37
                                        ; implicit-def: $vgpr60_vgpr61
                                        ; implicit-def: $vgpr34_vgpr35
                                        ; implicit-def: $vgpr18_vgpr19
.LBB178_26:
	v_mov_b64_e32 v[46:47], 0
	v_mov_b64_e32 v[58:59], 0
	;; [unrolled: 1-line block ×8, first 2 shown]
	s_and_saveexec_b64 s[6:7], s[2:3]
	s_cbranch_execz .LBB178_36
; %bb.27:
	v_or_b32_e32 v1, 32, v0
	v_sub_co_u32_e32 v10, vcc, v1, v32
	v_not_b32_e32 v13, v49
	s_nop 0
	v_subb_co_u32_e32 v11, vcc, 0, v33, vcc
	v_lshl_add_u64 v[10:11], v[10:11], 0, v[48:49]
	v_cmp_gt_i64_e32 vcc, v[10:11], v[40:41]
	v_not_b32_e32 v12, v48
	s_mov_b64 s[2:3], 0x60
	v_cndmask_b32_e32 v11, v41, v11, vcc
	v_cndmask_b32_e32 v10, v40, v10, vcc
	v_sub_co_u32_e32 v14, vcc, v32, v0
	v_mov_b64_e32 v[18:19], 0
	s_nop 0
	v_subbrev_co_u32_e32 v15, vcc, 0, v33, vcc
	v_lshl_add_u64 v[12:13], v[14:15], 0, v[12:13]
	v_lshl_add_u64 v[10:11], v[12:13], 0, v[10:11]
	v_and_b32_e32 v12, 0x60, v10
	v_mov_b32_e32 v13, 0
	v_cmp_ne_u64_e32 vcc, s[2:3], v[12:13]
	v_mov_b64_e32 v[34:35], 0
	v_mov_b64_e32 v[60:61], 0
	;; [unrolled: 1-line block ×7, first 2 shown]
	s_and_saveexec_b64 s[2:3], vcc
	s_cbranch_execz .LBB178_31
; %bb.28:
	v_lshrrev_b32_e32 v1, 5, v10
	v_add_u32_e32 v1, 1, v1
	v_and_b32_e32 v1, 3, v1
	v_sub_co_u32_e32 v14, vcc, 0, v1
	v_lshl_add_u64 v[12:13], v[38:39], 3, s[8:9]
	s_nop 0
	v_subb_co_u32_e64 v15, s[12:13], 0, 0, vcc
	s_mov_b64 s[10:11], 0
	v_mov_b64_e32 v[46:47], 0
	s_mov_b64 s[12:13], 0x1000
	s_mov_b64 s[14:15], 0x100
	v_mov_b64_e32 v[58:59], 0
	v_mov_b64_e32 v[44:45], 0
	;; [unrolled: 1-line block ×7, first 2 shown]
.LBB178_29:                             ; =>This Inner Loop Header: Depth=1
	global_load_dwordx2 v[16:17], v[12:13], off
	global_load_dwordx4 v[20:23], v[42:43], off
	global_load_dwordx4 v[24:27], v[42:43], off offset:16
	global_load_dwordx4 v[48:51], v[42:43], off offset:32
	global_load_dwordx4 v[52:55], v[42:43], off offset:48
	global_load_dwordx4 v[62:65], v[42:43], off offset:64
	global_load_dwordx4 v[66:69], v[42:43], off offset:80
	global_load_dwordx4 v[70:73], v[42:43], off offset:96
	global_load_dwordx4 v[74:77], v[42:43], off offset:112
	v_lshl_add_u64 v[14:15], v[14:15], 0, 1
	v_cmp_eq_u64_e32 vcc, 0, v[14:15]
	s_or_b64 s[10:11], vcc, s[10:11]
	v_lshl_add_u64 v[42:43], v[42:43], 0, s[12:13]
	v_lshl_add_u64 v[38:39], v[38:39], 0, 32
	;; [unrolled: 1-line block ×3, first 2 shown]
	s_waitcnt vmcnt(8)
	v_sub_co_u32_e32 v16, vcc, v16, v32
	s_nop 1
	v_subb_co_u32_e32 v17, vcc, v17, v33, vcc
	v_lshlrev_b64 v[16:17], 6, v[16:17]
	v_lshl_add_u64 v[16:17], s[4:5], 0, v[16:17]
	s_waitcnt vmcnt(7)
	v_cvt_f64_f32_e32 v[28:29], v20
	v_cvt_f64_f32_e32 v[82:83], v21
	v_cvt_f64_f32_e32 v[84:85], v22
	v_cvt_f64_f32_e32 v[86:87], v23
	s_waitcnt vmcnt(6)
	v_cvt_f64_f32_e32 v[88:89], v24
	v_cvt_f64_f32_e32 v[90:91], v25
	v_cvt_f64_f32_e32 v[92:93], v26
	v_cvt_f64_f32_e32 v[94:95], v27
	;; [unrolled: 5-line block ×3, first 2 shown]
	global_load_dwordx4 v[20:23], v[16:17], off
	global_load_dwordx4 v[24:27], v[16:17], off offset:16
	global_load_dwordx4 v[48:51], v[16:17], off offset:32
	;; [unrolled: 1-line block ×3, first 2 shown]
	s_waitcnt vmcnt(8)
	v_cvt_f64_f32_e32 v[104:105], v52
	v_cvt_f64_f32_e32 v[52:53], v53
	v_cvt_f64_f32_e32 v[106:107], v54
	v_cvt_f64_f32_e32 v[16:17], v55
	s_waitcnt vmcnt(7)
	v_cvt_f64_f32_e32 v[54:55], v62
	v_cvt_f64_f32_e32 v[62:63], v63
	v_cvt_f64_f32_e32 v[108:109], v64
	v_cvt_f64_f32_e32 v[64:65], v65
	;; [unrolled: 5-line block ×5, first 2 shown]
	s_waitcnt vmcnt(3)
	v_fmac_f64_e32 v[58:59], v[28:29], v[20:21]
	v_fmac_f64_e32 v[46:47], v[82:83], v[20:21]
	v_fmac_f64_e32 v[56:57], v[84:85], v[20:21]
	v_fmac_f64_e32 v[44:45], v[86:87], v[20:21]
	v_fmac_f64_e32 v[60:61], v[88:89], v[20:21]
	v_fmac_f64_e32 v[36:37], v[90:91], v[20:21]
	v_fmac_f64_e32 v[18:19], v[92:93], v[20:21]
	v_fmac_f64_e32 v[34:35], v[94:95], v[20:21]
	v_fma_f64 v[20:21], -v[82:83], v[22:23], v[58:59]
	v_fmac_f64_e32 v[46:47], v[28:29], v[22:23]
	v_fma_f64 v[28:29], -v[86:87], v[22:23], v[56:57]
	v_fmac_f64_e32 v[44:45], v[84:85], v[22:23]
	v_fma_f64 v[56:57], -v[90:91], v[22:23], v[60:61]
	v_fmac_f64_e32 v[36:37], v[88:89], v[22:23]
	v_fma_f64 v[18:19], -v[94:95], v[22:23], v[18:19]
	v_fmac_f64_e32 v[34:35], v[92:93], v[22:23]
	s_waitcnt vmcnt(2)
	v_fmac_f64_e32 v[20:21], v[96:97], v[24:25]
	v_fmac_f64_e32 v[46:47], v[98:99], v[24:25]
	v_fmac_f64_e32 v[28:29], v[100:101], v[24:25]
	v_fmac_f64_e32 v[44:45], v[102:103], v[24:25]
	v_fmac_f64_e32 v[56:57], v[104:105], v[24:25]
	v_fmac_f64_e32 v[36:37], v[52:53], v[24:25]
	v_fmac_f64_e32 v[18:19], v[106:107], v[24:25]
	v_fmac_f64_e32 v[34:35], v[16:17], v[24:25]
	v_fma_f64 v[20:21], -v[98:99], v[26:27], v[20:21]
	v_fmac_f64_e32 v[46:47], v[96:97], v[26:27]
	v_fma_f64 v[22:23], -v[102:103], v[26:27], v[28:29]
	v_fmac_f64_e32 v[44:45], v[100:101], v[26:27]
	v_fma_f64 v[24:25], -v[52:53], v[26:27], v[56:57]
	v_fmac_f64_e32 v[36:37], v[104:105], v[26:27]
	v_fma_f64 v[16:17], -v[16:17], v[26:27], v[18:19]
	v_fmac_f64_e32 v[34:35], v[106:107], v[26:27]
	;; [unrolled: 17-line block ×4, first 2 shown]
	s_andn2_b64 exec, exec, s[10:11]
	s_cbranch_execnz .LBB178_29
; %bb.30:
	s_or_b64 exec, exec, s[10:11]
.LBB178_31:
	s_or_b64 exec, exec, s[2:3]
	s_mov_b64 s[2:3], 0x5f
	v_cmp_lt_u64_e32 vcc, s[2:3], v[10:11]
	s_and_saveexec_b64 s[2:3], vcc
	s_cbranch_execz .LBB178_35
; %bb.32:
	v_lshl_add_u64 v[10:11], v[38:39], 3, s[8:9]
	s_mov_b64 s[8:9], 0x200
	v_lshl_add_u64 v[22:23], v[10:11], 0, s[8:9]
	s_mov_b64 s[8:9], 0
	s_mov_b64 s[10:11], 0x1000
	;; [unrolled: 1-line block ×3, first 2 shown]
	s_movk_i32 s22, 0x2000
	s_mov_b64 s[14:15], 0x3000
	s_movk_i32 s23, 0x3000
	s_mov_b64 s[16:17], 0x80
	s_mov_b64 s[18:19], 0x400
	;; [unrolled: 1-line block ×3, first 2 shown]
.LBB178_33:                             ; =>This Inner Loop Header: Depth=1
	global_load_dwordx2 v[10:11], v[22:23], off offset:-512
	global_load_dwordx4 v[14:17], v[42:43], off offset:48
	global_load_dwordx4 v[24:27], v[42:43], off offset:32
	;; [unrolled: 1-line block ×3, first 2 shown]
	global_load_dwordx4 v[52:55], v[42:43], off
	v_lshl_add_u64 v[38:39], v[38:39], 0, s[16:17]
	s_waitcnt vmcnt(4)
	v_sub_co_u32_e32 v10, vcc, v10, v32
	s_nop 1
	v_subb_co_u32_e32 v11, vcc, v11, v33, vcc
	v_lshlrev_b64 v[10:11], 6, v[10:11]
	s_waitcnt vmcnt(0)
	v_cvt_f64_f32_e32 v[20:21], v52
	v_cvt_f64_f32_e32 v[28:29], v53
	v_lshl_add_u64 v[52:53], s[4:5], 0, v[10:11]
	global_load_dwordx4 v[10:13], v[52:53], off offset:48
	global_load_dwordx4 v[62:65], v[52:53], off offset:32
	;; [unrolled: 1-line block ×3, first 2 shown]
	global_load_dwordx4 v[70:73], v[52:53], off
	s_waitcnt vmcnt(0)
	v_fmac_f64_e32 v[58:59], v[20:21], v[70:71]
	v_fma_f64 v[52:53], -v[28:29], v[72:73], v[58:59]
	v_fmac_f64_e32 v[46:47], v[28:29], v[70:71]
	v_cvt_f64_f32_e32 v[28:29], v55
	v_fmac_f64_e32 v[46:47], v[20:21], v[72:73]
	v_cvt_f64_f32_e32 v[20:21], v54
	v_fmac_f64_e32 v[44:45], v[28:29], v[70:71]
	v_fmac_f64_e32 v[56:57], v[20:21], v[70:71]
	;; [unrolled: 1-line block ×3, first 2 shown]
	v_cvt_f64_f32_e32 v[20:21], v48
	v_fma_f64 v[54:55], -v[28:29], v[72:73], v[56:57]
	v_cvt_f64_f32_e32 v[28:29], v49
	v_fmac_f64_e32 v[60:61], v[20:21], v[70:71]
	v_fma_f64 v[48:49], -v[28:29], v[72:73], v[60:61]
	v_fmac_f64_e32 v[36:37], v[28:29], v[70:71]
	v_cvt_f64_f32_e32 v[28:29], v51
	v_fmac_f64_e32 v[36:37], v[20:21], v[72:73]
	v_cvt_f64_f32_e32 v[20:21], v50
	v_fmac_f64_e32 v[34:35], v[28:29], v[70:71]
	v_fmac_f64_e32 v[18:19], v[20:21], v[70:71]
	;; [unrolled: 1-line block ×3, first 2 shown]
	v_cvt_f64_f32_e32 v[20:21], v24
	v_cvt_f64_f32_e32 v[24:25], v25
	v_fmac_f64_e32 v[52:53], v[20:21], v[66:67]
	v_fma_f64 v[18:19], -v[28:29], v[72:73], v[18:19]
	v_fma_f64 v[28:29], -v[24:25], v[68:69], v[52:53]
	v_fmac_f64_e32 v[46:47], v[24:25], v[66:67]
	v_cvt_f64_f32_e32 v[24:25], v27
	v_fmac_f64_e32 v[46:47], v[20:21], v[68:69]
	v_cvt_f64_f32_e32 v[20:21], v26
	v_fmac_f64_e32 v[44:45], v[24:25], v[66:67]
	v_fmac_f64_e32 v[54:55], v[20:21], v[66:67]
	;; [unrolled: 1-line block ×3, first 2 shown]
	v_cvt_f64_f32_e32 v[20:21], v14
	v_cvt_f64_f32_e32 v[14:15], v15
	v_fmac_f64_e32 v[48:49], v[20:21], v[66:67]
	v_fma_f64 v[52:53], -v[24:25], v[68:69], v[54:55]
	v_fma_f64 v[54:55], -v[14:15], v[68:69], v[48:49]
	v_fmac_f64_e32 v[36:37], v[14:15], v[66:67]
	v_cvt_f64_f32_e32 v[14:15], v16
	v_cvt_f64_f32_e32 v[16:17], v17
	v_fmac_f64_e32 v[18:19], v[14:15], v[66:67]
	v_fmac_f64_e32 v[34:35], v[16:17], v[66:67]
	;; [unrolled: 1-line block ×3, first 2 shown]
	v_fma_f64 v[56:57], -v[16:17], v[68:69], v[18:19]
	v_fmac_f64_e32 v[34:35], v[14:15], v[68:69]
	global_load_dwordx4 v[14:17], v[42:43], off offset:112
	global_load_dwordx4 v[18:21], v[42:43], off offset:96
	global_load_dwordx4 v[24:27], v[42:43], off offset:80
	global_load_dwordx4 v[48:51], v[42:43], off offset:64
	v_lshl_add_u64 v[72:73], v[42:43], 0, s[10:11]
	s_waitcnt vmcnt(0)
	v_cvt_f64_f32_e32 v[58:59], v48
	v_cvt_f64_f32_e32 v[48:49], v49
	v_fmac_f64_e32 v[28:29], v[58:59], v[62:63]
	v_fma_f64 v[28:29], -v[48:49], v[64:65], v[28:29]
	v_fmac_f64_e32 v[46:47], v[48:49], v[62:63]
	v_cvt_f64_f32_e32 v[48:49], v50
	v_cvt_f64_f32_e32 v[50:51], v51
	v_fmac_f64_e32 v[44:45], v[50:51], v[62:63]
	v_fmac_f64_e32 v[52:53], v[48:49], v[62:63]
	;; [unrolled: 1-line block ×3, first 2 shown]
	v_cvt_f64_f32_e32 v[48:49], v24
	v_cvt_f64_f32_e32 v[24:25], v25
	v_fmac_f64_e32 v[54:55], v[48:49], v[62:63]
	v_fma_f64 v[52:53], -v[50:51], v[64:65], v[52:53]
	v_fma_f64 v[50:51], -v[24:25], v[64:65], v[54:55]
	v_fmac_f64_e32 v[36:37], v[24:25], v[62:63]
	v_cvt_f64_f32_e32 v[24:25], v26
	v_cvt_f64_f32_e32 v[26:27], v27
	v_fmac_f64_e32 v[34:35], v[26:27], v[62:63]
	v_fmac_f64_e32 v[56:57], v[24:25], v[62:63]
	;; [unrolled: 1-line block ×3, first 2 shown]
	v_cvt_f64_f32_e32 v[24:25], v18
	v_fmac_f64_e32 v[46:47], v[58:59], v[64:65]
	v_cvt_f64_f32_e32 v[18:19], v19
	v_fmac_f64_e32 v[28:29], v[24:25], v[10:11]
	v_fma_f64 v[28:29], -v[18:19], v[12:13], v[28:29]
	v_fmac_f64_e32 v[46:47], v[18:19], v[10:11]
	v_cvt_f64_f32_e32 v[18:19], v20
	v_cvt_f64_f32_e32 v[20:21], v21
	v_fmac_f64_e32 v[44:45], v[20:21], v[10:11]
	v_fmac_f64_e32 v[52:53], v[18:19], v[10:11]
	;; [unrolled: 1-line block ×3, first 2 shown]
	v_cvt_f64_f32_e32 v[18:19], v14
	v_fmac_f64_e32 v[36:37], v[48:49], v[64:65]
	v_cvt_f64_f32_e32 v[14:15], v15
	v_fmac_f64_e32 v[50:51], v[18:19], v[10:11]
	v_fma_f64 v[48:49], -v[26:27], v[64:65], v[56:57]
	v_fma_f64 v[68:69], -v[20:21], v[12:13], v[52:53]
	;; [unrolled: 1-line block ×3, first 2 shown]
	v_fmac_f64_e32 v[36:37], v[14:15], v[10:11]
	v_cvt_f64_f32_e32 v[14:15], v16
	v_cvt_f64_f32_e32 v[16:17], v17
	v_fmac_f64_e32 v[48:49], v[14:15], v[10:11]
	v_fmac_f64_e32 v[34:35], v[16:17], v[10:11]
	global_load_dwordx2 v[10:11], v[22:23], off offset:-256
	v_fmac_f64_e32 v[46:47], v[24:25], v[12:13]
	v_fmac_f64_e32 v[36:37], v[18:19], v[12:13]
	v_fma_f64 v[70:71], -v[16:17], v[12:13], v[48:49]
	v_fmac_f64_e32 v[34:35], v[14:15], v[12:13]
	s_waitcnt vmcnt(0)
	v_sub_co_u32_e32 v52, vcc, v10, v32
	s_nop 1
	v_subb_co_u32_e32 v53, vcc, v11, v33, vcc
	v_add_co_u32_e32 v10, vcc, s22, v42
	v_lshlrev_b64 v[52:53], 6, v[52:53]
	s_nop 0
	v_addc_co_u32_e32 v11, vcc, 0, v43, vcc
	v_lshl_add_u64 v[76:77], s[4:5], 0, v[52:53]
	global_load_dwordx4 v[12:15], v[10:11], off offset:-4096
	global_load_dwordx4 v[16:19], v[72:73], off offset:48
	global_load_dwordx4 v[24:27], v[72:73], off offset:32
	;; [unrolled: 1-line block ×6, first 2 shown]
	global_load_dwordx4 v[64:67], v[76:77], off
	s_waitcnt vmcnt(7)
	v_cvt_f64_f32_e32 v[74:75], v12
	v_cvt_f64_f32_e32 v[12:13], v13
	s_waitcnt vmcnt(0)
	v_fmac_f64_e32 v[28:29], v[74:75], v[64:65]
	v_fma_f64 v[28:29], -v[12:13], v[66:67], v[28:29]
	v_fmac_f64_e32 v[46:47], v[12:13], v[64:65]
	v_cvt_f64_f32_e32 v[12:13], v14
	v_cvt_f64_f32_e32 v[14:15], v15
	v_fmac_f64_e32 v[68:69], v[12:13], v[64:65]
	v_fmac_f64_e32 v[44:45], v[14:15], v[64:65]
	v_fma_f64 v[68:69], -v[14:15], v[66:67], v[68:69]
	v_fmac_f64_e32 v[44:45], v[12:13], v[66:67]
	v_cvt_f64_f32_e32 v[12:13], v48
	v_cvt_f64_f32_e32 v[14:15], v49
	v_fmac_f64_e32 v[20:21], v[12:13], v[64:65]
	;; [unrolled: 6-line block ×3, first 2 shown]
	v_fmac_f64_e32 v[34:35], v[14:15], v[64:65]
	v_fmac_f64_e32 v[46:47], v[74:75], v[66:67]
	v_fma_f64 v[48:49], -v[14:15], v[66:67], v[70:71]
	v_fmac_f64_e32 v[34:35], v[12:13], v[66:67]
	v_cvt_f64_f32_e32 v[12:13], v24
	v_cvt_f64_f32_e32 v[14:15], v25
	v_fmac_f64_e32 v[28:29], v[12:13], v[60:61]
	v_fmac_f64_e32 v[46:47], v[14:15], v[60:61]
	v_fma_f64 v[28:29], -v[14:15], v[62:63], v[28:29]
	v_fmac_f64_e32 v[46:47], v[12:13], v[62:63]
	v_cvt_f64_f32_e32 v[12:13], v26
	v_cvt_f64_f32_e32 v[14:15], v27
	;; [unrolled: 6-line block ×4, first 2 shown]
	v_fmac_f64_e32 v[48:49], v[12:13], v[60:61]
	v_fmac_f64_e32 v[34:35], v[14:15], v[60:61]
	v_fma_f64 v[66:67], -v[14:15], v[62:63], v[48:49]
	v_fmac_f64_e32 v[34:35], v[12:13], v[62:63]
	global_load_dwordx4 v[16:19], v[72:73], off offset:112
	global_load_dwordx4 v[12:15], v[72:73], off offset:96
	;; [unrolled: 1-line block ×4, first 2 shown]
	s_waitcnt vmcnt(0)
	v_cvt_f64_f32_e32 v[60:61], v48
	v_cvt_f64_f32_e32 v[48:49], v49
	v_fmac_f64_e32 v[28:29], v[60:61], v[56:57]
	v_fma_f64 v[28:29], -v[48:49], v[58:59], v[28:29]
	v_fmac_f64_e32 v[46:47], v[48:49], v[56:57]
	v_cvt_f64_f32_e32 v[48:49], v50
	v_cvt_f64_f32_e32 v[50:51], v51
	v_fmac_f64_e32 v[44:45], v[50:51], v[56:57]
	v_fmac_f64_e32 v[64:65], v[48:49], v[56:57]
	;; [unrolled: 1-line block ×3, first 2 shown]
	v_cvt_f64_f32_e32 v[48:49], v24
	v_cvt_f64_f32_e32 v[24:25], v25
	v_fmac_f64_e32 v[20:21], v[48:49], v[56:57]
	v_fma_f64 v[20:21], -v[24:25], v[58:59], v[20:21]
	v_fmac_f64_e32 v[36:37], v[24:25], v[56:57]
	v_cvt_f64_f32_e32 v[24:25], v26
	v_cvt_f64_f32_e32 v[26:27], v27
	v_fmac_f64_e32 v[66:67], v[24:25], v[56:57]
	v_fmac_f64_e32 v[46:47], v[60:61], v[58:59]
	;; [unrolled: 1-line block ×3, first 2 shown]
	v_fma_f64 v[48:49], -v[26:27], v[58:59], v[66:67]
	v_fmac_f64_e32 v[34:35], v[26:27], v[56:57]
	v_cvt_f64_f32_e32 v[26:27], v13
	v_fmac_f64_e32 v[34:35], v[24:25], v[58:59]
	v_cvt_f64_f32_e32 v[24:25], v12
	v_fmac_f64_e32 v[46:47], v[26:27], v[52:53]
	v_fma_f64 v[60:61], -v[50:51], v[58:59], v[64:65]
	v_fmac_f64_e32 v[28:29], v[24:25], v[52:53]
	v_fmac_f64_e32 v[46:47], v[24:25], v[54:55]
	v_cvt_f64_f32_e32 v[24:25], v14
	v_fma_f64 v[12:13], -v[26:27], v[54:55], v[28:29]
	v_cvt_f64_f32_e32 v[26:27], v15
	v_fmac_f64_e32 v[60:61], v[24:25], v[52:53]
	v_fma_f64 v[14:15], -v[26:27], v[54:55], v[60:61]
	v_fmac_f64_e32 v[44:45], v[26:27], v[52:53]
	v_cvt_f64_f32_e32 v[26:27], v17
	v_fmac_f64_e32 v[44:45], v[24:25], v[54:55]
	v_cvt_f64_f32_e32 v[24:25], v16
	v_fmac_f64_e32 v[36:37], v[26:27], v[52:53]
	v_fmac_f64_e32 v[20:21], v[24:25], v[52:53]
	;; [unrolled: 1-line block ×3, first 2 shown]
	v_cvt_f64_f32_e32 v[24:25], v19
	v_fma_f64 v[16:17], -v[26:27], v[54:55], v[20:21]
	v_cvt_f64_f32_e32 v[20:21], v18
	v_fmac_f64_e32 v[34:35], v[24:25], v[52:53]
	v_fmac_f64_e32 v[48:49], v[20:21], v[52:53]
	;; [unrolled: 1-line block ×3, first 2 shown]
	global_load_dwordx2 v[20:21], v[22:23], off
	v_fma_f64 v[18:19], -v[24:25], v[54:55], v[48:49]
	v_lshl_add_u64 v[28:29], v[42:43], 0, s[12:13]
	global_load_dwordx4 v[24:27], v[10:11], off
	global_load_dwordx4 v[48:51], v[28:29], off offset:48
	global_load_dwordx4 v[52:55], v[28:29], off offset:32
	;; [unrolled: 1-line block ×3, first 2 shown]
	s_waitcnt vmcnt(4)
	v_sub_co_u32_e32 v20, vcc, v20, v32
	s_nop 1
	v_subb_co_u32_e32 v21, vcc, v21, v33, vcc
	v_lshlrev_b64 v[20:21], 6, v[20:21]
	v_lshl_add_u64 v[20:21], s[4:5], 0, v[20:21]
	global_load_dwordx4 v[60:63], v[20:21], off offset:48
	global_load_dwordx4 v[64:67], v[20:21], off offset:32
	;; [unrolled: 1-line block ×3, first 2 shown]
	global_load_dwordx4 v[72:75], v[20:21], off
	s_waitcnt vmcnt(7)
	v_cvt_f64_f32_e32 v[10:11], v24
	v_cvt_f64_f32_e32 v[24:25], v25
	;; [unrolled: 1-line block ×3, first 2 shown]
	s_waitcnt vmcnt(0)
	v_fmac_f64_e32 v[46:47], v[24:25], v[72:73]
	v_fmac_f64_e32 v[12:13], v[10:11], v[72:73]
	;; [unrolled: 1-line block ×3, first 2 shown]
	v_cvt_f64_f32_e32 v[10:11], v26
	v_fmac_f64_e32 v[14:15], v[10:11], v[72:73]
	v_fmac_f64_e32 v[44:45], v[20:21], v[72:73]
	v_fma_f64 v[14:15], -v[20:21], v[74:75], v[14:15]
	v_fmac_f64_e32 v[44:45], v[10:11], v[74:75]
	v_cvt_f64_f32_e32 v[10:11], v56
	v_cvt_f64_f32_e32 v[20:21], v57
	v_fmac_f64_e32 v[16:17], v[10:11], v[72:73]
	v_fmac_f64_e32 v[36:37], v[20:21], v[72:73]
	v_fma_f64 v[16:17], -v[20:21], v[74:75], v[16:17]
	v_fmac_f64_e32 v[36:37], v[10:11], v[74:75]
	v_cvt_f64_f32_e32 v[10:11], v58
	v_cvt_f64_f32_e32 v[20:21], v59
	v_fmac_f64_e32 v[18:19], v[10:11], v[72:73]
	v_fmac_f64_e32 v[34:35], v[20:21], v[72:73]
	v_fma_f64 v[12:13], -v[24:25], v[74:75], v[12:13]
	v_fma_f64 v[18:19], -v[20:21], v[74:75], v[18:19]
	v_fmac_f64_e32 v[34:35], v[10:11], v[74:75]
	v_cvt_f64_f32_e32 v[10:11], v52
	v_cvt_f64_f32_e32 v[20:21], v53
	v_fmac_f64_e32 v[12:13], v[10:11], v[68:69]
	v_fmac_f64_e32 v[46:47], v[20:21], v[68:69]
	v_fma_f64 v[52:53], -v[20:21], v[70:71], v[12:13]
	v_fmac_f64_e32 v[46:47], v[10:11], v[70:71]
	v_cvt_f64_f32_e32 v[10:11], v54
	v_cvt_f64_f32_e32 v[12:13], v55
	v_fmac_f64_e32 v[14:15], v[10:11], v[68:69]
	v_fmac_f64_e32 v[44:45], v[12:13], v[68:69]
	;; [unrolled: 6-line block ×4, first 2 shown]
	v_fma_f64 v[50:51], -v[12:13], v[70:71], v[18:19]
	v_fmac_f64_e32 v[34:35], v[10:11], v[70:71]
	global_load_dwordx4 v[10:13], v[28:29], off offset:112
	global_load_dwordx4 v[14:17], v[28:29], off offset:96
	;; [unrolled: 1-line block ×4, first 2 shown]
	s_waitcnt vmcnt(0)
	v_cvt_f64_f32_e32 v[28:29], v24
	v_cvt_f64_f32_e32 v[24:25], v25
	v_fmac_f64_e32 v[52:53], v[28:29], v[64:65]
	v_fma_f64 v[52:53], -v[24:25], v[66:67], v[52:53]
	v_fmac_f64_e32 v[46:47], v[24:25], v[64:65]
	v_cvt_f64_f32_e32 v[24:25], v26
	v_cvt_f64_f32_e32 v[26:27], v27
	v_fmac_f64_e32 v[44:45], v[26:27], v[64:65]
	v_fmac_f64_e32 v[54:55], v[24:25], v[64:65]
	;; [unrolled: 1-line block ×3, first 2 shown]
	v_cvt_f64_f32_e32 v[24:25], v18
	v_cvt_f64_f32_e32 v[18:19], v19
	v_fmac_f64_e32 v[48:49], v[24:25], v[64:65]
	v_fmac_f64_e32 v[46:47], v[28:29], v[66:67]
	v_fma_f64 v[28:29], -v[26:27], v[66:67], v[54:55]
	v_fma_f64 v[26:27], -v[18:19], v[66:67], v[48:49]
	v_fmac_f64_e32 v[36:37], v[18:19], v[64:65]
	v_cvt_f64_f32_e32 v[18:19], v20
	v_cvt_f64_f32_e32 v[20:21], v21
	v_fmac_f64_e32 v[50:51], v[18:19], v[64:65]
	v_fma_f64 v[48:49], -v[20:21], v[66:67], v[50:51]
	v_fmac_f64_e32 v[34:35], v[20:21], v[64:65]
	v_cvt_f64_f32_e32 v[20:21], v14
	v_cvt_f64_f32_e32 v[14:15], v15
	v_fmac_f64_e32 v[52:53], v[20:21], v[60:61]
	v_fmac_f64_e32 v[34:35], v[18:19], v[66:67]
	v_fma_f64 v[18:19], -v[14:15], v[62:63], v[52:53]
	v_fmac_f64_e32 v[46:47], v[14:15], v[60:61]
	v_cvt_f64_f32_e32 v[14:15], v16
	v_cvt_f64_f32_e32 v[16:17], v17
	v_fmac_f64_e32 v[44:45], v[16:17], v[60:61]
	v_fmac_f64_e32 v[28:29], v[14:15], v[60:61]
	;; [unrolled: 1-line block ×3, first 2 shown]
	v_cvt_f64_f32_e32 v[14:15], v10
	v_fmac_f64_e32 v[36:37], v[24:25], v[66:67]
	v_cvt_f64_f32_e32 v[10:11], v11
	v_fmac_f64_e32 v[26:27], v[14:15], v[60:61]
	v_fma_f64 v[24:25], -v[10:11], v[62:63], v[26:27]
	v_fmac_f64_e32 v[36:37], v[10:11], v[60:61]
	v_cvt_f64_f32_e32 v[10:11], v12
	v_cvt_f64_f32_e32 v[12:13], v13
	v_fmac_f64_e32 v[34:35], v[12:13], v[60:61]
	v_fmac_f64_e32 v[48:49], v[10:11], v[60:61]
	;; [unrolled: 1-line block ×3, first 2 shown]
	global_load_dwordx2 v[10:11], v[22:23], off offset:256
	v_fma_f64 v[26:27], -v[12:13], v[62:63], v[48:49]
	v_fmac_f64_e32 v[46:47], v[20:21], v[62:63]
	v_fma_f64 v[20:21], -v[16:17], v[62:63], v[28:29]
	v_fmac_f64_e32 v[36:37], v[14:15], v[62:63]
	v_lshl_add_u64 v[28:29], v[42:43], 0, s[14:15]
	v_lshl_add_u64 v[22:23], v[22:23], 0, s[18:19]
	s_waitcnt vmcnt(0)
	v_sub_co_u32_e32 v10, vcc, v10, v32
	s_nop 1
	v_subb_co_u32_e32 v11, vcc, v11, v33, vcc
	v_add_co_u32_e32 v12, vcc, s23, v42
	v_lshlrev_b64 v[10:11], 6, v[10:11]
	s_nop 0
	v_addc_co_u32_e32 v13, vcc, 0, v43, vcc
	v_lshl_add_u64 v[74:75], s[4:5], 0, v[10:11]
	global_load_dwordx4 v[48:51], v[12:13], off
	global_load_dwordx4 v[52:55], v[28:29], off offset:48
	global_load_dwordx4 v[56:59], v[28:29], off offset:32
	;; [unrolled: 1-line block ×3, first 2 shown]
	s_nop 0
	global_load_dwordx4 v[10:13], v[74:75], off offset:48
	global_load_dwordx4 v[14:17], v[74:75], off offset:32
	;; [unrolled: 1-line block ×3, first 2 shown]
	global_load_dwordx4 v[68:71], v[74:75], off
	v_cmp_ge_i64_e32 vcc, v[38:39], v[40:41]
	v_lshl_add_u64 v[42:43], v[42:43], 0, s[20:21]
	s_or_b64 s[8:9], vcc, s[8:9]
	s_waitcnt vmcnt(7)
	v_cvt_f64_f32_e32 v[72:73], v48
	v_cvt_f64_f32_e32 v[48:49], v49
	s_waitcnt vmcnt(0)
	v_fmac_f64_e32 v[18:19], v[72:73], v[68:69]
	v_fma_f64 v[18:19], -v[48:49], v[70:71], v[18:19]
	v_fmac_f64_e32 v[46:47], v[48:49], v[68:69]
	v_cvt_f64_f32_e32 v[48:49], v50
	v_cvt_f64_f32_e32 v[50:51], v51
	v_fmac_f64_e32 v[20:21], v[48:49], v[68:69]
	v_fmac_f64_e32 v[44:45], v[50:51], v[68:69]
	v_fma_f64 v[20:21], -v[50:51], v[70:71], v[20:21]
	v_fmac_f64_e32 v[44:45], v[48:49], v[70:71]
	v_cvt_f64_f32_e32 v[48:49], v60
	v_cvt_f64_f32_e32 v[50:51], v61
	v_fmac_f64_e32 v[24:25], v[48:49], v[68:69]
	;; [unrolled: 6-line block ×3, first 2 shown]
	v_fmac_f64_e32 v[34:35], v[50:51], v[68:69]
	v_fmac_f64_e32 v[46:47], v[72:73], v[70:71]
	v_fma_f64 v[60:61], -v[50:51], v[70:71], v[26:27]
	v_fmac_f64_e32 v[34:35], v[48:49], v[70:71]
	v_cvt_f64_f32_e32 v[26:27], v56
	v_cvt_f64_f32_e32 v[48:49], v57
	v_fmac_f64_e32 v[18:19], v[26:27], v[64:65]
	v_fmac_f64_e32 v[46:47], v[48:49], v[64:65]
	v_fma_f64 v[50:51], -v[48:49], v[66:67], v[18:19]
	v_fmac_f64_e32 v[46:47], v[26:27], v[66:67]
	v_cvt_f64_f32_e32 v[18:19], v58
	v_cvt_f64_f32_e32 v[26:27], v59
	v_fmac_f64_e32 v[20:21], v[18:19], v[64:65]
	v_fmac_f64_e32 v[44:45], v[26:27], v[64:65]
	v_fma_f64 v[48:49], -v[26:27], v[66:67], v[20:21]
	v_fmac_f64_e32 v[44:45], v[18:19], v[66:67]
	v_cvt_f64_f32_e32 v[18:19], v52
	v_cvt_f64_f32_e32 v[20:21], v53
	v_fmac_f64_e32 v[24:25], v[18:19], v[64:65]
	v_fmac_f64_e32 v[36:37], v[20:21], v[64:65]
	v_fma_f64 v[26:27], -v[20:21], v[66:67], v[24:25]
	v_fmac_f64_e32 v[36:37], v[18:19], v[66:67]
	v_cvt_f64_f32_e32 v[18:19], v54
	v_cvt_f64_f32_e32 v[20:21], v55
	v_fmac_f64_e32 v[60:61], v[18:19], v[64:65]
	v_fmac_f64_e32 v[34:35], v[20:21], v[64:65]
	v_fma_f64 v[24:25], -v[20:21], v[66:67], v[60:61]
	v_fmac_f64_e32 v[34:35], v[18:19], v[66:67]
	global_load_dwordx4 v[18:21], v[28:29], off offset:112
	global_load_dwordx4 v[52:55], v[28:29], off offset:96
	;; [unrolled: 1-line block ×4, first 2 shown]
	s_waitcnt vmcnt(0)
	v_cvt_f64_f32_e32 v[28:29], v60
	v_cvt_f64_f32_e32 v[60:61], v61
	v_fmac_f64_e32 v[50:51], v[28:29], v[14:15]
	v_fma_f64 v[50:51], -v[60:61], v[16:17], v[50:51]
	v_fmac_f64_e32 v[46:47], v[60:61], v[14:15]
	v_cvt_f64_f32_e32 v[60:61], v63
	v_fmac_f64_e32 v[46:47], v[28:29], v[16:17]
	v_cvt_f64_f32_e32 v[28:29], v62
	v_fmac_f64_e32 v[44:45], v[60:61], v[14:15]
	v_fmac_f64_e32 v[48:49], v[28:29], v[14:15]
	;; [unrolled: 1-line block ×3, first 2 shown]
	v_cvt_f64_f32_e32 v[28:29], v56
	v_cvt_f64_f32_e32 v[56:57], v57
	v_fmac_f64_e32 v[26:27], v[28:29], v[14:15]
	v_fmac_f64_e32 v[36:37], v[56:57], v[14:15]
	v_fma_f64 v[26:27], -v[56:57], v[16:17], v[26:27]
	v_fmac_f64_e32 v[36:37], v[28:29], v[16:17]
	v_cvt_f64_f32_e32 v[28:29], v58
	v_cvt_f64_f32_e32 v[56:57], v59
	v_fmac_f64_e32 v[24:25], v[28:29], v[14:15]
	v_fmac_f64_e32 v[34:35], v[56:57], v[14:15]
	v_fma_f64 v[48:49], -v[60:61], v[16:17], v[48:49]
	v_fma_f64 v[24:25], -v[56:57], v[16:17], v[24:25]
	v_fmac_f64_e32 v[34:35], v[28:29], v[16:17]
	v_cvt_f64_f32_e32 v[14:15], v52
	v_cvt_f64_f32_e32 v[16:17], v53
	v_fmac_f64_e32 v[50:51], v[14:15], v[10:11]
	v_fmac_f64_e32 v[46:47], v[16:17], v[10:11]
	v_fma_f64 v[58:59], -v[16:17], v[12:13], v[50:51]
	v_fmac_f64_e32 v[46:47], v[14:15], v[12:13]
	v_cvt_f64_f32_e32 v[14:15], v54
	v_cvt_f64_f32_e32 v[16:17], v55
	v_fmac_f64_e32 v[48:49], v[14:15], v[10:11]
	v_fmac_f64_e32 v[44:45], v[16:17], v[10:11]
	v_fma_f64 v[56:57], -v[16:17], v[12:13], v[48:49]
	v_fmac_f64_e32 v[44:45], v[14:15], v[12:13]
	v_cvt_f64_f32_e32 v[14:15], v18
	v_cvt_f64_f32_e32 v[16:17], v19
	v_fmac_f64_e32 v[26:27], v[14:15], v[10:11]
	v_fmac_f64_e32 v[36:37], v[16:17], v[10:11]
	v_fma_f64 v[60:61], -v[16:17], v[12:13], v[26:27]
	v_fmac_f64_e32 v[36:37], v[14:15], v[12:13]
	v_cvt_f64_f32_e32 v[14:15], v20
	v_cvt_f64_f32_e32 v[16:17], v21
	v_fmac_f64_e32 v[24:25], v[14:15], v[10:11]
	v_fmac_f64_e32 v[34:35], v[16:17], v[10:11]
	v_fma_f64 v[18:19], -v[16:17], v[12:13], v[24:25]
	v_fmac_f64_e32 v[34:35], v[14:15], v[12:13]
	s_andn2_b64 exec, exec, s[8:9]
	s_cbranch_execnz .LBB178_33
; %bb.34:
	s_or_b64 exec, exec, s[8:9]
.LBB178_35:
	s_or_b64 exec, exec, s[2:3]
.LBB178_36:
	s_or_b64 exec, exec, s[6:7]
.LBB178_37:
	v_mov_b32_dpp v10, v58 row_shr:1 row_mask:0xf bank_mask:0xf
	v_mov_b32_dpp v11, v59 row_shr:1 row_mask:0xf bank_mask:0xf
	v_mov_b32_dpp v14, v46 row_shr:1 row_mask:0xf bank_mask:0xf
	v_mov_b32_dpp v15, v47 row_shr:1 row_mask:0xf bank_mask:0xf
	v_mov_b32_dpp v20, v56 row_shr:1 row_mask:0xf bank_mask:0xf
	v_mov_b32_dpp v21, v57 row_shr:1 row_mask:0xf bank_mask:0xf
	v_mov_b32_dpp v24, v44 row_shr:1 row_mask:0xf bank_mask:0xf
	v_mov_b32_dpp v25, v45 row_shr:1 row_mask:0xf bank_mask:0xf
	v_mov_b32_dpp v28, v60 row_shr:1 row_mask:0xf bank_mask:0xf
	v_mov_b32_dpp v29, v61 row_shr:1 row_mask:0xf bank_mask:0xf
	v_mov_b32_dpp v38, v36 row_shr:1 row_mask:0xf bank_mask:0xf
	v_mov_b32_dpp v39, v37 row_shr:1 row_mask:0xf bank_mask:0xf
	v_mov_b32_dpp v40, v18 row_shr:1 row_mask:0xf bank_mask:0xf
	v_mov_b32_dpp v41, v19 row_shr:1 row_mask:0xf bank_mask:0xf
	v_mov_b32_dpp v42, v34 row_shr:1 row_mask:0xf bank_mask:0xf
	v_mov_b32_dpp v43, v35 row_shr:1 row_mask:0xf bank_mask:0xf
	v_add_f64 v[10:11], v[58:59], v[10:11]
	v_add_f64 v[14:15], v[46:47], v[14:15]
	v_add_f64 v[20:21], v[56:57], v[20:21]
	v_add_f64 v[24:25], v[44:45], v[24:25]
	v_add_f64 v[28:29], v[60:61], v[28:29]
	v_add_f64 v[36:37], v[36:37], v[38:39]
	v_add_f64 v[18:19], v[18:19], v[40:41]
	v_add_f64 v[34:35], v[34:35], v[42:43]
	v_mov_b32_dpp v12, v10 row_shr:2 row_mask:0xf bank_mask:0xf
	v_mov_b32_dpp v13, v11 row_shr:2 row_mask:0xf bank_mask:0xf
	v_mov_b32_dpp v16, v14 row_shr:2 row_mask:0xf bank_mask:0xf
	v_mov_b32_dpp v17, v15 row_shr:2 row_mask:0xf bank_mask:0xf
	v_mov_b32_dpp v22, v20 row_shr:2 row_mask:0xf bank_mask:0xf
	v_mov_b32_dpp v23, v21 row_shr:2 row_mask:0xf bank_mask:0xf
	v_mov_b32_dpp v26, v24 row_shr:2 row_mask:0xf bank_mask:0xf
	v_mov_b32_dpp v27, v25 row_shr:2 row_mask:0xf bank_mask:0xf
	v_mov_b32_dpp v32, v28 row_shr:2 row_mask:0xf bank_mask:0xf
	v_mov_b32_dpp v33, v29 row_shr:2 row_mask:0xf bank_mask:0xf
	v_mov_b32_dpp v38, v36 row_shr:2 row_mask:0xf bank_mask:0xf
	v_mov_b32_dpp v39, v37 row_shr:2 row_mask:0xf bank_mask:0xf
	v_mov_b32_dpp v40, v18 row_shr:2 row_mask:0xf bank_mask:0xf
	v_mov_b32_dpp v41, v19 row_shr:2 row_mask:0xf bank_mask:0xf
	v_mov_b32_dpp v42, v34 row_shr:2 row_mask:0xf bank_mask:0xf
	v_mov_b32_dpp v43, v35 row_shr:2 row_mask:0xf bank_mask:0xf
	v_add_f64 v[10:11], v[10:11], v[12:13]
	v_add_f64 v[14:15], v[14:15], v[16:17]
	v_add_f64 v[20:21], v[20:21], v[22:23]
	v_add_f64 v[24:25], v[24:25], v[26:27]
	v_add_f64 v[28:29], v[28:29], v[32:33]
	v_add_f64 v[36:37], v[36:37], v[38:39]
	v_add_f64 v[18:19], v[18:19], v[40:41]
	v_add_f64 v[34:35], v[34:35], v[42:43]
	;; [unrolled: 24-line block ×4, first 2 shown]
	v_mov_b32_dpp v12, v10 row_bcast:15 row_mask:0xa bank_mask:0xf
	v_mov_b32_dpp v13, v11 row_bcast:15 row_mask:0xa bank_mask:0xf
	;; [unrolled: 1-line block ×16, first 2 shown]
	v_cmp_eq_u32_e32 vcc, 31, v0
	s_and_b64 exec, exec, vcc
	s_cbranch_execz .LBB178_8
; %bb.38:
	s_load_dwordx2 s[2:3], s[0:1], 0x68
	v_add_f64 v[0:1], v[10:11], v[12:13]
	v_add_f64 v[10:11], v[14:15], v[16:17]
	v_add_f64 v[12:13], v[24:25], v[26:27]
	v_add_f64 v[26:27], v[28:29], v[32:33]
	v_add_f64 v[16:17], v[36:37], v[38:39]
	v_add_f64 v[32:33], v[34:35], v[42:43]
	v_add_f64 v[44:45], v[20:21], v[22:23]
	v_add_f64 v[28:29], v[18:19], v[40:41]
	v_cmp_eq_f64_e32 vcc, 0, v[2:3]
	v_cmp_eq_f64_e64 s[0:1], 0, v[4:5]
	v_mul_f64 v[22:23], v[10:11], -v[8:9]
	v_mul_f64 v[24:25], v[6:7], v[10:11]
	v_mul_f64 v[18:19], v[12:13], -v[8:9]
	v_mul_f64 v[20:21], v[6:7], v[12:13]
	;; [unrolled: 2-line block ×4, first 2 shown]
	s_and_b64 s[0:1], vcc, s[0:1]
	v_fmac_f64_e32 v[22:23], v[6:7], v[0:1]
	v_fmac_f64_e32 v[24:25], v[8:9], v[0:1]
	v_lshlrev_b64 v[0:1], 6, v[30:31]
	v_fmac_f64_e32 v[18:19], v[6:7], v[44:45]
	v_fmac_f64_e32 v[20:21], v[8:9], v[44:45]
	;; [unrolled: 1-line block ×6, first 2 shown]
	s_and_saveexec_b64 s[4:5], s[0:1]
	s_xor_b64 s[0:1], exec, s[4:5]
	s_cbranch_execz .LBB178_40
; %bb.39:
	s_waitcnt lgkmcnt(0)
	v_lshl_add_u64 v[0:1], s[2:3], 0, v[0:1]
	global_store_dwordx4 v[0:1], v[22:25], off
	global_store_dwordx4 v[0:1], v[18:21], off offset:16
	global_store_dwordx4 v[0:1], v[14:17], off offset:32
	;; [unrolled: 1-line block ×3, first 2 shown]
                                        ; implicit-def: $vgpr4_vgpr5
                                        ; implicit-def: $vgpr22_vgpr23
                                        ; implicit-def: $vgpr0_vgpr1
                                        ; implicit-def: $vgpr18_vgpr19
                                        ; implicit-def: $vgpr14_vgpr15
                                        ; implicit-def: $vgpr10_vgpr11
.LBB178_40:
	s_andn2_saveexec_b64 s[0:1], s[0:1]
	s_cbranch_execz .LBB178_8
; %bb.41:
	s_waitcnt lgkmcnt(0)
	v_lshl_add_u64 v[0:1], s[2:3], 0, v[0:1]
	global_load_dwordx4 v[6:9], v[0:1], off
	global_load_dwordx4 v[26:29], v[0:1], off offset:16
	global_load_dwordx4 v[30:33], v[0:1], off offset:32
	;; [unrolled: 1-line block ×3, first 2 shown]
	s_waitcnt vmcnt(3)
	v_fmac_f64_e32 v[22:23], v[2:3], v[6:7]
	v_fmac_f64_e32 v[24:25], v[4:5], v[6:7]
	s_waitcnt vmcnt(2)
	v_fmac_f64_e32 v[18:19], v[2:3], v[26:27]
	v_fmac_f64_e32 v[20:21], v[4:5], v[26:27]
	;; [unrolled: 3-line block ×4, first 2 shown]
	v_fma_f64 v[22:23], -v[4:5], v[8:9], v[22:23]
	v_fmac_f64_e32 v[24:25], v[2:3], v[8:9]
	v_fma_f64 v[18:19], -v[4:5], v[28:29], v[18:19]
	v_fmac_f64_e32 v[20:21], v[2:3], v[28:29]
	;; [unrolled: 2-line block ×4, first 2 shown]
	global_store_dwordx4 v[0:1], v[22:25], off
	global_store_dwordx4 v[0:1], v[18:21], off offset:16
	global_store_dwordx4 v[0:1], v[14:17], off offset:32
	;; [unrolled: 1-line block ×3, first 2 shown]
	s_endpgm
	.section	.rodata,"a",@progbits
	.p2align	6, 0x0
	.amdhsa_kernel _ZN9rocsparseL18bsrxmvn_4x4_kernelILj128ELj32E21rocsparse_complex_numIdEllS1_IfES2_S2_EEvT3_20rocsparse_direction_NS_24const_host_device_scalarIT1_EES4_PKS4_PKT2_SD_SA_PKT4_PKT5_S8_PT6_21rocsparse_index_base_b
		.amdhsa_group_segment_fixed_size 0
		.amdhsa_private_segment_fixed_size 0
		.amdhsa_kernarg_size 120
		.amdhsa_user_sgpr_count 2
		.amdhsa_user_sgpr_dispatch_ptr 0
		.amdhsa_user_sgpr_queue_ptr 0
		.amdhsa_user_sgpr_kernarg_segment_ptr 1
		.amdhsa_user_sgpr_dispatch_id 0
		.amdhsa_user_sgpr_kernarg_preload_length 0
		.amdhsa_user_sgpr_kernarg_preload_offset 0
		.amdhsa_user_sgpr_private_segment_size 0
		.amdhsa_uses_dynamic_stack 0
		.amdhsa_enable_private_segment 0
		.amdhsa_system_sgpr_workgroup_id_x 1
		.amdhsa_system_sgpr_workgroup_id_y 0
		.amdhsa_system_sgpr_workgroup_id_z 0
		.amdhsa_system_sgpr_workgroup_info 0
		.amdhsa_system_vgpr_workitem_id 0
		.amdhsa_next_free_vgpr 128
		.amdhsa_next_free_sgpr 28
		.amdhsa_accum_offset 128
		.amdhsa_reserve_vcc 1
		.amdhsa_float_round_mode_32 0
		.amdhsa_float_round_mode_16_64 0
		.amdhsa_float_denorm_mode_32 3
		.amdhsa_float_denorm_mode_16_64 3
		.amdhsa_dx10_clamp 1
		.amdhsa_ieee_mode 1
		.amdhsa_fp16_overflow 0
		.amdhsa_tg_split 0
		.amdhsa_exception_fp_ieee_invalid_op 0
		.amdhsa_exception_fp_denorm_src 0
		.amdhsa_exception_fp_ieee_div_zero 0
		.amdhsa_exception_fp_ieee_overflow 0
		.amdhsa_exception_fp_ieee_underflow 0
		.amdhsa_exception_fp_ieee_inexact 0
		.amdhsa_exception_int_div_zero 0
	.end_amdhsa_kernel
	.section	.text._ZN9rocsparseL18bsrxmvn_4x4_kernelILj128ELj32E21rocsparse_complex_numIdEllS1_IfES2_S2_EEvT3_20rocsparse_direction_NS_24const_host_device_scalarIT1_EES4_PKS4_PKT2_SD_SA_PKT4_PKT5_S8_PT6_21rocsparse_index_base_b,"axG",@progbits,_ZN9rocsparseL18bsrxmvn_4x4_kernelILj128ELj32E21rocsparse_complex_numIdEllS1_IfES2_S2_EEvT3_20rocsparse_direction_NS_24const_host_device_scalarIT1_EES4_PKS4_PKT2_SD_SA_PKT4_PKT5_S8_PT6_21rocsparse_index_base_b,comdat
.Lfunc_end178:
	.size	_ZN9rocsparseL18bsrxmvn_4x4_kernelILj128ELj32E21rocsparse_complex_numIdEllS1_IfES2_S2_EEvT3_20rocsparse_direction_NS_24const_host_device_scalarIT1_EES4_PKS4_PKT2_SD_SA_PKT4_PKT5_S8_PT6_21rocsparse_index_base_b, .Lfunc_end178-_ZN9rocsparseL18bsrxmvn_4x4_kernelILj128ELj32E21rocsparse_complex_numIdEllS1_IfES2_S2_EEvT3_20rocsparse_direction_NS_24const_host_device_scalarIT1_EES4_PKS4_PKT2_SD_SA_PKT4_PKT5_S8_PT6_21rocsparse_index_base_b
                                        ; -- End function
	.set _ZN9rocsparseL18bsrxmvn_4x4_kernelILj128ELj32E21rocsparse_complex_numIdEllS1_IfES2_S2_EEvT3_20rocsparse_direction_NS_24const_host_device_scalarIT1_EES4_PKS4_PKT2_SD_SA_PKT4_PKT5_S8_PT6_21rocsparse_index_base_b.num_vgpr, 128
	.set _ZN9rocsparseL18bsrxmvn_4x4_kernelILj128ELj32E21rocsparse_complex_numIdEllS1_IfES2_S2_EEvT3_20rocsparse_direction_NS_24const_host_device_scalarIT1_EES4_PKS4_PKT2_SD_SA_PKT4_PKT5_S8_PT6_21rocsparse_index_base_b.num_agpr, 0
	.set _ZN9rocsparseL18bsrxmvn_4x4_kernelILj128ELj32E21rocsparse_complex_numIdEllS1_IfES2_S2_EEvT3_20rocsparse_direction_NS_24const_host_device_scalarIT1_EES4_PKS4_PKT2_SD_SA_PKT4_PKT5_S8_PT6_21rocsparse_index_base_b.numbered_sgpr, 28
	.set _ZN9rocsparseL18bsrxmvn_4x4_kernelILj128ELj32E21rocsparse_complex_numIdEllS1_IfES2_S2_EEvT3_20rocsparse_direction_NS_24const_host_device_scalarIT1_EES4_PKS4_PKT2_SD_SA_PKT4_PKT5_S8_PT6_21rocsparse_index_base_b.num_named_barrier, 0
	.set _ZN9rocsparseL18bsrxmvn_4x4_kernelILj128ELj32E21rocsparse_complex_numIdEllS1_IfES2_S2_EEvT3_20rocsparse_direction_NS_24const_host_device_scalarIT1_EES4_PKS4_PKT2_SD_SA_PKT4_PKT5_S8_PT6_21rocsparse_index_base_b.private_seg_size, 0
	.set _ZN9rocsparseL18bsrxmvn_4x4_kernelILj128ELj32E21rocsparse_complex_numIdEllS1_IfES2_S2_EEvT3_20rocsparse_direction_NS_24const_host_device_scalarIT1_EES4_PKS4_PKT2_SD_SA_PKT4_PKT5_S8_PT6_21rocsparse_index_base_b.uses_vcc, 1
	.set _ZN9rocsparseL18bsrxmvn_4x4_kernelILj128ELj32E21rocsparse_complex_numIdEllS1_IfES2_S2_EEvT3_20rocsparse_direction_NS_24const_host_device_scalarIT1_EES4_PKS4_PKT2_SD_SA_PKT4_PKT5_S8_PT6_21rocsparse_index_base_b.uses_flat_scratch, 0
	.set _ZN9rocsparseL18bsrxmvn_4x4_kernelILj128ELj32E21rocsparse_complex_numIdEllS1_IfES2_S2_EEvT3_20rocsparse_direction_NS_24const_host_device_scalarIT1_EES4_PKS4_PKT2_SD_SA_PKT4_PKT5_S8_PT6_21rocsparse_index_base_b.has_dyn_sized_stack, 0
	.set _ZN9rocsparseL18bsrxmvn_4x4_kernelILj128ELj32E21rocsparse_complex_numIdEllS1_IfES2_S2_EEvT3_20rocsparse_direction_NS_24const_host_device_scalarIT1_EES4_PKS4_PKT2_SD_SA_PKT4_PKT5_S8_PT6_21rocsparse_index_base_b.has_recursion, 0
	.set _ZN9rocsparseL18bsrxmvn_4x4_kernelILj128ELj32E21rocsparse_complex_numIdEllS1_IfES2_S2_EEvT3_20rocsparse_direction_NS_24const_host_device_scalarIT1_EES4_PKS4_PKT2_SD_SA_PKT4_PKT5_S8_PT6_21rocsparse_index_base_b.has_indirect_call, 0
	.section	.AMDGPU.csdata,"",@progbits
; Kernel info:
; codeLenInByte = 8960
; TotalNumSgprs: 34
; NumVgprs: 128
; NumAgprs: 0
; TotalNumVgprs: 128
; ScratchSize: 0
; MemoryBound: 0
; FloatMode: 240
; IeeeMode: 1
; LDSByteSize: 0 bytes/workgroup (compile time only)
; SGPRBlocks: 4
; VGPRBlocks: 15
; NumSGPRsForWavesPerEU: 34
; NumVGPRsForWavesPerEU: 128
; AccumOffset: 128
; Occupancy: 4
; WaveLimiterHint : 1
; COMPUTE_PGM_RSRC2:SCRATCH_EN: 0
; COMPUTE_PGM_RSRC2:USER_SGPR: 2
; COMPUTE_PGM_RSRC2:TRAP_HANDLER: 0
; COMPUTE_PGM_RSRC2:TGID_X_EN: 1
; COMPUTE_PGM_RSRC2:TGID_Y_EN: 0
; COMPUTE_PGM_RSRC2:TGID_Z_EN: 0
; COMPUTE_PGM_RSRC2:TIDIG_COMP_CNT: 0
; COMPUTE_PGM_RSRC3_GFX90A:ACCUM_OFFSET: 31
; COMPUTE_PGM_RSRC3_GFX90A:TG_SPLIT: 0
	.section	.text._ZN9rocsparseL18bsrxmvn_4x4_kernelILj128ELj64E21rocsparse_complex_numIdEllS1_IfES2_S2_EEvT3_20rocsparse_direction_NS_24const_host_device_scalarIT1_EES4_PKS4_PKT2_SD_SA_PKT4_PKT5_S8_PT6_21rocsparse_index_base_b,"axG",@progbits,_ZN9rocsparseL18bsrxmvn_4x4_kernelILj128ELj64E21rocsparse_complex_numIdEllS1_IfES2_S2_EEvT3_20rocsparse_direction_NS_24const_host_device_scalarIT1_EES4_PKS4_PKT2_SD_SA_PKT4_PKT5_S8_PT6_21rocsparse_index_base_b,comdat
	.globl	_ZN9rocsparseL18bsrxmvn_4x4_kernelILj128ELj64E21rocsparse_complex_numIdEllS1_IfES2_S2_EEvT3_20rocsparse_direction_NS_24const_host_device_scalarIT1_EES4_PKS4_PKT2_SD_SA_PKT4_PKT5_S8_PT6_21rocsparse_index_base_b ; -- Begin function _ZN9rocsparseL18bsrxmvn_4x4_kernelILj128ELj64E21rocsparse_complex_numIdEllS1_IfES2_S2_EEvT3_20rocsparse_direction_NS_24const_host_device_scalarIT1_EES4_PKS4_PKT2_SD_SA_PKT4_PKT5_S8_PT6_21rocsparse_index_base_b
	.p2align	8
	.type	_ZN9rocsparseL18bsrxmvn_4x4_kernelILj128ELj64E21rocsparse_complex_numIdEllS1_IfES2_S2_EEvT3_20rocsparse_direction_NS_24const_host_device_scalarIT1_EES4_PKS4_PKT2_SD_SA_PKT4_PKT5_S8_PT6_21rocsparse_index_base_b,@function
_ZN9rocsparseL18bsrxmvn_4x4_kernelILj128ELj64E21rocsparse_complex_numIdEllS1_IfES2_S2_EEvT3_20rocsparse_direction_NS_24const_host_device_scalarIT1_EES4_PKS4_PKT2_SD_SA_PKT4_PKT5_S8_PT6_21rocsparse_index_base_b: ; @_ZN9rocsparseL18bsrxmvn_4x4_kernelILj128ELj64E21rocsparse_complex_numIdEllS1_IfES2_S2_EEvT3_20rocsparse_direction_NS_24const_host_device_scalarIT1_EES4_PKS4_PKT2_SD_SA_PKT4_PKT5_S8_PT6_21rocsparse_index_base_b
; %bb.0:
	s_load_dwordx2 s[4:5], s[0:1], 0x10
	s_load_dwordx2 s[6:7], s[0:1], 0x70
	s_add_u32 s3, s0, 16
	s_addc_u32 s10, s1, 0
	s_add_u32 s11, s0, 0x58
	s_load_dwordx2 s[8:9], s[0:1], 0x58
	s_addc_u32 s12, s1, 0
	s_waitcnt lgkmcnt(0)
	s_bitcmp1_b32 s7, 0
	s_cselect_b32 s5, s10, s5
	s_cselect_b32 s3, s3, s4
	v_mov_b32_e32 v2, s3
	v_mov_b32_e32 v3, s5
	flat_load_dwordx4 v[6:9], v[2:3]
	s_cselect_b32 s3, s12, s9
	s_cselect_b32 s4, s11, s8
	v_mov_b32_e32 v2, s4
	v_mov_b32_e32 v3, s3
	flat_load_dwordx4 v[2:5], v[2:3]
	s_waitcnt vmcnt(0) lgkmcnt(0)
	v_cmp_eq_f64_e32 vcc, 0, v[6:7]
	v_cmp_eq_f64_e64 s[4:5], 0, v[8:9]
	s_and_b64 s[10:11], vcc, s[4:5]
	s_mov_b64 s[4:5], -1
	s_and_saveexec_b64 s[8:9], s[10:11]
; %bb.1:
	v_cmp_neq_f64_e32 vcc, 1.0, v[2:3]
	v_cmp_neq_f64_e64 s[4:5], 0, v[4:5]
	s_or_b64 s[4:5], vcc, s[4:5]
	s_orn2_b64 s[4:5], s[4:5], exec
; %bb.2:
	s_or_b64 exec, exec, s[8:9]
	s_and_saveexec_b64 s[8:9], s[4:5]
	s_cbranch_execz .LBB179_8
; %bb.3:
	s_load_dwordx2 s[4:5], s[0:1], 0x28
	v_lshrrev_b32_e32 v1, 6, v0
	v_lshl_or_b32 v10, s2, 1, v1
	v_mov_b32_e32 v11, 0
	s_mov_b64 s[2:3], 0
	s_waitcnt lgkmcnt(0)
	s_cmp_lg_u64 s[4:5], 0
	s_cbranch_scc0 .LBB179_9
; %bb.4:
	s_load_dwordx2 s[8:9], s[0:1], 0x20
                                        ; implicit-def: $vgpr30_vgpr31
                                        ; implicit-def: $vgpr32_vgpr33
	s_waitcnt lgkmcnt(0)
	v_cmp_gt_i64_e32 vcc, s[8:9], v[10:11]
	s_and_saveexec_b64 s[8:9], vcc
	s_xor_b64 s[8:9], exec, s[8:9]
	s_cbranch_execz .LBB179_6
; %bb.5:
	v_lshl_add_u64 v[12:13], v[10:11], 3, s[4:5]
	global_load_dwordx2 v[12:13], v[12:13], off
	s_mov_b32 s7, 0
	s_mov_b64 s[2:3], exec
	v_mov_b64_e32 v[32:33], s[6:7]
	s_waitcnt vmcnt(0)
	v_subrev_co_u32_e32 v30, vcc, s6, v12
	s_nop 1
	v_subbrev_co_u32_e32 v31, vcc, 0, v13, vcc
.LBB179_6:
	s_or_b64 exec, exec, s[8:9]
.LBB179_7:
	s_and_b64 exec, exec, s[2:3]
	s_cbranch_execnz .LBB179_13
.LBB179_8:
	s_endpgm
.LBB179_9:
                                        ; implicit-def: $vgpr30_vgpr31
                                        ; implicit-def: $vgpr32_vgpr33
	s_cbranch_execz .LBB179_7
; %bb.10:
	s_load_dwordx2 s[4:5], s[0:1], 0x0
	s_waitcnt lgkmcnt(0)
	v_cmp_gt_i64_e32 vcc, s[4:5], v[10:11]
	s_and_saveexec_b64 s[4:5], vcc
; %bb.11:
	s_mov_b32 s7, 0
	s_or_b64 s[2:3], s[2:3], exec
; %bb.12:
	s_or_b64 exec, exec, s[4:5]
	v_mov_b64_e32 v[32:33], s[6:7]
	v_mov_b64_e32 v[30:31], v[10:11]
	s_and_b64 exec, exec, s[2:3]
	s_cbranch_execz .LBB179_8
.LBB179_13:
	s_load_dwordx8 s[4:11], s[0:1], 0x30
	v_lshlrev_b64 v[10:11], 3, v[30:31]
	v_and_b32_e32 v0, 63, v0
	v_mov_b32_e32 v1, 0
	s_waitcnt lgkmcnt(0)
	v_lshl_add_u64 v[12:13], s[4:5], 0, v[10:11]
	s_cmp_eq_u64 s[6:7], 0
	v_lshl_add_u64 v[10:11], s[6:7], 0, v[10:11]
	global_load_dwordx2 v[48:49], v[12:13], off
	v_lshl_add_u64 v[12:13], v[12:13], 0, 8
	s_cselect_b64 vcc, -1, 0
	v_cndmask_b32_e32 v11, v11, v13, vcc
	v_cndmask_b32_e32 v10, v10, v12, vcc
	global_load_dwordx2 v[10:11], v[10:11], off
	s_load_dword s2, s[0:1], 0x8
	s_load_dwordx2 s[4:5], s[0:1], 0x50
	s_waitcnt lgkmcnt(0)
	s_cmp_eq_u32 s2, 1
	s_waitcnt vmcnt(1)
	v_sub_co_u32_e32 v12, vcc, v48, v32
	s_nop 1
	v_subb_co_u32_e32 v13, vcc, v49, v33, vcc
	v_lshl_add_u64 v[38:39], v[12:13], 0, v[0:1]
	s_waitcnt vmcnt(0)
	v_sub_co_u32_e32 v42, vcc, v10, v32
	s_nop 1
	v_subb_co_u32_e32 v43, vcc, v11, v33, vcc
	v_lshlrev_b64 v[10:11], 7, v[38:39]
	v_lshl_add_u64 v[44:45], s[10:11], 0, v[10:11]
	v_cmp_lt_i64_e64 s[2:3], v[38:39], v[42:43]
	s_cbranch_scc1 .LBB179_25
; %bb.14:
	v_mov_b64_e32 v[46:47], 0
	v_mov_b64_e32 v[58:59], 0
	;; [unrolled: 1-line block ×8, first 2 shown]
	s_and_saveexec_b64 s[6:7], s[2:3]
	s_cbranch_execz .LBB179_24
; %bb.15:
	v_or_b32_e32 v1, 64, v0
	v_sub_co_u32_e32 v10, vcc, v1, v32
	v_not_b32_e32 v13, v49
	s_nop 0
	v_subb_co_u32_e32 v11, vcc, 0, v33, vcc
	v_lshl_add_u64 v[10:11], v[10:11], 0, v[48:49]
	v_cmp_gt_i64_e32 vcc, v[10:11], v[42:43]
	v_not_b32_e32 v12, v48
	s_mov_b64 s[10:11], 0xc0
	v_cndmask_b32_e32 v11, v43, v11, vcc
	v_cndmask_b32_e32 v10, v42, v10, vcc
	v_sub_co_u32_e32 v14, vcc, v32, v0
	v_mov_b64_e32 v[18:19], 0
	s_nop 0
	v_subbrev_co_u32_e32 v15, vcc, 0, v33, vcc
	v_lshl_add_u64 v[12:13], v[14:15], 0, v[12:13]
	v_lshl_add_u64 v[14:15], v[12:13], 0, v[10:11]
	v_and_b32_e32 v10, 0xc0, v14
	v_mov_b32_e32 v11, 0
	v_cmp_ne_u64_e32 vcc, s[10:11], v[10:11]
	v_mov_b64_e32 v[34:35], 0
	v_mov_b64_e32 v[60:61], 0
	;; [unrolled: 1-line block ×9, first 2 shown]
	s_and_saveexec_b64 s[10:11], vcc
	s_cbranch_execz .LBB179_19
; %bb.16:
	v_lshrrev_b32_e32 v1, 6, v14
	v_add_u32_e32 v1, 1, v1
	v_and_b32_e32 v1, 3, v1
	v_sub_co_u32_e32 v20, vcc, 0, v1
	v_lshl_add_u64 v[16:17], v[38:39], 3, s[8:9]
	s_nop 0
	v_subb_co_u32_e64 v21, s[14:15], 0, 0, vcc
	s_mov_b64 s[12:13], 0
	v_mov_b64_e32 v[46:47], 0
	s_mov_b64 s[14:15], 0x2000
	s_mov_b64 s[16:17], 0x200
	v_mov_b64_e32 v[52:53], v[38:39]
	v_mov_b64_e32 v[50:51], v[44:45]
	;; [unrolled: 1-line block ×9, first 2 shown]
.LBB179_17:                             ; =>This Inner Loop Header: Depth=1
	global_load_dwordx2 v[54:55], v[16:17], off
	global_load_dwordx4 v[22:25], v[50:51], off
	global_load_dwordx4 v[10:13], v[50:51], off offset:32
	global_load_dwordx4 v[26:29], v[50:51], off offset:64
	;; [unrolled: 1-line block ×7, first 2 shown]
	v_lshl_add_u64 v[20:21], v[20:21], 0, 1
	v_cmp_eq_u64_e32 vcc, 0, v[20:21]
	s_or_b64 s[12:13], vcc, s[12:13]
	v_lshl_add_u64 v[50:51], v[50:51], 0, s[14:15]
	v_lshl_add_u64 v[52:53], v[52:53], 0, 64
	;; [unrolled: 1-line block ×3, first 2 shown]
	s_waitcnt vmcnt(8)
	v_sub_co_u32_e32 v54, vcc, v54, v32
	s_nop 1
	v_subb_co_u32_e32 v55, vcc, v55, v33, vcc
	s_waitcnt vmcnt(7)
	v_cvt_f64_f32_e32 v[90:91], v22
	v_cvt_f64_f32_e32 v[92:93], v23
	v_lshlrev_b64 v[22:23], 6, v[54:55]
	v_lshl_add_u64 v[54:55], s[4:5], 0, v[22:23]
	v_cvt_f64_f32_e32 v[94:95], v24
	v_cvt_f64_f32_e32 v[96:97], v25
	s_waitcnt vmcnt(3)
	v_cvt_f64_f32_e32 v[104:105], v66
	v_cvt_f64_f32_e32 v[106:107], v67
	;; [unrolled: 1-line block ×4, first 2 shown]
	global_load_dwordx4 v[22:25], v[54:55], off
	global_load_dwordx4 v[66:69], v[54:55], off offset:16
	global_load_dwordx4 v[82:85], v[54:55], off offset:32
	;; [unrolled: 1-line block ×3, first 2 shown]
	v_cvt_f64_f32_e32 v[98:99], v10
	v_cvt_f64_f32_e32 v[10:11], v11
	;; [unrolled: 1-line block ×12, first 2 shown]
	s_waitcnt vmcnt(6)
	v_cvt_f64_f32_e32 v[54:55], v70
	v_cvt_f64_f32_e32 v[70:71], v71
	s_waitcnt vmcnt(5)
	v_cvt_f64_f32_e32 v[120:121], v74
	v_cvt_f64_f32_e32 v[74:75], v75
	;; [unrolled: 3-line block ×3, first 2 shown]
	v_cvt_f64_f32_e32 v[114:115], v72
	v_cvt_f64_f32_e32 v[72:73], v73
	;; [unrolled: 1-line block ×6, first 2 shown]
	s_waitcnt vmcnt(3)
	v_fmac_f64_e32 v[58:59], v[90:91], v[22:23]
	v_fmac_f64_e32 v[46:47], v[92:93], v[22:23]
	v_fmac_f64_e32 v[56:57], v[98:99], v[22:23]
	v_fmac_f64_e32 v[40:41], v[10:11], v[22:23]
	v_fmac_f64_e32 v[60:61], v[100:101], v[22:23]
	v_fmac_f64_e32 v[36:37], v[26:27], v[22:23]
	v_fmac_f64_e32 v[18:19], v[102:103], v[22:23]
	v_fmac_f64_e32 v[34:35], v[62:63], v[22:23]
	v_fma_f64 v[22:23], -v[92:93], v[24:25], v[58:59]
	v_fmac_f64_e32 v[46:47], v[90:91], v[24:25]
	v_fma_f64 v[10:11], -v[10:11], v[24:25], v[56:57]
	v_fmac_f64_e32 v[40:41], v[98:99], v[24:25]
	v_fma_f64 v[26:27], -v[26:27], v[24:25], v[60:61]
	v_fmac_f64_e32 v[36:37], v[100:101], v[24:25]
	v_fma_f64 v[18:19], -v[62:63], v[24:25], v[18:19]
	v_fmac_f64_e32 v[34:35], v[102:103], v[24:25]
	s_waitcnt vmcnt(2)
	v_fmac_f64_e32 v[22:23], v[94:95], v[66:67]
	v_fmac_f64_e32 v[46:47], v[96:97], v[66:67]
	v_fmac_f64_e32 v[10:11], v[112:113], v[66:67]
	v_fmac_f64_e32 v[40:41], v[12:13], v[66:67]
	v_fmac_f64_e32 v[26:27], v[116:117], v[66:67]
	v_fmac_f64_e32 v[36:37], v[28:29], v[66:67]
	v_fmac_f64_e32 v[18:19], v[118:119], v[66:67]
	v_fmac_f64_e32 v[34:35], v[64:65], v[66:67]
	v_fma_f64 v[22:23], -v[96:97], v[68:69], v[22:23]
	v_fmac_f64_e32 v[46:47], v[94:95], v[68:69]
	v_fma_f64 v[10:11], -v[12:13], v[68:69], v[10:11]
	v_fmac_f64_e32 v[40:41], v[112:113], v[68:69]
	v_fma_f64 v[12:13], -v[28:29], v[68:69], v[26:27]
	v_fmac_f64_e32 v[36:37], v[116:117], v[68:69]
	v_fma_f64 v[18:19], -v[64:65], v[68:69], v[18:19]
	v_fmac_f64_e32 v[34:35], v[118:119], v[68:69]
	;; [unrolled: 17-line block ×4, first 2 shown]
	s_andn2_b64 exec, exec, s[12:13]
	s_cbranch_execnz .LBB179_17
; %bb.18:
	s_or_b64 exec, exec, s[12:13]
.LBB179_19:
	s_or_b64 exec, exec, s[10:11]
	s_mov_b64 s[10:11], 0xbf
	v_cmp_lt_u64_e32 vcc, s[10:11], v[14:15]
	s_and_saveexec_b64 s[10:11], vcc
	s_cbranch_execz .LBB179_23
; %bb.20:
	v_lshl_add_u64 v[10:11], v[52:53], 3, s[8:9]
	s_mov_b64 s[12:13], 0x400
	v_lshl_add_u64 v[54:55], v[10:11], 0, s[12:13]
	s_mov_b64 s[12:13], 0
	s_mov_b64 s[14:15], 0x2000
	s_movk_i32 s26, 0x2000
	s_mov_b64 s[16:17], 0x4000
	s_movk_i32 s27, 0x4000
	;; [unrolled: 2-line block ×3, first 2 shown]
	s_mov_b64 s[20:21], 0x100
	s_mov_b64 s[22:23], 0x800
	;; [unrolled: 1-line block ×3, first 2 shown]
.LBB179_21:                             ; =>This Inner Loop Header: Depth=1
	global_load_dwordx2 v[10:11], v[54:55], off offset:-1024
	global_load_dwordx4 v[22:25], v[50:51], off offset:48
	global_load_dwordx4 v[26:29], v[50:51], off offset:32
	;; [unrolled: 1-line block ×3, first 2 shown]
	global_load_dwordx4 v[66:69], v[50:51], off
	v_lshl_add_u64 v[52:53], v[52:53], 0, s[20:21]
	s_waitcnt vmcnt(4)
	v_sub_co_u32_e32 v10, vcc, v10, v32
	s_nop 1
	v_subb_co_u32_e32 v11, vcc, v11, v33, vcc
	v_lshlrev_b64 v[10:11], 6, v[10:11]
	v_lshl_add_u64 v[78:79], s[4:5], 0, v[10:11]
	global_load_dwordx4 v[10:13], v[78:79], off offset:48
	global_load_dwordx4 v[14:17], v[78:79], off offset:32
	;; [unrolled: 1-line block ×3, first 2 shown]
	global_load_dwordx4 v[74:77], v[78:79], off
	s_waitcnt vmcnt(4)
	v_cvt_f64_f32_e32 v[20:21], v66
	v_cvt_f64_f32_e32 v[66:67], v67
	s_waitcnt vmcnt(0)
	v_fmac_f64_e32 v[58:59], v[20:21], v[74:75]
	v_fmac_f64_e32 v[46:47], v[66:67], v[74:75]
	v_fma_f64 v[58:59], -v[66:67], v[76:77], v[58:59]
	v_fmac_f64_e32 v[46:47], v[20:21], v[76:77]
	v_cvt_f64_f32_e32 v[20:21], v68
	v_cvt_f64_f32_e32 v[66:67], v69
	v_fmac_f64_e32 v[58:59], v[20:21], v[70:71]
	v_fmac_f64_e32 v[46:47], v[66:67], v[70:71]
	v_fma_f64 v[58:59], -v[66:67], v[72:73], v[58:59]
	v_fmac_f64_e32 v[46:47], v[20:21], v[72:73]
	v_cvt_f64_f32_e32 v[20:21], v62
	v_cvt_f64_f32_e32 v[62:63], v63
	v_fmac_f64_e32 v[58:59], v[20:21], v[14:15]
	v_fma_f64 v[58:59], -v[62:63], v[16:17], v[58:59]
	v_fmac_f64_e32 v[46:47], v[62:63], v[14:15]
	v_cvt_f64_f32_e32 v[62:63], v64
	v_cvt_f64_f32_e32 v[64:65], v65
	v_fmac_f64_e32 v[58:59], v[62:63], v[10:11]
	v_fmac_f64_e32 v[46:47], v[20:21], v[16:17]
	v_fma_f64 v[20:21], -v[64:65], v[12:13], v[58:59]
	v_cvt_f64_f32_e32 v[58:59], v26
	v_cvt_f64_f32_e32 v[26:27], v27
	v_fmac_f64_e32 v[56:57], v[58:59], v[74:75]
	v_fmac_f64_e32 v[40:41], v[26:27], v[74:75]
	v_fma_f64 v[56:57], -v[26:27], v[76:77], v[56:57]
	v_fmac_f64_e32 v[40:41], v[58:59], v[76:77]
	v_cvt_f64_f32_e32 v[26:27], v28
	v_cvt_f64_f32_e32 v[28:29], v29
	v_fmac_f64_e32 v[56:57], v[26:27], v[70:71]
	v_fmac_f64_e32 v[40:41], v[28:29], v[70:71]
	v_fma_f64 v[56:57], -v[28:29], v[72:73], v[56:57]
	v_fmac_f64_e32 v[40:41], v[26:27], v[72:73]
	;; [unrolled: 6-line block ×3, first 2 shown]
	v_cvt_f64_f32_e32 v[26:27], v24
	v_cvt_f64_f32_e32 v[24:25], v25
	v_fmac_f64_e32 v[46:47], v[64:65], v[10:11]
	v_fmac_f64_e32 v[28:29], v[26:27], v[10:11]
	;; [unrolled: 1-line block ×4, first 2 shown]
	v_fma_f64 v[22:23], -v[24:25], v[12:13], v[28:29]
	v_fmac_f64_e32 v[40:41], v[26:27], v[12:13]
	global_load_dwordx4 v[24:27], v[50:51], off offset:112
	global_load_dwordx4 v[56:59], v[50:51], off offset:96
	;; [unrolled: 1-line block ×4, first 2 shown]
	s_waitcnt vmcnt(0)
	v_cvt_f64_f32_e32 v[28:29], v66
	v_cvt_f64_f32_e32 v[66:67], v67
	v_fmac_f64_e32 v[60:61], v[28:29], v[74:75]
	v_fmac_f64_e32 v[36:37], v[66:67], v[74:75]
	v_fma_f64 v[60:61], -v[66:67], v[76:77], v[60:61]
	v_fmac_f64_e32 v[36:37], v[28:29], v[76:77]
	v_cvt_f64_f32_e32 v[28:29], v68
	v_cvt_f64_f32_e32 v[66:67], v69
	v_fmac_f64_e32 v[60:61], v[28:29], v[70:71]
	v_fmac_f64_e32 v[36:37], v[66:67], v[70:71]
	v_fma_f64 v[60:61], -v[66:67], v[72:73], v[60:61]
	v_fmac_f64_e32 v[36:37], v[28:29], v[72:73]
	;; [unrolled: 6-line block ×3, first 2 shown]
	v_cvt_f64_f32_e32 v[62:63], v65
	v_cvt_f64_f32_e32 v[28:29], v64
	v_fmac_f64_e32 v[36:37], v[62:63], v[10:11]
	v_fmac_f64_e32 v[60:61], v[28:29], v[10:11]
	;; [unrolled: 1-line block ×3, first 2 shown]
	v_cvt_f64_f32_e32 v[28:29], v56
	v_cvt_f64_f32_e32 v[56:57], v57
	v_fmac_f64_e32 v[18:19], v[28:29], v[74:75]
	v_fmac_f64_e32 v[34:35], v[56:57], v[74:75]
	v_fma_f64 v[18:19], -v[56:57], v[76:77], v[18:19]
	v_fmac_f64_e32 v[34:35], v[28:29], v[76:77]
	v_cvt_f64_f32_e32 v[28:29], v58
	v_cvt_f64_f32_e32 v[56:57], v59
	v_fmac_f64_e32 v[18:19], v[28:29], v[70:71]
	v_fmac_f64_e32 v[34:35], v[56:57], v[70:71]
	v_fma_f64 v[18:19], -v[56:57], v[72:73], v[18:19]
	v_fmac_f64_e32 v[34:35], v[28:29], v[72:73]
	v_cvt_f64_f32_e32 v[28:29], v24
	v_cvt_f64_f32_e32 v[24:25], v25
	v_fmac_f64_e32 v[18:19], v[28:29], v[14:15]
	v_fmac_f64_e32 v[34:35], v[24:25], v[14:15]
	v_fma_f64 v[18:19], -v[24:25], v[16:17], v[18:19]
	v_fmac_f64_e32 v[34:35], v[28:29], v[16:17]
	v_cvt_f64_f32_e32 v[14:15], v26
	v_cvt_f64_f32_e32 v[16:17], v27
	v_fmac_f64_e32 v[18:19], v[14:15], v[10:11]
	v_fmac_f64_e32 v[34:35], v[16:17], v[10:11]
	global_load_dwordx2 v[10:11], v[54:55], off offset:-512
	v_fma_f64 v[28:29], -v[16:17], v[12:13], v[18:19]
	v_fma_f64 v[78:79], -v[62:63], v[12:13], v[60:61]
	v_fmac_f64_e32 v[34:35], v[14:15], v[12:13]
	v_lshl_add_u64 v[76:77], v[50:51], 0, s[14:15]
	s_waitcnt vmcnt(0)
	v_sub_co_u32_e32 v18, vcc, v10, v32
	s_nop 1
	v_subb_co_u32_e32 v19, vcc, v11, v33, vcc
	v_add_co_u32_e32 v60, vcc, s26, v50
	v_lshlrev_b64 v[18:19], 6, v[18:19]
	s_nop 0
	v_addc_co_u32_e32 v61, vcc, 0, v51, vcc
	v_lshl_add_u64 v[18:19], s[4:5], 0, v[18:19]
	global_load_dwordx4 v[10:13], v[60:61], off
	global_load_dwordx4 v[14:17], v[76:77], off offset:48
	global_load_dwordx4 v[24:27], v[76:77], off offset:32
	;; [unrolled: 1-line block ×3, first 2 shown]
	s_nop 0
	global_load_dwordx4 v[60:63], v[18:19], off offset:48
	global_load_dwordx4 v[64:67], v[18:19], off offset:32
	;; [unrolled: 1-line block ×3, first 2 shown]
	global_load_dwordx4 v[72:75], v[18:19], off
	s_waitcnt vmcnt(7)
	v_cvt_f64_f32_e32 v[80:81], v10
	v_cvt_f64_f32_e32 v[10:11], v11
	s_waitcnt vmcnt(0)
	v_fmac_f64_e32 v[20:21], v[80:81], v[72:73]
	v_fmac_f64_e32 v[46:47], v[10:11], v[72:73]
	v_fma_f64 v[18:19], -v[10:11], v[74:75], v[20:21]
	v_fmac_f64_e32 v[46:47], v[80:81], v[74:75]
	v_cvt_f64_f32_e32 v[10:11], v12
	v_cvt_f64_f32_e32 v[12:13], v13
	v_fmac_f64_e32 v[18:19], v[10:11], v[68:69]
	v_fmac_f64_e32 v[46:47], v[12:13], v[68:69]
	v_fma_f64 v[18:19], -v[12:13], v[70:71], v[18:19]
	v_fmac_f64_e32 v[46:47], v[10:11], v[70:71]
	v_cvt_f64_f32_e32 v[10:11], v56
	v_cvt_f64_f32_e32 v[12:13], v57
	;; [unrolled: 6-line block ×6, first 2 shown]
	v_fmac_f64_e32 v[20:21], v[12:13], v[64:65]
	v_fma_f64 v[18:19], -v[14:15], v[66:67], v[20:21]
	v_fmac_f64_e32 v[40:41], v[14:15], v[64:65]
	v_cvt_f64_f32_e32 v[14:15], v16
	v_fmac_f64_e32 v[40:41], v[12:13], v[66:67]
	v_cvt_f64_f32_e32 v[16:17], v17
	v_fmac_f64_e32 v[18:19], v[14:15], v[60:61]
	v_fma_f64 v[12:13], -v[16:17], v[62:63], v[18:19]
	v_fmac_f64_e32 v[40:41], v[16:17], v[60:61]
	global_load_dwordx4 v[16:19], v[76:77], off offset:112
	global_load_dwordx4 v[20:23], v[76:77], off offset:96
	;; [unrolled: 1-line block ×4, first 2 shown]
	v_fmac_f64_e32 v[40:41], v[14:15], v[62:63]
	s_waitcnt vmcnt(0)
	v_cvt_f64_f32_e32 v[14:15], v56
	v_cvt_f64_f32_e32 v[56:57], v57
	v_fmac_f64_e32 v[78:79], v[14:15], v[72:73]
	v_fmac_f64_e32 v[36:37], v[56:57], v[72:73]
	v_fma_f64 v[76:77], -v[56:57], v[74:75], v[78:79]
	v_fmac_f64_e32 v[36:37], v[14:15], v[74:75]
	v_cvt_f64_f32_e32 v[14:15], v58
	v_cvt_f64_f32_e32 v[56:57], v59
	v_fmac_f64_e32 v[76:77], v[14:15], v[68:69]
	v_fmac_f64_e32 v[36:37], v[56:57], v[68:69]
	v_fma_f64 v[58:59], -v[56:57], v[70:71], v[76:77]
	v_fmac_f64_e32 v[36:37], v[14:15], v[70:71]
	;; [unrolled: 6-line block ×3, first 2 shown]
	v_cvt_f64_f32_e32 v[24:25], v26
	v_cvt_f64_f32_e32 v[26:27], v27
	v_fmac_f64_e32 v[36:37], v[26:27], v[60:61]
	v_fmac_f64_e32 v[56:57], v[24:25], v[60:61]
	;; [unrolled: 1-line block ×3, first 2 shown]
	v_cvt_f64_f32_e32 v[24:25], v20
	v_cvt_f64_f32_e32 v[20:21], v21
	v_fmac_f64_e32 v[28:29], v[24:25], v[72:73]
	v_fmac_f64_e32 v[34:35], v[20:21], v[72:73]
	v_fma_f64 v[14:15], -v[26:27], v[62:63], v[56:57]
	v_fma_f64 v[26:27], -v[20:21], v[74:75], v[28:29]
	v_fmac_f64_e32 v[34:35], v[24:25], v[74:75]
	v_cvt_f64_f32_e32 v[20:21], v22
	v_cvt_f64_f32_e32 v[22:23], v23
	v_fmac_f64_e32 v[26:27], v[20:21], v[68:69]
	v_fmac_f64_e32 v[34:35], v[22:23], v[68:69]
	v_fma_f64 v[24:25], -v[22:23], v[70:71], v[26:27]
	v_fmac_f64_e32 v[34:35], v[20:21], v[70:71]
	v_cvt_f64_f32_e32 v[20:21], v16
	v_cvt_f64_f32_e32 v[16:17], v17
	v_fmac_f64_e32 v[24:25], v[20:21], v[64:65]
	v_fmac_f64_e32 v[34:35], v[16:17], v[64:65]
	v_fma_f64 v[22:23], -v[16:17], v[66:67], v[24:25]
	v_fmac_f64_e32 v[34:35], v[20:21], v[66:67]
	v_cvt_f64_f32_e32 v[20:21], v18
	v_cvt_f64_f32_e32 v[18:19], v19
	v_fmac_f64_e32 v[22:23], v[20:21], v[60:61]
	v_fma_f64 v[16:17], -v[18:19], v[62:63], v[22:23]
	v_fmac_f64_e32 v[34:35], v[18:19], v[60:61]
	global_load_dwordx2 v[18:19], v[54:55], off
	v_fmac_f64_e32 v[34:35], v[20:21], v[62:63]
	v_lshl_add_u64 v[62:63], v[50:51], 0, s[16:17]
	s_waitcnt vmcnt(0)
	v_sub_co_u32_e32 v60, vcc, v18, v32
	s_nop 1
	v_subb_co_u32_e32 v61, vcc, v19, v33, vcc
	v_add_co_u32_e32 v64, vcc, s27, v50
	v_lshlrev_b64 v[60:61], 6, v[60:61]
	s_nop 0
	v_addc_co_u32_e32 v65, vcc, 0, v51, vcc
	v_lshl_add_u64 v[60:61], s[4:5], 0, v[60:61]
	global_load_dwordx4 v[18:21], v[64:65], off
	global_load_dwordx4 v[22:25], v[62:63], off offset:48
	global_load_dwordx4 v[56:59], v[62:63], off offset:32
	global_load_dwordx4 v[26:29], v[62:63], off offset:16
	s_nop 0
	global_load_dwordx4 v[64:67], v[60:61], off offset:48
	global_load_dwordx4 v[68:71], v[60:61], off offset:32
	;; [unrolled: 1-line block ×3, first 2 shown]
	global_load_dwordx4 v[76:79], v[60:61], off
	s_waitcnt vmcnt(7)
	v_cvt_f64_f32_e32 v[80:81], v18
	v_cvt_f64_f32_e32 v[18:19], v19
	s_waitcnt vmcnt(0)
	v_fmac_f64_e32 v[10:11], v[80:81], v[76:77]
	v_fmac_f64_e32 v[46:47], v[18:19], v[76:77]
	v_fma_f64 v[10:11], -v[18:19], v[78:79], v[10:11]
	v_fmac_f64_e32 v[46:47], v[80:81], v[78:79]
	v_cvt_f64_f32_e32 v[18:19], v20
	v_cvt_f64_f32_e32 v[20:21], v21
	v_fmac_f64_e32 v[10:11], v[18:19], v[72:73]
	v_fmac_f64_e32 v[46:47], v[20:21], v[72:73]
	v_fma_f64 v[10:11], -v[20:21], v[74:75], v[10:11]
	v_fmac_f64_e32 v[46:47], v[18:19], v[74:75]
	v_cvt_f64_f32_e32 v[18:19], v26
	v_cvt_f64_f32_e32 v[20:21], v27
	;; [unrolled: 6-line block ×7, first 2 shown]
	v_fmac_f64_e32 v[12:13], v[10:11], v[64:65]
	v_fmac_f64_e32 v[40:41], v[18:19], v[64:65]
	v_fma_f64 v[28:29], -v[18:19], v[66:67], v[12:13]
	v_fmac_f64_e32 v[40:41], v[10:11], v[66:67]
	global_load_dwordx4 v[10:13], v[62:63], off offset:112
	global_load_dwordx4 v[18:21], v[62:63], off offset:96
	;; [unrolled: 1-line block ×4, first 2 shown]
	s_waitcnt vmcnt(0)
	v_cvt_f64_f32_e32 v[60:61], v56
	v_cvt_f64_f32_e32 v[56:57], v57
	v_fmac_f64_e32 v[14:15], v[60:61], v[76:77]
	v_fmac_f64_e32 v[36:37], v[56:57], v[76:77]
	v_fma_f64 v[14:15], -v[56:57], v[78:79], v[14:15]
	v_fmac_f64_e32 v[36:37], v[60:61], v[78:79]
	v_cvt_f64_f32_e32 v[56:57], v58
	v_cvt_f64_f32_e32 v[58:59], v59
	v_fmac_f64_e32 v[14:15], v[56:57], v[72:73]
	v_fmac_f64_e32 v[36:37], v[58:59], v[72:73]
	v_fma_f64 v[14:15], -v[58:59], v[74:75], v[14:15]
	v_fmac_f64_e32 v[36:37], v[56:57], v[74:75]
	v_cvt_f64_f32_e32 v[56:57], v22
	v_cvt_f64_f32_e32 v[22:23], v23
	v_fmac_f64_e32 v[14:15], v[56:57], v[68:69]
	v_fma_f64 v[14:15], -v[22:23], v[70:71], v[14:15]
	v_fmac_f64_e32 v[36:37], v[22:23], v[68:69]
	v_cvt_f64_f32_e32 v[22:23], v24
	v_cvt_f64_f32_e32 v[24:25], v25
	v_fmac_f64_e32 v[14:15], v[22:23], v[64:65]
	v_fma_f64 v[60:61], -v[24:25], v[66:67], v[14:15]
	v_cvt_f64_f32_e32 v[14:15], v18
	v_cvt_f64_f32_e32 v[18:19], v19
	v_fmac_f64_e32 v[16:17], v[14:15], v[76:77]
	v_fmac_f64_e32 v[34:35], v[18:19], v[76:77]
	v_fma_f64 v[16:17], -v[18:19], v[78:79], v[16:17]
	v_fmac_f64_e32 v[34:35], v[14:15], v[78:79]
	v_cvt_f64_f32_e32 v[14:15], v20
	v_cvt_f64_f32_e32 v[18:19], v21
	v_fmac_f64_e32 v[16:17], v[14:15], v[72:73]
	v_fmac_f64_e32 v[34:35], v[18:19], v[72:73]
	v_fma_f64 v[16:17], -v[18:19], v[74:75], v[16:17]
	v_fmac_f64_e32 v[34:35], v[14:15], v[74:75]
	;; [unrolled: 6-line block ×3, first 2 shown]
	v_cvt_f64_f32_e32 v[10:11], v12
	v_cvt_f64_f32_e32 v[12:13], v13
	v_fmac_f64_e32 v[34:35], v[12:13], v[64:65]
	v_fmac_f64_e32 v[16:17], v[10:11], v[64:65]
	;; [unrolled: 1-line block ×3, first 2 shown]
	global_load_dwordx2 v[10:11], v[54:55], off offset:512
	v_fmac_f64_e32 v[36:37], v[56:57], v[70:71]
	v_fma_f64 v[62:63], -v[12:13], v[66:67], v[16:17]
	v_fmac_f64_e32 v[36:37], v[24:25], v[64:65]
	v_fmac_f64_e32 v[36:37], v[22:23], v[66:67]
	v_lshl_add_u64 v[64:65], v[50:51], 0, s[18:19]
	v_lshl_add_u64 v[54:55], v[54:55], 0, s[22:23]
	s_waitcnt vmcnt(0)
	v_sub_co_u32_e32 v10, vcc, v10, v32
	s_nop 1
	v_subb_co_u32_e32 v11, vcc, v11, v33, vcc
	v_add_co_u32_e32 v12, vcc, s28, v50
	v_lshlrev_b64 v[10:11], 6, v[10:11]
	s_nop 0
	v_addc_co_u32_e32 v13, vcc, 0, v51, vcc
	v_lshl_add_u64 v[80:81], s[4:5], 0, v[10:11]
	global_load_dwordx4 v[56:59], v[12:13], off
	global_load_dwordx4 v[66:69], v[64:65], off offset:48
	global_load_dwordx4 v[70:73], v[64:65], off offset:32
	;; [unrolled: 1-line block ×3, first 2 shown]
	s_nop 0
	global_load_dwordx4 v[10:13], v[80:81], off offset:48
	global_load_dwordx4 v[14:17], v[80:81], off offset:32
	;; [unrolled: 1-line block ×3, first 2 shown]
	global_load_dwordx4 v[22:25], v[80:81], off
	v_cmp_ge_i64_e32 vcc, v[52:53], v[42:43]
	v_lshl_add_u64 v[50:51], v[50:51], 0, s[24:25]
	s_or_b64 s[12:13], vcc, s[12:13]
	s_waitcnt vmcnt(7)
	v_cvt_f64_f32_e32 v[78:79], v56
	v_cvt_f64_f32_e32 v[56:57], v57
	s_waitcnt vmcnt(0)
	v_fmac_f64_e32 v[26:27], v[78:79], v[22:23]
	v_fmac_f64_e32 v[46:47], v[56:57], v[22:23]
	v_fma_f64 v[26:27], -v[56:57], v[24:25], v[26:27]
	v_fmac_f64_e32 v[46:47], v[78:79], v[24:25]
	v_cvt_f64_f32_e32 v[56:57], v58
	v_cvt_f64_f32_e32 v[58:59], v59
	v_fmac_f64_e32 v[26:27], v[56:57], v[18:19]
	v_fmac_f64_e32 v[46:47], v[58:59], v[18:19]
	v_fma_f64 v[26:27], -v[58:59], v[20:21], v[26:27]
	v_fmac_f64_e32 v[46:47], v[56:57], v[20:21]
	v_cvt_f64_f32_e32 v[56:57], v74
	v_cvt_f64_f32_e32 v[58:59], v75
	;; [unrolled: 6-line block ×7, first 2 shown]
	v_fmac_f64_e32 v[28:29], v[26:27], v[10:11]
	v_fmac_f64_e32 v[40:41], v[66:67], v[10:11]
	v_fma_f64 v[56:57], -v[66:67], v[12:13], v[28:29]
	v_fmac_f64_e32 v[40:41], v[26:27], v[12:13]
	global_load_dwordx4 v[26:29], v[64:65], off offset:112
	global_load_dwordx4 v[66:69], v[64:65], off offset:96
	;; [unrolled: 1-line block ×4, first 2 shown]
	s_waitcnt vmcnt(0)
	v_cvt_f64_f32_e32 v[64:65], v74
	v_cvt_f64_f32_e32 v[74:75], v75
	v_fmac_f64_e32 v[60:61], v[64:65], v[22:23]
	v_fmac_f64_e32 v[36:37], v[74:75], v[22:23]
	v_fma_f64 v[60:61], -v[74:75], v[24:25], v[60:61]
	v_fmac_f64_e32 v[36:37], v[64:65], v[24:25]
	v_cvt_f64_f32_e32 v[64:65], v76
	v_cvt_f64_f32_e32 v[74:75], v77
	v_fmac_f64_e32 v[60:61], v[64:65], v[18:19]
	v_fmac_f64_e32 v[36:37], v[74:75], v[18:19]
	v_fma_f64 v[60:61], -v[74:75], v[20:21], v[60:61]
	v_fmac_f64_e32 v[36:37], v[64:65], v[20:21]
	v_cvt_f64_f32_e32 v[64:65], v70
	v_cvt_f64_f32_e32 v[70:71], v71
	v_fmac_f64_e32 v[60:61], v[64:65], v[14:15]
	v_fmac_f64_e32 v[36:37], v[70:71], v[14:15]
	v_fma_f64 v[60:61], -v[70:71], v[16:17], v[60:61]
	v_fmac_f64_e32 v[36:37], v[64:65], v[16:17]
	v_cvt_f64_f32_e32 v[70:71], v73
	v_cvt_f64_f32_e32 v[64:65], v72
	v_fmac_f64_e32 v[36:37], v[70:71], v[10:11]
	v_fmac_f64_e32 v[60:61], v[64:65], v[10:11]
	;; [unrolled: 1-line block ×3, first 2 shown]
	v_cvt_f64_f32_e32 v[64:65], v66
	v_cvt_f64_f32_e32 v[66:67], v67
	v_fmac_f64_e32 v[62:63], v[64:65], v[22:23]
	v_fmac_f64_e32 v[34:35], v[66:67], v[22:23]
	v_fma_f64 v[62:63], -v[66:67], v[24:25], v[62:63]
	v_fmac_f64_e32 v[34:35], v[64:65], v[24:25]
	v_cvt_f64_f32_e32 v[22:23], v68
	v_cvt_f64_f32_e32 v[24:25], v69
	v_fmac_f64_e32 v[62:63], v[22:23], v[18:19]
	v_fmac_f64_e32 v[34:35], v[24:25], v[18:19]
	v_fma_f64 v[62:63], -v[24:25], v[20:21], v[62:63]
	v_fmac_f64_e32 v[34:35], v[22:23], v[20:21]
	;; [unrolled: 6-line block ×3, first 2 shown]
	v_cvt_f64_f32_e32 v[14:15], v28
	v_cvt_f64_f32_e32 v[16:17], v29
	v_fmac_f64_e32 v[22:23], v[14:15], v[10:11]
	v_fmac_f64_e32 v[34:35], v[16:17], v[10:11]
	v_fma_f64 v[60:61], -v[70:71], v[12:13], v[60:61]
	v_fma_f64 v[18:19], -v[16:17], v[12:13], v[22:23]
	v_fmac_f64_e32 v[34:35], v[14:15], v[12:13]
	s_andn2_b64 exec, exec, s[12:13]
	s_cbranch_execnz .LBB179_21
; %bb.22:
	s_or_b64 exec, exec, s[12:13]
.LBB179_23:
	s_or_b64 exec, exec, s[10:11]
.LBB179_24:
	s_or_b64 exec, exec, s[6:7]
	s_cbranch_execz .LBB179_26
	s_branch .LBB179_37
.LBB179_25:
                                        ; implicit-def: $vgpr46_vgpr47
                                        ; implicit-def: $vgpr58_vgpr59
                                        ; implicit-def: $vgpr40_vgpr41
                                        ; implicit-def: $vgpr56_vgpr57
                                        ; implicit-def: $vgpr36_vgpr37
                                        ; implicit-def: $vgpr60_vgpr61
                                        ; implicit-def: $vgpr34_vgpr35
                                        ; implicit-def: $vgpr18_vgpr19
.LBB179_26:
	v_mov_b64_e32 v[46:47], 0
	v_mov_b64_e32 v[58:59], 0
	;; [unrolled: 1-line block ×8, first 2 shown]
	s_and_saveexec_b64 s[6:7], s[2:3]
	s_cbranch_execz .LBB179_36
; %bb.27:
	v_or_b32_e32 v1, 64, v0
	v_sub_co_u32_e32 v10, vcc, v1, v32
	v_not_b32_e32 v13, v49
	s_nop 0
	v_subb_co_u32_e32 v11, vcc, 0, v33, vcc
	v_lshl_add_u64 v[10:11], v[10:11], 0, v[48:49]
	v_cmp_gt_i64_e32 vcc, v[10:11], v[42:43]
	v_not_b32_e32 v12, v48
	s_mov_b64 s[2:3], 0xc0
	v_cndmask_b32_e32 v11, v43, v11, vcc
	v_cndmask_b32_e32 v10, v42, v10, vcc
	v_sub_co_u32_e32 v14, vcc, v32, v0
	v_mov_b64_e32 v[18:19], 0
	s_nop 0
	v_subbrev_co_u32_e32 v15, vcc, 0, v33, vcc
	v_lshl_add_u64 v[12:13], v[14:15], 0, v[12:13]
	v_lshl_add_u64 v[10:11], v[12:13], 0, v[10:11]
	v_and_b32_e32 v12, 0xc0, v10
	v_mov_b32_e32 v13, 0
	v_cmp_ne_u64_e32 vcc, s[2:3], v[12:13]
	v_mov_b64_e32 v[34:35], 0
	v_mov_b64_e32 v[60:61], 0
	;; [unrolled: 1-line block ×7, first 2 shown]
	s_and_saveexec_b64 s[2:3], vcc
	s_cbranch_execz .LBB179_31
; %bb.28:
	v_lshrrev_b32_e32 v1, 6, v10
	v_add_u32_e32 v1, 1, v1
	v_and_b32_e32 v1, 3, v1
	v_sub_co_u32_e32 v14, vcc, 0, v1
	v_lshl_add_u64 v[12:13], v[38:39], 3, s[8:9]
	s_nop 0
	v_subb_co_u32_e64 v15, s[12:13], 0, 0, vcc
	s_mov_b64 s[10:11], 0
	v_mov_b64_e32 v[46:47], 0
	s_mov_b64 s[12:13], 0x2000
	s_mov_b64 s[14:15], 0x200
	v_mov_b64_e32 v[58:59], 0
	v_mov_b64_e32 v[40:41], 0
	;; [unrolled: 1-line block ×7, first 2 shown]
.LBB179_29:                             ; =>This Inner Loop Header: Depth=1
	global_load_dwordx2 v[16:17], v[12:13], off
	global_load_dwordx4 v[20:23], v[44:45], off
	global_load_dwordx4 v[24:27], v[44:45], off offset:16
	global_load_dwordx4 v[48:51], v[44:45], off offset:32
	;; [unrolled: 1-line block ×7, first 2 shown]
	v_lshl_add_u64 v[14:15], v[14:15], 0, 1
	v_cmp_eq_u64_e32 vcc, 0, v[14:15]
	s_or_b64 s[10:11], vcc, s[10:11]
	v_lshl_add_u64 v[44:45], v[44:45], 0, s[12:13]
	v_lshl_add_u64 v[38:39], v[38:39], 0, 64
	;; [unrolled: 1-line block ×3, first 2 shown]
	s_waitcnt vmcnt(8)
	v_sub_co_u32_e32 v16, vcc, v16, v32
	s_nop 1
	v_subb_co_u32_e32 v17, vcc, v17, v33, vcc
	v_lshlrev_b64 v[16:17], 6, v[16:17]
	v_lshl_add_u64 v[16:17], s[4:5], 0, v[16:17]
	s_waitcnt vmcnt(7)
	v_cvt_f64_f32_e32 v[28:29], v20
	v_cvt_f64_f32_e32 v[82:83], v21
	v_cvt_f64_f32_e32 v[84:85], v22
	v_cvt_f64_f32_e32 v[86:87], v23
	s_waitcnt vmcnt(6)
	v_cvt_f64_f32_e32 v[88:89], v24
	v_cvt_f64_f32_e32 v[90:91], v25
	v_cvt_f64_f32_e32 v[92:93], v26
	v_cvt_f64_f32_e32 v[94:95], v27
	;; [unrolled: 5-line block ×3, first 2 shown]
	global_load_dwordx4 v[20:23], v[16:17], off
	global_load_dwordx4 v[24:27], v[16:17], off offset:16
	global_load_dwordx4 v[48:51], v[16:17], off offset:32
	;; [unrolled: 1-line block ×3, first 2 shown]
	s_waitcnt vmcnt(8)
	v_cvt_f64_f32_e32 v[104:105], v52
	v_cvt_f64_f32_e32 v[52:53], v53
	v_cvt_f64_f32_e32 v[106:107], v54
	v_cvt_f64_f32_e32 v[16:17], v55
	s_waitcnt vmcnt(7)
	v_cvt_f64_f32_e32 v[54:55], v62
	v_cvt_f64_f32_e32 v[62:63], v63
	v_cvt_f64_f32_e32 v[108:109], v64
	v_cvt_f64_f32_e32 v[64:65], v65
	;; [unrolled: 5-line block ×5, first 2 shown]
	s_waitcnt vmcnt(3)
	v_fmac_f64_e32 v[58:59], v[28:29], v[20:21]
	v_fmac_f64_e32 v[46:47], v[82:83], v[20:21]
	v_fmac_f64_e32 v[56:57], v[84:85], v[20:21]
	v_fmac_f64_e32 v[40:41], v[86:87], v[20:21]
	v_fmac_f64_e32 v[60:61], v[88:89], v[20:21]
	v_fmac_f64_e32 v[36:37], v[90:91], v[20:21]
	v_fmac_f64_e32 v[18:19], v[92:93], v[20:21]
	v_fmac_f64_e32 v[34:35], v[94:95], v[20:21]
	v_fma_f64 v[20:21], -v[82:83], v[22:23], v[58:59]
	v_fmac_f64_e32 v[46:47], v[28:29], v[22:23]
	v_fma_f64 v[28:29], -v[86:87], v[22:23], v[56:57]
	v_fmac_f64_e32 v[40:41], v[84:85], v[22:23]
	v_fma_f64 v[56:57], -v[90:91], v[22:23], v[60:61]
	v_fmac_f64_e32 v[36:37], v[88:89], v[22:23]
	v_fma_f64 v[18:19], -v[94:95], v[22:23], v[18:19]
	v_fmac_f64_e32 v[34:35], v[92:93], v[22:23]
	s_waitcnt vmcnt(2)
	v_fmac_f64_e32 v[20:21], v[96:97], v[24:25]
	v_fmac_f64_e32 v[46:47], v[98:99], v[24:25]
	v_fmac_f64_e32 v[28:29], v[100:101], v[24:25]
	v_fmac_f64_e32 v[40:41], v[102:103], v[24:25]
	v_fmac_f64_e32 v[56:57], v[104:105], v[24:25]
	v_fmac_f64_e32 v[36:37], v[52:53], v[24:25]
	v_fmac_f64_e32 v[18:19], v[106:107], v[24:25]
	v_fmac_f64_e32 v[34:35], v[16:17], v[24:25]
	v_fma_f64 v[20:21], -v[98:99], v[26:27], v[20:21]
	v_fmac_f64_e32 v[46:47], v[96:97], v[26:27]
	v_fma_f64 v[22:23], -v[102:103], v[26:27], v[28:29]
	v_fmac_f64_e32 v[40:41], v[100:101], v[26:27]
	v_fma_f64 v[24:25], -v[52:53], v[26:27], v[56:57]
	v_fmac_f64_e32 v[36:37], v[104:105], v[26:27]
	v_fma_f64 v[16:17], -v[16:17], v[26:27], v[18:19]
	v_fmac_f64_e32 v[34:35], v[106:107], v[26:27]
	;; [unrolled: 17-line block ×4, first 2 shown]
	s_andn2_b64 exec, exec, s[10:11]
	s_cbranch_execnz .LBB179_29
; %bb.30:
	s_or_b64 exec, exec, s[10:11]
.LBB179_31:
	s_or_b64 exec, exec, s[2:3]
	s_mov_b64 s[2:3], 0xbf
	v_cmp_lt_u64_e32 vcc, s[2:3], v[10:11]
	s_and_saveexec_b64 s[2:3], vcc
	s_cbranch_execz .LBB179_35
; %bb.32:
	v_lshl_add_u64 v[10:11], v[38:39], 3, s[8:9]
	s_mov_b64 s[8:9], 0x400
	v_lshl_add_u64 v[22:23], v[10:11], 0, s[8:9]
	s_mov_b64 s[8:9], 0
	s_mov_b64 s[10:11], 0x2000
	s_movk_i32 s22, 0x2000
	s_mov_b64 s[12:13], 0x4000
	s_movk_i32 s23, 0x4000
	;; [unrolled: 2-line block ×3, first 2 shown]
	s_mov_b64 s[16:17], 0x100
	s_mov_b64 s[18:19], 0x800
	;; [unrolled: 1-line block ×3, first 2 shown]
.LBB179_33:                             ; =>This Inner Loop Header: Depth=1
	global_load_dwordx2 v[10:11], v[22:23], off offset:-1024
	global_load_dwordx4 v[14:17], v[44:45], off offset:48
	global_load_dwordx4 v[24:27], v[44:45], off offset:32
	;; [unrolled: 1-line block ×3, first 2 shown]
	global_load_dwordx4 v[52:55], v[44:45], off
	v_lshl_add_u64 v[38:39], v[38:39], 0, s[16:17]
	s_waitcnt vmcnt(4)
	v_sub_co_u32_e32 v10, vcc, v10, v32
	s_nop 1
	v_subb_co_u32_e32 v11, vcc, v11, v33, vcc
	v_lshlrev_b64 v[10:11], 6, v[10:11]
	s_waitcnt vmcnt(0)
	v_cvt_f64_f32_e32 v[20:21], v52
	v_cvt_f64_f32_e32 v[28:29], v53
	v_lshl_add_u64 v[52:53], s[4:5], 0, v[10:11]
	global_load_dwordx4 v[10:13], v[52:53], off offset:48
	global_load_dwordx4 v[62:65], v[52:53], off offset:32
	;; [unrolled: 1-line block ×3, first 2 shown]
	global_load_dwordx4 v[70:73], v[52:53], off
	s_waitcnt vmcnt(0)
	v_fmac_f64_e32 v[58:59], v[20:21], v[70:71]
	v_fma_f64 v[52:53], -v[28:29], v[72:73], v[58:59]
	v_fmac_f64_e32 v[46:47], v[28:29], v[70:71]
	v_cvt_f64_f32_e32 v[28:29], v55
	v_fmac_f64_e32 v[46:47], v[20:21], v[72:73]
	v_cvt_f64_f32_e32 v[20:21], v54
	v_fmac_f64_e32 v[40:41], v[28:29], v[70:71]
	v_fmac_f64_e32 v[56:57], v[20:21], v[70:71]
	;; [unrolled: 1-line block ×3, first 2 shown]
	v_cvt_f64_f32_e32 v[20:21], v48
	v_fma_f64 v[54:55], -v[28:29], v[72:73], v[56:57]
	v_cvt_f64_f32_e32 v[28:29], v49
	v_fmac_f64_e32 v[60:61], v[20:21], v[70:71]
	v_fma_f64 v[48:49], -v[28:29], v[72:73], v[60:61]
	v_fmac_f64_e32 v[36:37], v[28:29], v[70:71]
	v_cvt_f64_f32_e32 v[28:29], v51
	v_fmac_f64_e32 v[36:37], v[20:21], v[72:73]
	v_cvt_f64_f32_e32 v[20:21], v50
	v_fmac_f64_e32 v[34:35], v[28:29], v[70:71]
	v_fmac_f64_e32 v[18:19], v[20:21], v[70:71]
	v_fmac_f64_e32 v[34:35], v[20:21], v[72:73]
	v_cvt_f64_f32_e32 v[20:21], v24
	v_cvt_f64_f32_e32 v[24:25], v25
	v_fmac_f64_e32 v[52:53], v[20:21], v[66:67]
	v_fma_f64 v[18:19], -v[28:29], v[72:73], v[18:19]
	v_fma_f64 v[28:29], -v[24:25], v[68:69], v[52:53]
	v_fmac_f64_e32 v[46:47], v[24:25], v[66:67]
	v_cvt_f64_f32_e32 v[24:25], v27
	v_fmac_f64_e32 v[46:47], v[20:21], v[68:69]
	v_cvt_f64_f32_e32 v[20:21], v26
	v_fmac_f64_e32 v[40:41], v[24:25], v[66:67]
	v_fmac_f64_e32 v[54:55], v[20:21], v[66:67]
	;; [unrolled: 1-line block ×3, first 2 shown]
	v_cvt_f64_f32_e32 v[20:21], v14
	v_cvt_f64_f32_e32 v[14:15], v15
	v_fmac_f64_e32 v[48:49], v[20:21], v[66:67]
	v_fma_f64 v[52:53], -v[24:25], v[68:69], v[54:55]
	v_fma_f64 v[54:55], -v[14:15], v[68:69], v[48:49]
	v_fmac_f64_e32 v[36:37], v[14:15], v[66:67]
	v_cvt_f64_f32_e32 v[14:15], v16
	v_cvt_f64_f32_e32 v[16:17], v17
	v_fmac_f64_e32 v[18:19], v[14:15], v[66:67]
	v_fmac_f64_e32 v[34:35], v[16:17], v[66:67]
	v_fmac_f64_e32 v[36:37], v[20:21], v[68:69]
	v_fma_f64 v[56:57], -v[16:17], v[68:69], v[18:19]
	v_fmac_f64_e32 v[34:35], v[14:15], v[68:69]
	global_load_dwordx4 v[14:17], v[44:45], off offset:112
	global_load_dwordx4 v[18:21], v[44:45], off offset:96
	;; [unrolled: 1-line block ×4, first 2 shown]
	v_lshl_add_u64 v[70:71], v[44:45], 0, s[10:11]
	s_waitcnt vmcnt(0)
	v_cvt_f64_f32_e32 v[58:59], v48
	v_cvt_f64_f32_e32 v[48:49], v49
	v_fmac_f64_e32 v[28:29], v[58:59], v[62:63]
	v_fma_f64 v[28:29], -v[48:49], v[64:65], v[28:29]
	v_fmac_f64_e32 v[46:47], v[48:49], v[62:63]
	v_cvt_f64_f32_e32 v[48:49], v50
	v_cvt_f64_f32_e32 v[50:51], v51
	v_fmac_f64_e32 v[40:41], v[50:51], v[62:63]
	v_fmac_f64_e32 v[52:53], v[48:49], v[62:63]
	;; [unrolled: 1-line block ×3, first 2 shown]
	v_cvt_f64_f32_e32 v[48:49], v24
	v_cvt_f64_f32_e32 v[24:25], v25
	v_fmac_f64_e32 v[54:55], v[48:49], v[62:63]
	v_fma_f64 v[52:53], -v[50:51], v[64:65], v[52:53]
	v_fma_f64 v[50:51], -v[24:25], v[64:65], v[54:55]
	v_fmac_f64_e32 v[36:37], v[24:25], v[62:63]
	v_cvt_f64_f32_e32 v[24:25], v26
	v_cvt_f64_f32_e32 v[26:27], v27
	v_fmac_f64_e32 v[34:35], v[26:27], v[62:63]
	v_fmac_f64_e32 v[56:57], v[24:25], v[62:63]
	v_fmac_f64_e32 v[34:35], v[24:25], v[64:65]
	v_cvt_f64_f32_e32 v[24:25], v18
	v_fmac_f64_e32 v[46:47], v[58:59], v[64:65]
	v_cvt_f64_f32_e32 v[18:19], v19
	v_fmac_f64_e32 v[28:29], v[24:25], v[10:11]
	v_fma_f64 v[28:29], -v[18:19], v[12:13], v[28:29]
	v_fmac_f64_e32 v[46:47], v[18:19], v[10:11]
	v_cvt_f64_f32_e32 v[18:19], v20
	v_cvt_f64_f32_e32 v[20:21], v21
	v_fmac_f64_e32 v[40:41], v[20:21], v[10:11]
	v_fmac_f64_e32 v[52:53], v[18:19], v[10:11]
	;; [unrolled: 1-line block ×3, first 2 shown]
	v_cvt_f64_f32_e32 v[18:19], v14
	v_fmac_f64_e32 v[36:37], v[48:49], v[64:65]
	v_cvt_f64_f32_e32 v[14:15], v15
	v_fmac_f64_e32 v[50:51], v[18:19], v[10:11]
	v_fma_f64 v[48:49], -v[26:27], v[64:65], v[56:57]
	v_fma_f64 v[66:67], -v[14:15], v[12:13], v[50:51]
	v_fmac_f64_e32 v[36:37], v[14:15], v[10:11]
	v_cvt_f64_f32_e32 v[14:15], v16
	v_cvt_f64_f32_e32 v[16:17], v17
	v_fmac_f64_e32 v[48:49], v[14:15], v[10:11]
	v_fmac_f64_e32 v[34:35], v[16:17], v[10:11]
	global_load_dwordx2 v[10:11], v[22:23], off offset:-512
	v_fma_f64 v[68:69], -v[16:17], v[12:13], v[48:49]
	v_fmac_f64_e32 v[46:47], v[24:25], v[12:13]
	v_fma_f64 v[64:65], -v[20:21], v[12:13], v[52:53]
	v_fmac_f64_e32 v[36:37], v[18:19], v[12:13]
	v_fmac_f64_e32 v[34:35], v[14:15], v[12:13]
	s_waitcnt vmcnt(0)
	v_sub_co_u32_e32 v48, vcc, v10, v32
	s_nop 1
	v_subb_co_u32_e32 v49, vcc, v11, v33, vcc
	v_add_co_u32_e32 v50, vcc, s22, v44
	v_lshlrev_b64 v[48:49], 6, v[48:49]
	s_nop 0
	v_addc_co_u32_e32 v51, vcc, 0, v45, vcc
	v_lshl_add_u64 v[74:75], s[4:5], 0, v[48:49]
	global_load_dwordx4 v[10:13], v[50:51], off
	global_load_dwordx4 v[14:17], v[70:71], off offset:48
	global_load_dwordx4 v[18:21], v[70:71], off offset:32
	global_load_dwordx4 v[24:27], v[70:71], off offset:16
	s_nop 0
	global_load_dwordx4 v[48:51], v[74:75], off offset:48
	global_load_dwordx4 v[52:55], v[74:75], off offset:32
	;; [unrolled: 1-line block ×3, first 2 shown]
	global_load_dwordx4 v[60:63], v[74:75], off
	s_waitcnt vmcnt(7)
	v_cvt_f64_f32_e32 v[72:73], v10
	v_cvt_f64_f32_e32 v[10:11], v11
	s_waitcnt vmcnt(0)
	v_fmac_f64_e32 v[28:29], v[72:73], v[60:61]
	v_fma_f64 v[28:29], -v[10:11], v[62:63], v[28:29]
	v_fmac_f64_e32 v[46:47], v[10:11], v[60:61]
	v_cvt_f64_f32_e32 v[10:11], v12
	v_cvt_f64_f32_e32 v[12:13], v13
	v_fmac_f64_e32 v[64:65], v[10:11], v[60:61]
	v_fmac_f64_e32 v[40:41], v[12:13], v[60:61]
	v_fma_f64 v[64:65], -v[12:13], v[62:63], v[64:65]
	v_fmac_f64_e32 v[40:41], v[10:11], v[62:63]
	v_cvt_f64_f32_e32 v[10:11], v24
	v_cvt_f64_f32_e32 v[12:13], v25
	v_fmac_f64_e32 v[66:67], v[10:11], v[60:61]
	;; [unrolled: 6-line block ×3, first 2 shown]
	v_fmac_f64_e32 v[34:35], v[12:13], v[60:61]
	v_fmac_f64_e32 v[46:47], v[72:73], v[62:63]
	v_fma_f64 v[26:27], -v[12:13], v[62:63], v[68:69]
	v_fmac_f64_e32 v[34:35], v[10:11], v[62:63]
	v_cvt_f64_f32_e32 v[10:11], v18
	v_cvt_f64_f32_e32 v[12:13], v19
	v_fmac_f64_e32 v[28:29], v[10:11], v[56:57]
	v_fmac_f64_e32 v[46:47], v[12:13], v[56:57]
	v_fma_f64 v[28:29], -v[12:13], v[58:59], v[28:29]
	v_fmac_f64_e32 v[46:47], v[10:11], v[58:59]
	v_cvt_f64_f32_e32 v[10:11], v20
	v_cvt_f64_f32_e32 v[12:13], v21
	;; [unrolled: 6-line block ×4, first 2 shown]
	v_fmac_f64_e32 v[26:27], v[10:11], v[56:57]
	v_fmac_f64_e32 v[34:35], v[12:13], v[56:57]
	v_fma_f64 v[64:65], -v[12:13], v[58:59], v[26:27]
	v_fmac_f64_e32 v[34:35], v[10:11], v[58:59]
	global_load_dwordx4 v[14:17], v[70:71], off offset:112
	global_load_dwordx4 v[10:13], v[70:71], off offset:96
	;; [unrolled: 1-line block ×4, first 2 shown]
	v_lshl_add_u64 v[72:73], v[44:45], 0, s[12:13]
	s_waitcnt vmcnt(0)
	v_cvt_f64_f32_e32 v[56:57], v24
	v_cvt_f64_f32_e32 v[24:25], v25
	v_fmac_f64_e32 v[28:29], v[56:57], v[52:53]
	v_fma_f64 v[28:29], -v[24:25], v[54:55], v[28:29]
	v_fmac_f64_e32 v[46:47], v[24:25], v[52:53]
	v_cvt_f64_f32_e32 v[24:25], v26
	v_cvt_f64_f32_e32 v[26:27], v27
	v_fmac_f64_e32 v[40:41], v[26:27], v[52:53]
	v_fmac_f64_e32 v[60:61], v[24:25], v[52:53]
	v_fmac_f64_e32 v[40:41], v[24:25], v[54:55]
	v_cvt_f64_f32_e32 v[24:25], v18
	v_cvt_f64_f32_e32 v[18:19], v19
	v_fmac_f64_e32 v[62:63], v[24:25], v[52:53]
	v_fmac_f64_e32 v[46:47], v[56:57], v[54:55]
	v_fma_f64 v[56:57], -v[26:27], v[54:55], v[60:61]
	v_fma_f64 v[26:27], -v[18:19], v[54:55], v[62:63]
	v_fmac_f64_e32 v[36:37], v[18:19], v[52:53]
	v_cvt_f64_f32_e32 v[18:19], v20
	v_cvt_f64_f32_e32 v[20:21], v21
	v_fmac_f64_e32 v[34:35], v[20:21], v[52:53]
	v_fmac_f64_e32 v[64:65], v[18:19], v[52:53]
	;; [unrolled: 1-line block ×3, first 2 shown]
	v_cvt_f64_f32_e32 v[18:19], v10
	v_fmac_f64_e32 v[36:37], v[24:25], v[54:55]
	v_fma_f64 v[24:25], -v[20:21], v[54:55], v[64:65]
	v_cvt_f64_f32_e32 v[20:21], v11
	v_fmac_f64_e32 v[28:29], v[18:19], v[48:49]
	v_fma_f64 v[10:11], -v[20:21], v[50:51], v[28:29]
	v_fmac_f64_e32 v[46:47], v[20:21], v[48:49]
	v_cvt_f64_f32_e32 v[20:21], v13
	v_fmac_f64_e32 v[46:47], v[18:19], v[50:51]
	v_cvt_f64_f32_e32 v[18:19], v12
	v_fmac_f64_e32 v[40:41], v[20:21], v[48:49]
	v_fmac_f64_e32 v[56:57], v[18:19], v[48:49]
	;; [unrolled: 1-line block ×3, first 2 shown]
	v_cvt_f64_f32_e32 v[18:19], v14
	v_fma_f64 v[12:13], -v[20:21], v[50:51], v[56:57]
	v_cvt_f64_f32_e32 v[20:21], v15
	v_fmac_f64_e32 v[26:27], v[18:19], v[48:49]
	v_fma_f64 v[14:15], -v[20:21], v[50:51], v[26:27]
	v_fmac_f64_e32 v[36:37], v[20:21], v[48:49]
	v_cvt_f64_f32_e32 v[20:21], v17
	v_fmac_f64_e32 v[36:37], v[18:19], v[50:51]
	v_cvt_f64_f32_e32 v[18:19], v16
	v_fmac_f64_e32 v[34:35], v[20:21], v[48:49]
	v_fmac_f64_e32 v[24:25], v[18:19], v[48:49]
	;; [unrolled: 1-line block ×3, first 2 shown]
	global_load_dwordx2 v[18:19], v[22:23], off
	v_fma_f64 v[16:17], -v[20:21], v[50:51], v[24:25]
	s_waitcnt vmcnt(0)
	v_sub_co_u32_e32 v28, vcc, v18, v32
	s_nop 1
	v_subb_co_u32_e32 v29, vcc, v19, v33, vcc
	v_add_co_u32_e32 v56, vcc, s23, v44
	v_lshlrev_b64 v[28:29], 6, v[28:29]
	s_nop 0
	v_addc_co_u32_e32 v57, vcc, 0, v45, vcc
	v_lshl_add_u64 v[28:29], s[4:5], 0, v[28:29]
	global_load_dwordx4 v[18:21], v[56:57], off
	global_load_dwordx4 v[24:27], v[72:73], off offset:48
	global_load_dwordx4 v[48:51], v[72:73], off offset:32
	;; [unrolled: 1-line block ×3, first 2 shown]
	s_nop 0
	global_load_dwordx4 v[56:59], v[28:29], off offset:48
	global_load_dwordx4 v[60:63], v[28:29], off offset:32
	;; [unrolled: 1-line block ×3, first 2 shown]
	global_load_dwordx4 v[68:71], v[28:29], off
	s_waitcnt vmcnt(7)
	v_cvt_f64_f32_e32 v[74:75], v18
	v_cvt_f64_f32_e32 v[18:19], v19
	s_waitcnt vmcnt(0)
	v_fmac_f64_e32 v[10:11], v[74:75], v[68:69]
	v_fma_f64 v[10:11], -v[18:19], v[70:71], v[10:11]
	v_fmac_f64_e32 v[46:47], v[18:19], v[68:69]
	v_cvt_f64_f32_e32 v[18:19], v20
	v_cvt_f64_f32_e32 v[20:21], v21
	v_fmac_f64_e32 v[12:13], v[18:19], v[68:69]
	v_fmac_f64_e32 v[40:41], v[20:21], v[68:69]
	v_fma_f64 v[12:13], -v[20:21], v[70:71], v[12:13]
	v_fmac_f64_e32 v[40:41], v[18:19], v[70:71]
	v_cvt_f64_f32_e32 v[18:19], v52
	v_cvt_f64_f32_e32 v[20:21], v53
	v_fmac_f64_e32 v[14:15], v[18:19], v[68:69]
	v_fmac_f64_e32 v[36:37], v[20:21], v[68:69]
	v_fma_f64 v[14:15], -v[20:21], v[70:71], v[14:15]
	v_fmac_f64_e32 v[36:37], v[18:19], v[70:71]
	v_cvt_f64_f32_e32 v[18:19], v54
	v_cvt_f64_f32_e32 v[20:21], v55
	v_fmac_f64_e32 v[16:17], v[18:19], v[68:69]
	v_fmac_f64_e32 v[34:35], v[20:21], v[68:69]
	v_fmac_f64_e32 v[46:47], v[74:75], v[70:71]
	v_fma_f64 v[16:17], -v[20:21], v[70:71], v[16:17]
	v_fmac_f64_e32 v[34:35], v[18:19], v[70:71]
	v_cvt_f64_f32_e32 v[18:19], v48
	v_cvt_f64_f32_e32 v[20:21], v49
	v_fmac_f64_e32 v[10:11], v[18:19], v[64:65]
	v_fmac_f64_e32 v[46:47], v[20:21], v[64:65]
	v_fma_f64 v[28:29], -v[20:21], v[66:67], v[10:11]
	v_fmac_f64_e32 v[46:47], v[18:19], v[66:67]
	v_cvt_f64_f32_e32 v[10:11], v50
	v_cvt_f64_f32_e32 v[18:19], v51
	v_fmac_f64_e32 v[12:13], v[10:11], v[64:65]
	v_fmac_f64_e32 v[40:41], v[18:19], v[64:65]
	v_fma_f64 v[48:49], -v[18:19], v[66:67], v[12:13]
	v_fmac_f64_e32 v[40:41], v[10:11], v[66:67]
	v_cvt_f64_f32_e32 v[10:11], v24
	v_cvt_f64_f32_e32 v[12:13], v25
	v_fmac_f64_e32 v[14:15], v[10:11], v[64:65]
	v_fmac_f64_e32 v[36:37], v[12:13], v[64:65]
	v_fma_f64 v[50:51], -v[12:13], v[66:67], v[14:15]
	v_fmac_f64_e32 v[36:37], v[10:11], v[66:67]
	v_cvt_f64_f32_e32 v[10:11], v26
	v_cvt_f64_f32_e32 v[12:13], v27
	v_fmac_f64_e32 v[16:17], v[10:11], v[64:65]
	v_fmac_f64_e32 v[34:35], v[12:13], v[64:65]
	v_fma_f64 v[52:53], -v[12:13], v[66:67], v[16:17]
	v_fmac_f64_e32 v[34:35], v[10:11], v[66:67]
	global_load_dwordx4 v[10:13], v[72:73], off offset:112
	global_load_dwordx4 v[14:17], v[72:73], off offset:96
	global_load_dwordx4 v[18:21], v[72:73], off offset:80
	global_load_dwordx4 v[24:27], v[72:73], off offset:64
	s_waitcnt vmcnt(0)
	v_cvt_f64_f32_e32 v[54:55], v24
	v_cvt_f64_f32_e32 v[24:25], v25
	v_fmac_f64_e32 v[28:29], v[54:55], v[60:61]
	v_fma_f64 v[28:29], -v[24:25], v[62:63], v[28:29]
	v_fmac_f64_e32 v[46:47], v[24:25], v[60:61]
	v_cvt_f64_f32_e32 v[24:25], v26
	v_cvt_f64_f32_e32 v[26:27], v27
	v_fmac_f64_e32 v[40:41], v[26:27], v[60:61]
	v_fmac_f64_e32 v[48:49], v[24:25], v[60:61]
	v_fmac_f64_e32 v[40:41], v[24:25], v[62:63]
	v_cvt_f64_f32_e32 v[24:25], v18
	v_cvt_f64_f32_e32 v[18:19], v19
	v_fmac_f64_e32 v[50:51], v[24:25], v[60:61]
	v_fma_f64 v[48:49], -v[26:27], v[62:63], v[48:49]
	v_fma_f64 v[26:27], -v[18:19], v[62:63], v[50:51]
	v_fmac_f64_e32 v[36:37], v[18:19], v[60:61]
	v_cvt_f64_f32_e32 v[18:19], v20
	v_cvt_f64_f32_e32 v[20:21], v21
	v_fmac_f64_e32 v[52:53], v[18:19], v[60:61]
	v_fma_f64 v[50:51], -v[20:21], v[62:63], v[52:53]
	v_fmac_f64_e32 v[34:35], v[20:21], v[60:61]
	v_cvt_f64_f32_e32 v[20:21], v14
	v_fmac_f64_e32 v[46:47], v[54:55], v[62:63]
	v_cvt_f64_f32_e32 v[14:15], v15
	v_fmac_f64_e32 v[28:29], v[20:21], v[56:57]
	v_fmac_f64_e32 v[34:35], v[18:19], v[62:63]
	v_fma_f64 v[18:19], -v[14:15], v[58:59], v[28:29]
	v_fmac_f64_e32 v[46:47], v[14:15], v[56:57]
	v_cvt_f64_f32_e32 v[14:15], v16
	v_cvt_f64_f32_e32 v[16:17], v17
	v_fmac_f64_e32 v[40:41], v[16:17], v[56:57]
	v_fmac_f64_e32 v[48:49], v[14:15], v[56:57]
	;; [unrolled: 1-line block ×3, first 2 shown]
	v_cvt_f64_f32_e32 v[14:15], v10
	v_fmac_f64_e32 v[36:37], v[24:25], v[62:63]
	v_cvt_f64_f32_e32 v[10:11], v11
	v_fmac_f64_e32 v[26:27], v[14:15], v[56:57]
	v_fma_f64 v[24:25], -v[10:11], v[58:59], v[26:27]
	v_fmac_f64_e32 v[36:37], v[10:11], v[56:57]
	v_cvt_f64_f32_e32 v[10:11], v12
	v_cvt_f64_f32_e32 v[12:13], v13
	v_fmac_f64_e32 v[34:35], v[12:13], v[56:57]
	v_fmac_f64_e32 v[50:51], v[10:11], v[56:57]
	;; [unrolled: 1-line block ×3, first 2 shown]
	global_load_dwordx2 v[10:11], v[22:23], off offset:512
	v_fma_f64 v[26:27], -v[12:13], v[58:59], v[50:51]
	v_fmac_f64_e32 v[46:47], v[20:21], v[58:59]
	v_fma_f64 v[20:21], -v[16:17], v[58:59], v[48:49]
	v_fmac_f64_e32 v[36:37], v[14:15], v[58:59]
	v_lshl_add_u64 v[28:29], v[44:45], 0, s[14:15]
	v_lshl_add_u64 v[22:23], v[22:23], 0, s[18:19]
	s_waitcnt vmcnt(0)
	v_sub_co_u32_e32 v10, vcc, v10, v32
	s_nop 1
	v_subb_co_u32_e32 v11, vcc, v11, v33, vcc
	v_add_co_u32_e32 v12, vcc, s24, v44
	v_lshlrev_b64 v[10:11], 6, v[10:11]
	s_nop 0
	v_addc_co_u32_e32 v13, vcc, 0, v45, vcc
	v_lshl_add_u64 v[74:75], s[4:5], 0, v[10:11]
	global_load_dwordx4 v[48:51], v[12:13], off
	global_load_dwordx4 v[52:55], v[28:29], off offset:48
	global_load_dwordx4 v[56:59], v[28:29], off offset:32
	;; [unrolled: 1-line block ×3, first 2 shown]
	s_nop 0
	global_load_dwordx4 v[10:13], v[74:75], off offset:48
	global_load_dwordx4 v[14:17], v[74:75], off offset:32
	;; [unrolled: 1-line block ×3, first 2 shown]
	global_load_dwordx4 v[68:71], v[74:75], off
	v_cmp_ge_i64_e32 vcc, v[38:39], v[42:43]
	v_lshl_add_u64 v[44:45], v[44:45], 0, s[20:21]
	s_or_b64 s[8:9], vcc, s[8:9]
	s_waitcnt vmcnt(7)
	v_cvt_f64_f32_e32 v[72:73], v48
	v_cvt_f64_f32_e32 v[48:49], v49
	s_waitcnt vmcnt(0)
	v_fmac_f64_e32 v[18:19], v[72:73], v[68:69]
	v_fma_f64 v[18:19], -v[48:49], v[70:71], v[18:19]
	v_fmac_f64_e32 v[46:47], v[48:49], v[68:69]
	v_cvt_f64_f32_e32 v[48:49], v50
	v_cvt_f64_f32_e32 v[50:51], v51
	v_fmac_f64_e32 v[20:21], v[48:49], v[68:69]
	v_fmac_f64_e32 v[40:41], v[50:51], v[68:69]
	v_fma_f64 v[20:21], -v[50:51], v[70:71], v[20:21]
	v_fmac_f64_e32 v[40:41], v[48:49], v[70:71]
	v_cvt_f64_f32_e32 v[48:49], v60
	v_cvt_f64_f32_e32 v[50:51], v61
	v_fmac_f64_e32 v[24:25], v[48:49], v[68:69]
	;; [unrolled: 6-line block ×3, first 2 shown]
	v_fmac_f64_e32 v[34:35], v[50:51], v[68:69]
	v_fmac_f64_e32 v[46:47], v[72:73], v[70:71]
	v_fma_f64 v[60:61], -v[50:51], v[70:71], v[26:27]
	v_fmac_f64_e32 v[34:35], v[48:49], v[70:71]
	v_cvt_f64_f32_e32 v[26:27], v56
	v_cvt_f64_f32_e32 v[48:49], v57
	v_fmac_f64_e32 v[18:19], v[26:27], v[64:65]
	v_fmac_f64_e32 v[46:47], v[48:49], v[64:65]
	v_fma_f64 v[50:51], -v[48:49], v[66:67], v[18:19]
	v_fmac_f64_e32 v[46:47], v[26:27], v[66:67]
	v_cvt_f64_f32_e32 v[18:19], v58
	v_cvt_f64_f32_e32 v[26:27], v59
	;; [unrolled: 6-line block ×4, first 2 shown]
	v_fmac_f64_e32 v[60:61], v[18:19], v[64:65]
	v_fmac_f64_e32 v[34:35], v[20:21], v[64:65]
	v_fma_f64 v[24:25], -v[20:21], v[66:67], v[60:61]
	v_fmac_f64_e32 v[34:35], v[18:19], v[66:67]
	global_load_dwordx4 v[18:21], v[28:29], off offset:112
	global_load_dwordx4 v[52:55], v[28:29], off offset:96
	;; [unrolled: 1-line block ×4, first 2 shown]
	s_waitcnt vmcnt(0)
	v_cvt_f64_f32_e32 v[28:29], v60
	v_cvt_f64_f32_e32 v[60:61], v61
	v_fmac_f64_e32 v[50:51], v[28:29], v[14:15]
	v_fma_f64 v[50:51], -v[60:61], v[16:17], v[50:51]
	v_fmac_f64_e32 v[46:47], v[60:61], v[14:15]
	v_cvt_f64_f32_e32 v[60:61], v63
	v_fmac_f64_e32 v[46:47], v[28:29], v[16:17]
	v_cvt_f64_f32_e32 v[28:29], v62
	v_fmac_f64_e32 v[40:41], v[60:61], v[14:15]
	v_fmac_f64_e32 v[48:49], v[28:29], v[14:15]
	;; [unrolled: 1-line block ×3, first 2 shown]
	v_cvt_f64_f32_e32 v[28:29], v56
	v_cvt_f64_f32_e32 v[56:57], v57
	v_fmac_f64_e32 v[26:27], v[28:29], v[14:15]
	v_fmac_f64_e32 v[36:37], v[56:57], v[14:15]
	v_fma_f64 v[26:27], -v[56:57], v[16:17], v[26:27]
	v_fmac_f64_e32 v[36:37], v[28:29], v[16:17]
	v_cvt_f64_f32_e32 v[28:29], v58
	v_cvt_f64_f32_e32 v[56:57], v59
	v_fmac_f64_e32 v[24:25], v[28:29], v[14:15]
	v_fmac_f64_e32 v[34:35], v[56:57], v[14:15]
	v_fma_f64 v[48:49], -v[60:61], v[16:17], v[48:49]
	v_fma_f64 v[24:25], -v[56:57], v[16:17], v[24:25]
	v_fmac_f64_e32 v[34:35], v[28:29], v[16:17]
	v_cvt_f64_f32_e32 v[14:15], v52
	v_cvt_f64_f32_e32 v[16:17], v53
	v_fmac_f64_e32 v[50:51], v[14:15], v[10:11]
	v_fmac_f64_e32 v[46:47], v[16:17], v[10:11]
	v_fma_f64 v[58:59], -v[16:17], v[12:13], v[50:51]
	v_fmac_f64_e32 v[46:47], v[14:15], v[12:13]
	v_cvt_f64_f32_e32 v[14:15], v54
	v_cvt_f64_f32_e32 v[16:17], v55
	v_fmac_f64_e32 v[48:49], v[14:15], v[10:11]
	v_fmac_f64_e32 v[40:41], v[16:17], v[10:11]
	;; [unrolled: 6-line block ×4, first 2 shown]
	v_fma_f64 v[18:19], -v[16:17], v[12:13], v[24:25]
	v_fmac_f64_e32 v[34:35], v[14:15], v[12:13]
	s_andn2_b64 exec, exec, s[8:9]
	s_cbranch_execnz .LBB179_33
; %bb.34:
	s_or_b64 exec, exec, s[8:9]
.LBB179_35:
	s_or_b64 exec, exec, s[2:3]
.LBB179_36:
	s_or_b64 exec, exec, s[6:7]
.LBB179_37:
	v_mov_b32_dpp v24, v40 row_shr:1 row_mask:0xf bank_mask:0xf
	v_mov_b32_dpp v25, v41 row_shr:1 row_mask:0xf bank_mask:0xf
	;; [unrolled: 1-line block ×8, first 2 shown]
	v_add_f64 v[24:25], v[40:41], v[24:25]
	v_mov_b32_dpp v28, v60 row_shr:1 row_mask:0xf bank_mask:0xf
	v_mov_b32_dpp v29, v61 row_shr:1 row_mask:0xf bank_mask:0xf
	;; [unrolled: 1-line block ×8, first 2 shown]
	v_add_f64 v[10:11], v[58:59], v[10:11]
	v_add_f64 v[14:15], v[46:47], v[14:15]
	v_add_f64 v[20:21], v[56:57], v[20:21]
	v_add_f64 v[28:29], v[60:61], v[28:29]
	v_add_f64 v[36:37], v[36:37], v[38:39]
	v_add_f64 v[18:19], v[18:19], v[40:41]
	v_add_f64 v[34:35], v[34:35], v[42:43]
	v_mov_b32_dpp v12, v10 row_shr:2 row_mask:0xf bank_mask:0xf
	v_mov_b32_dpp v13, v11 row_shr:2 row_mask:0xf bank_mask:0xf
	v_mov_b32_dpp v16, v14 row_shr:2 row_mask:0xf bank_mask:0xf
	v_mov_b32_dpp v17, v15 row_shr:2 row_mask:0xf bank_mask:0xf
	v_mov_b32_dpp v22, v20 row_shr:2 row_mask:0xf bank_mask:0xf
	v_mov_b32_dpp v23, v21 row_shr:2 row_mask:0xf bank_mask:0xf
	v_mov_b32_dpp v26, v24 row_shr:2 row_mask:0xf bank_mask:0xf
	v_mov_b32_dpp v27, v25 row_shr:2 row_mask:0xf bank_mask:0xf
	v_mov_b32_dpp v32, v28 row_shr:2 row_mask:0xf bank_mask:0xf
	v_mov_b32_dpp v33, v29 row_shr:2 row_mask:0xf bank_mask:0xf
	v_mov_b32_dpp v38, v36 row_shr:2 row_mask:0xf bank_mask:0xf
	v_mov_b32_dpp v39, v37 row_shr:2 row_mask:0xf bank_mask:0xf
	v_mov_b32_dpp v40, v18 row_shr:2 row_mask:0xf bank_mask:0xf
	v_mov_b32_dpp v41, v19 row_shr:2 row_mask:0xf bank_mask:0xf
	v_mov_b32_dpp v42, v34 row_shr:2 row_mask:0xf bank_mask:0xf
	v_mov_b32_dpp v43, v35 row_shr:2 row_mask:0xf bank_mask:0xf
	v_add_f64 v[10:11], v[10:11], v[12:13]
	v_add_f64 v[14:15], v[14:15], v[16:17]
	v_add_f64 v[20:21], v[20:21], v[22:23]
	v_add_f64 v[24:25], v[24:25], v[26:27]
	v_add_f64 v[28:29], v[28:29], v[32:33]
	v_add_f64 v[36:37], v[36:37], v[38:39]
	v_add_f64 v[18:19], v[18:19], v[40:41]
	v_add_f64 v[34:35], v[34:35], v[42:43]
	v_mov_b32_dpp v12, v10 row_shr:4 row_mask:0xf bank_mask:0xe
	v_mov_b32_dpp v13, v11 row_shr:4 row_mask:0xf bank_mask:0xe
	v_mov_b32_dpp v16, v14 row_shr:4 row_mask:0xf bank_mask:0xe
	v_mov_b32_dpp v17, v15 row_shr:4 row_mask:0xf bank_mask:0xe
	v_mov_b32_dpp v22, v20 row_shr:4 row_mask:0xf bank_mask:0xe
	v_mov_b32_dpp v23, v21 row_shr:4 row_mask:0xf bank_mask:0xe
	v_mov_b32_dpp v26, v24 row_shr:4 row_mask:0xf bank_mask:0xe
	v_mov_b32_dpp v27, v25 row_shr:4 row_mask:0xf bank_mask:0xe
	v_mov_b32_dpp v32, v28 row_shr:4 row_mask:0xf bank_mask:0xe
	v_mov_b32_dpp v33, v29 row_shr:4 row_mask:0xf bank_mask:0xe
	v_mov_b32_dpp v38, v36 row_shr:4 row_mask:0xf bank_mask:0xe
	v_mov_b32_dpp v39, v37 row_shr:4 row_mask:0xf bank_mask:0xe
	v_mov_b32_dpp v40, v18 row_shr:4 row_mask:0xf bank_mask:0xe
	v_mov_b32_dpp v41, v19 row_shr:4 row_mask:0xf bank_mask:0xe
	v_mov_b32_dpp v42, v34 row_shr:4 row_mask:0xf bank_mask:0xe
	v_mov_b32_dpp v43, v35 row_shr:4 row_mask:0xf bank_mask:0xe
	v_add_f64 v[10:11], v[10:11], v[12:13]
	v_add_f64 v[14:15], v[14:15], v[16:17]
	v_add_f64 v[20:21], v[20:21], v[22:23]
	v_add_f64 v[24:25], v[24:25], v[26:27]
	v_add_f64 v[28:29], v[28:29], v[32:33]
	v_add_f64 v[36:37], v[36:37], v[38:39]
	v_add_f64 v[18:19], v[18:19], v[40:41]
	v_add_f64 v[34:35], v[34:35], v[42:43]
	v_mov_b32_dpp v12, v10 row_shr:8 row_mask:0xf bank_mask:0xc
	v_mov_b32_dpp v13, v11 row_shr:8 row_mask:0xf bank_mask:0xc
	v_mov_b32_dpp v16, v14 row_shr:8 row_mask:0xf bank_mask:0xc
	v_mov_b32_dpp v17, v15 row_shr:8 row_mask:0xf bank_mask:0xc
	v_mov_b32_dpp v22, v20 row_shr:8 row_mask:0xf bank_mask:0xc
	v_mov_b32_dpp v23, v21 row_shr:8 row_mask:0xf bank_mask:0xc
	v_mov_b32_dpp v26, v24 row_shr:8 row_mask:0xf bank_mask:0xc
	v_mov_b32_dpp v27, v25 row_shr:8 row_mask:0xf bank_mask:0xc
	v_mov_b32_dpp v32, v28 row_shr:8 row_mask:0xf bank_mask:0xc
	v_mov_b32_dpp v33, v29 row_shr:8 row_mask:0xf bank_mask:0xc
	v_mov_b32_dpp v38, v36 row_shr:8 row_mask:0xf bank_mask:0xc
	v_mov_b32_dpp v39, v37 row_shr:8 row_mask:0xf bank_mask:0xc
	v_mov_b32_dpp v40, v18 row_shr:8 row_mask:0xf bank_mask:0xc
	v_mov_b32_dpp v41, v19 row_shr:8 row_mask:0xf bank_mask:0xc
	v_mov_b32_dpp v42, v34 row_shr:8 row_mask:0xf bank_mask:0xc
	v_mov_b32_dpp v43, v35 row_shr:8 row_mask:0xf bank_mask:0xc
	v_add_f64 v[10:11], v[10:11], v[12:13]
	v_add_f64 v[14:15], v[14:15], v[16:17]
	v_add_f64 v[20:21], v[20:21], v[22:23]
	;; [unrolled: 1-line block ×7, first 2 shown]
	v_mov_b32_dpp v12, v10 row_bcast:15 row_mask:0xa bank_mask:0xf
	v_mov_b32_dpp v13, v11 row_bcast:15 row_mask:0xa bank_mask:0xf
	;; [unrolled: 1-line block ×16, first 2 shown]
	v_add_f64 v[10:11], v[10:11], v[12:13]
	v_add_f64 v[14:15], v[14:15], v[16:17]
	;; [unrolled: 1-line block ×8, first 2 shown]
	v_mov_b32_dpp v12, v10 row_bcast:31 row_mask:0xc bank_mask:0xf
	v_mov_b32_dpp v13, v11 row_bcast:31 row_mask:0xc bank_mask:0xf
	;; [unrolled: 1-line block ×16, first 2 shown]
	v_cmp_eq_u32_e32 vcc, 63, v0
	s_and_b64 exec, exec, vcc
	s_cbranch_execz .LBB179_8
; %bb.38:
	s_load_dwordx2 s[2:3], s[0:1], 0x68
	v_add_f64 v[0:1], v[10:11], v[12:13]
	v_add_f64 v[10:11], v[14:15], v[16:17]
	;; [unrolled: 1-line block ×8, first 2 shown]
	v_cmp_eq_f64_e32 vcc, 0, v[2:3]
	v_cmp_eq_f64_e64 s[0:1], 0, v[4:5]
	v_mul_f64 v[22:23], v[10:11], -v[8:9]
	v_mul_f64 v[24:25], v[6:7], v[10:11]
	v_mul_f64 v[18:19], v[12:13], -v[8:9]
	v_mul_f64 v[20:21], v[6:7], v[12:13]
	;; [unrolled: 2-line block ×4, first 2 shown]
	s_and_b64 s[0:1], vcc, s[0:1]
	v_fmac_f64_e32 v[22:23], v[6:7], v[0:1]
	v_fmac_f64_e32 v[24:25], v[8:9], v[0:1]
	v_lshlrev_b64 v[0:1], 6, v[30:31]
	v_fmac_f64_e32 v[18:19], v[6:7], v[44:45]
	v_fmac_f64_e32 v[20:21], v[8:9], v[44:45]
	;; [unrolled: 1-line block ×6, first 2 shown]
	s_and_saveexec_b64 s[4:5], s[0:1]
	s_xor_b64 s[0:1], exec, s[4:5]
	s_cbranch_execz .LBB179_40
; %bb.39:
	s_waitcnt lgkmcnt(0)
	v_lshl_add_u64 v[0:1], s[2:3], 0, v[0:1]
	global_store_dwordx4 v[0:1], v[22:25], off
	global_store_dwordx4 v[0:1], v[18:21], off offset:16
	global_store_dwordx4 v[0:1], v[14:17], off offset:32
	;; [unrolled: 1-line block ×3, first 2 shown]
                                        ; implicit-def: $vgpr4_vgpr5
                                        ; implicit-def: $vgpr22_vgpr23
                                        ; implicit-def: $vgpr0_vgpr1
                                        ; implicit-def: $vgpr18_vgpr19
                                        ; implicit-def: $vgpr14_vgpr15
                                        ; implicit-def: $vgpr10_vgpr11
.LBB179_40:
	s_andn2_saveexec_b64 s[0:1], s[0:1]
	s_cbranch_execz .LBB179_8
; %bb.41:
	s_waitcnt lgkmcnt(0)
	v_lshl_add_u64 v[0:1], s[2:3], 0, v[0:1]
	global_load_dwordx4 v[6:9], v[0:1], off
	global_load_dwordx4 v[26:29], v[0:1], off offset:16
	global_load_dwordx4 v[30:33], v[0:1], off offset:32
	;; [unrolled: 1-line block ×3, first 2 shown]
	s_waitcnt vmcnt(3)
	v_fmac_f64_e32 v[22:23], v[2:3], v[6:7]
	v_fmac_f64_e32 v[24:25], v[4:5], v[6:7]
	s_waitcnt vmcnt(2)
	v_fmac_f64_e32 v[18:19], v[2:3], v[26:27]
	v_fmac_f64_e32 v[20:21], v[4:5], v[26:27]
	;; [unrolled: 3-line block ×4, first 2 shown]
	v_fma_f64 v[22:23], -v[4:5], v[8:9], v[22:23]
	v_fmac_f64_e32 v[24:25], v[2:3], v[8:9]
	v_fma_f64 v[18:19], -v[4:5], v[28:29], v[18:19]
	v_fmac_f64_e32 v[20:21], v[2:3], v[28:29]
	;; [unrolled: 2-line block ×4, first 2 shown]
	global_store_dwordx4 v[0:1], v[22:25], off
	global_store_dwordx4 v[0:1], v[18:21], off offset:16
	global_store_dwordx4 v[0:1], v[14:17], off offset:32
	global_store_dwordx4 v[0:1], v[10:13], off offset:48
	s_endpgm
	.section	.rodata,"a",@progbits
	.p2align	6, 0x0
	.amdhsa_kernel _ZN9rocsparseL18bsrxmvn_4x4_kernelILj128ELj64E21rocsparse_complex_numIdEllS1_IfES2_S2_EEvT3_20rocsparse_direction_NS_24const_host_device_scalarIT1_EES4_PKS4_PKT2_SD_SA_PKT4_PKT5_S8_PT6_21rocsparse_index_base_b
		.amdhsa_group_segment_fixed_size 0
		.amdhsa_private_segment_fixed_size 0
		.amdhsa_kernarg_size 120
		.amdhsa_user_sgpr_count 2
		.amdhsa_user_sgpr_dispatch_ptr 0
		.amdhsa_user_sgpr_queue_ptr 0
		.amdhsa_user_sgpr_kernarg_segment_ptr 1
		.amdhsa_user_sgpr_dispatch_id 0
		.amdhsa_user_sgpr_kernarg_preload_length 0
		.amdhsa_user_sgpr_kernarg_preload_offset 0
		.amdhsa_user_sgpr_private_segment_size 0
		.amdhsa_uses_dynamic_stack 0
		.amdhsa_enable_private_segment 0
		.amdhsa_system_sgpr_workgroup_id_x 1
		.amdhsa_system_sgpr_workgroup_id_y 0
		.amdhsa_system_sgpr_workgroup_id_z 0
		.amdhsa_system_sgpr_workgroup_info 0
		.amdhsa_system_vgpr_workitem_id 0
		.amdhsa_next_free_vgpr 128
		.amdhsa_next_free_sgpr 29
		.amdhsa_accum_offset 128
		.amdhsa_reserve_vcc 1
		.amdhsa_float_round_mode_32 0
		.amdhsa_float_round_mode_16_64 0
		.amdhsa_float_denorm_mode_32 3
		.amdhsa_float_denorm_mode_16_64 3
		.amdhsa_dx10_clamp 1
		.amdhsa_ieee_mode 1
		.amdhsa_fp16_overflow 0
		.amdhsa_tg_split 0
		.amdhsa_exception_fp_ieee_invalid_op 0
		.amdhsa_exception_fp_denorm_src 0
		.amdhsa_exception_fp_ieee_div_zero 0
		.amdhsa_exception_fp_ieee_overflow 0
		.amdhsa_exception_fp_ieee_underflow 0
		.amdhsa_exception_fp_ieee_inexact 0
		.amdhsa_exception_int_div_zero 0
	.end_amdhsa_kernel
	.section	.text._ZN9rocsparseL18bsrxmvn_4x4_kernelILj128ELj64E21rocsparse_complex_numIdEllS1_IfES2_S2_EEvT3_20rocsparse_direction_NS_24const_host_device_scalarIT1_EES4_PKS4_PKT2_SD_SA_PKT4_PKT5_S8_PT6_21rocsparse_index_base_b,"axG",@progbits,_ZN9rocsparseL18bsrxmvn_4x4_kernelILj128ELj64E21rocsparse_complex_numIdEllS1_IfES2_S2_EEvT3_20rocsparse_direction_NS_24const_host_device_scalarIT1_EES4_PKS4_PKT2_SD_SA_PKT4_PKT5_S8_PT6_21rocsparse_index_base_b,comdat
.Lfunc_end179:
	.size	_ZN9rocsparseL18bsrxmvn_4x4_kernelILj128ELj64E21rocsparse_complex_numIdEllS1_IfES2_S2_EEvT3_20rocsparse_direction_NS_24const_host_device_scalarIT1_EES4_PKS4_PKT2_SD_SA_PKT4_PKT5_S8_PT6_21rocsparse_index_base_b, .Lfunc_end179-_ZN9rocsparseL18bsrxmvn_4x4_kernelILj128ELj64E21rocsparse_complex_numIdEllS1_IfES2_S2_EEvT3_20rocsparse_direction_NS_24const_host_device_scalarIT1_EES4_PKS4_PKT2_SD_SA_PKT4_PKT5_S8_PT6_21rocsparse_index_base_b
                                        ; -- End function
	.set _ZN9rocsparseL18bsrxmvn_4x4_kernelILj128ELj64E21rocsparse_complex_numIdEllS1_IfES2_S2_EEvT3_20rocsparse_direction_NS_24const_host_device_scalarIT1_EES4_PKS4_PKT2_SD_SA_PKT4_PKT5_S8_PT6_21rocsparse_index_base_b.num_vgpr, 128
	.set _ZN9rocsparseL18bsrxmvn_4x4_kernelILj128ELj64E21rocsparse_complex_numIdEllS1_IfES2_S2_EEvT3_20rocsparse_direction_NS_24const_host_device_scalarIT1_EES4_PKS4_PKT2_SD_SA_PKT4_PKT5_S8_PT6_21rocsparse_index_base_b.num_agpr, 0
	.set _ZN9rocsparseL18bsrxmvn_4x4_kernelILj128ELj64E21rocsparse_complex_numIdEllS1_IfES2_S2_EEvT3_20rocsparse_direction_NS_24const_host_device_scalarIT1_EES4_PKS4_PKT2_SD_SA_PKT4_PKT5_S8_PT6_21rocsparse_index_base_b.numbered_sgpr, 29
	.set _ZN9rocsparseL18bsrxmvn_4x4_kernelILj128ELj64E21rocsparse_complex_numIdEllS1_IfES2_S2_EEvT3_20rocsparse_direction_NS_24const_host_device_scalarIT1_EES4_PKS4_PKT2_SD_SA_PKT4_PKT5_S8_PT6_21rocsparse_index_base_b.num_named_barrier, 0
	.set _ZN9rocsparseL18bsrxmvn_4x4_kernelILj128ELj64E21rocsparse_complex_numIdEllS1_IfES2_S2_EEvT3_20rocsparse_direction_NS_24const_host_device_scalarIT1_EES4_PKS4_PKT2_SD_SA_PKT4_PKT5_S8_PT6_21rocsparse_index_base_b.private_seg_size, 0
	.set _ZN9rocsparseL18bsrxmvn_4x4_kernelILj128ELj64E21rocsparse_complex_numIdEllS1_IfES2_S2_EEvT3_20rocsparse_direction_NS_24const_host_device_scalarIT1_EES4_PKS4_PKT2_SD_SA_PKT4_PKT5_S8_PT6_21rocsparse_index_base_b.uses_vcc, 1
	.set _ZN9rocsparseL18bsrxmvn_4x4_kernelILj128ELj64E21rocsparse_complex_numIdEllS1_IfES2_S2_EEvT3_20rocsparse_direction_NS_24const_host_device_scalarIT1_EES4_PKS4_PKT2_SD_SA_PKT4_PKT5_S8_PT6_21rocsparse_index_base_b.uses_flat_scratch, 0
	.set _ZN9rocsparseL18bsrxmvn_4x4_kernelILj128ELj64E21rocsparse_complex_numIdEllS1_IfES2_S2_EEvT3_20rocsparse_direction_NS_24const_host_device_scalarIT1_EES4_PKS4_PKT2_SD_SA_PKT4_PKT5_S8_PT6_21rocsparse_index_base_b.has_dyn_sized_stack, 0
	.set _ZN9rocsparseL18bsrxmvn_4x4_kernelILj128ELj64E21rocsparse_complex_numIdEllS1_IfES2_S2_EEvT3_20rocsparse_direction_NS_24const_host_device_scalarIT1_EES4_PKS4_PKT2_SD_SA_PKT4_PKT5_S8_PT6_21rocsparse_index_base_b.has_recursion, 0
	.set _ZN9rocsparseL18bsrxmvn_4x4_kernelILj128ELj64E21rocsparse_complex_numIdEllS1_IfES2_S2_EEvT3_20rocsparse_direction_NS_24const_host_device_scalarIT1_EES4_PKS4_PKT2_SD_SA_PKT4_PKT5_S8_PT6_21rocsparse_index_base_b.has_indirect_call, 0
	.section	.AMDGPU.csdata,"",@progbits
; Kernel info:
; codeLenInByte = 9196
; TotalNumSgprs: 35
; NumVgprs: 128
; NumAgprs: 0
; TotalNumVgprs: 128
; ScratchSize: 0
; MemoryBound: 0
; FloatMode: 240
; IeeeMode: 1
; LDSByteSize: 0 bytes/workgroup (compile time only)
; SGPRBlocks: 4
; VGPRBlocks: 15
; NumSGPRsForWavesPerEU: 35
; NumVGPRsForWavesPerEU: 128
; AccumOffset: 128
; Occupancy: 4
; WaveLimiterHint : 1
; COMPUTE_PGM_RSRC2:SCRATCH_EN: 0
; COMPUTE_PGM_RSRC2:USER_SGPR: 2
; COMPUTE_PGM_RSRC2:TRAP_HANDLER: 0
; COMPUTE_PGM_RSRC2:TGID_X_EN: 1
; COMPUTE_PGM_RSRC2:TGID_Y_EN: 0
; COMPUTE_PGM_RSRC2:TGID_Z_EN: 0
; COMPUTE_PGM_RSRC2:TIDIG_COMP_CNT: 0
; COMPUTE_PGM_RSRC3_GFX90A:ACCUM_OFFSET: 31
; COMPUTE_PGM_RSRC3_GFX90A:TG_SPLIT: 0
	.section	.AMDGPU.gpr_maximums,"",@progbits
	.set amdgpu.max_num_vgpr, 0
	.set amdgpu.max_num_agpr, 0
	.set amdgpu.max_num_sgpr, 0
	.section	.AMDGPU.csdata,"",@progbits
	.type	__hip_cuid_a2dbd21e6c8b5d63,@object ; @__hip_cuid_a2dbd21e6c8b5d63
	.section	.bss,"aw",@nobits
	.globl	__hip_cuid_a2dbd21e6c8b5d63
__hip_cuid_a2dbd21e6c8b5d63:
	.byte	0                               ; 0x0
	.size	__hip_cuid_a2dbd21e6c8b5d63, 1

	.ident	"AMD clang version 22.0.0git (https://github.com/RadeonOpenCompute/llvm-project roc-7.2.4 26084 f58b06dce1f9c15707c5f808fd002e18c2accf7e)"
	.section	".note.GNU-stack","",@progbits
	.addrsig
	.addrsig_sym __hip_cuid_a2dbd21e6c8b5d63
	.amdgpu_metadata
---
amdhsa.kernels:
  - .agpr_count:     0
    .args:
      - .offset:         0
        .size:           4
        .value_kind:     by_value
      - .offset:         4
        .size:           4
        .value_kind:     by_value
      - .offset:         8
        .size:           8
        .value_kind:     by_value
      - .offset:         16
        .size:           4
        .value_kind:     by_value
      - .actual_access:  read_only
        .address_space:  global
        .offset:         24
        .size:           8
        .value_kind:     global_buffer
      - .actual_access:  read_only
        .address_space:  global
        .offset:         32
        .size:           8
        .value_kind:     global_buffer
      - .actual_access:  read_only
        .address_space:  global
        .offset:         40
        .size:           8
        .value_kind:     global_buffer
      - .actual_access:  read_only
        .address_space:  global
        .offset:         48
        .size:           8
        .value_kind:     global_buffer
      - .actual_access:  read_only
        .address_space:  global
        .offset:         56
        .size:           8
        .value_kind:     global_buffer
      - .actual_access:  read_only
        .address_space:  global
        .offset:         64
        .size:           8
        .value_kind:     global_buffer
      - .offset:         72
        .size:           8
        .value_kind:     by_value
      - .address_space:  global
        .offset:         80
        .size:           8
        .value_kind:     global_buffer
      - .offset:         88
        .size:           4
        .value_kind:     by_value
      - .offset:         92
        .size:           1
        .value_kind:     by_value
    .group_segment_fixed_size: 0
    .kernarg_segment_align: 8
    .kernarg_segment_size: 96
    .language:       OpenCL C
    .language_version:
      - 2
      - 0
    .max_flat_workgroup_size: 128
    .name:           _ZN9rocsparseL18bsrxmvn_4x4_kernelILj128ELj4EfiifffEEvT3_20rocsparse_direction_NS_24const_host_device_scalarIT1_EES1_PKS1_PKT2_SA_S7_PKT4_PKT5_S5_PT6_21rocsparse_index_base_b
    .private_segment_fixed_size: 0
    .sgpr_count:     28
    .sgpr_spill_count: 0
    .symbol:         _ZN9rocsparseL18bsrxmvn_4x4_kernelILj128ELj4EfiifffEEvT3_20rocsparse_direction_NS_24const_host_device_scalarIT1_EES1_PKS1_PKT2_SA_S7_PKT4_PKT5_S5_PT6_21rocsparse_index_base_b.kd
    .uniform_work_group_size: 1
    .uses_dynamic_stack: false
    .vgpr_count:     106
    .vgpr_spill_count: 0
    .wavefront_size: 64
  - .agpr_count:     0
    .args:
      - .offset:         0
        .size:           4
        .value_kind:     by_value
      - .offset:         4
        .size:           4
        .value_kind:     by_value
      - .offset:         8
        .size:           8
        .value_kind:     by_value
      - .offset:         16
        .size:           4
        .value_kind:     by_value
      - .actual_access:  read_only
        .address_space:  global
        .offset:         24
        .size:           8
        .value_kind:     global_buffer
      - .actual_access:  read_only
        .address_space:  global
        .offset:         32
        .size:           8
        .value_kind:     global_buffer
      - .actual_access:  read_only
        .address_space:  global
        .offset:         40
        .size:           8
        .value_kind:     global_buffer
      - .actual_access:  read_only
        .address_space:  global
        .offset:         48
        .size:           8
        .value_kind:     global_buffer
      - .actual_access:  read_only
        .address_space:  global
        .offset:         56
        .size:           8
        .value_kind:     global_buffer
      - .actual_access:  read_only
        .address_space:  global
        .offset:         64
        .size:           8
        .value_kind:     global_buffer
      - .offset:         72
        .size:           8
        .value_kind:     by_value
      - .address_space:  global
        .offset:         80
        .size:           8
        .value_kind:     global_buffer
      - .offset:         88
        .size:           4
        .value_kind:     by_value
      - .offset:         92
        .size:           1
        .value_kind:     by_value
    .group_segment_fixed_size: 0
    .kernarg_segment_align: 8
    .kernarg_segment_size: 96
    .language:       OpenCL C
    .language_version:
      - 2
      - 0
    .max_flat_workgroup_size: 128
    .name:           _ZN9rocsparseL18bsrxmvn_4x4_kernelILj128ELj8EfiifffEEvT3_20rocsparse_direction_NS_24const_host_device_scalarIT1_EES1_PKS1_PKT2_SA_S7_PKT4_PKT5_S5_PT6_21rocsparse_index_base_b
    .private_segment_fixed_size: 0
    .sgpr_count:     28
    .sgpr_spill_count: 0
    .symbol:         _ZN9rocsparseL18bsrxmvn_4x4_kernelILj128ELj8EfiifffEEvT3_20rocsparse_direction_NS_24const_host_device_scalarIT1_EES1_PKS1_PKT2_SA_S7_PKT4_PKT5_S5_PT6_21rocsparse_index_base_b.kd
    .uniform_work_group_size: 1
    .uses_dynamic_stack: false
    .vgpr_count:     106
    .vgpr_spill_count: 0
    .wavefront_size: 64
  - .agpr_count:     0
    .args:
      - .offset:         0
        .size:           4
        .value_kind:     by_value
      - .offset:         4
        .size:           4
        .value_kind:     by_value
      - .offset:         8
        .size:           8
        .value_kind:     by_value
      - .offset:         16
        .size:           4
        .value_kind:     by_value
      - .actual_access:  read_only
        .address_space:  global
        .offset:         24
        .size:           8
        .value_kind:     global_buffer
      - .actual_access:  read_only
        .address_space:  global
        .offset:         32
        .size:           8
        .value_kind:     global_buffer
      - .actual_access:  read_only
        .address_space:  global
        .offset:         40
        .size:           8
        .value_kind:     global_buffer
      - .actual_access:  read_only
        .address_space:  global
        .offset:         48
        .size:           8
        .value_kind:     global_buffer
      - .actual_access:  read_only
        .address_space:  global
        .offset:         56
        .size:           8
        .value_kind:     global_buffer
      - .actual_access:  read_only
        .address_space:  global
        .offset:         64
        .size:           8
        .value_kind:     global_buffer
      - .offset:         72
        .size:           8
        .value_kind:     by_value
      - .address_space:  global
        .offset:         80
        .size:           8
        .value_kind:     global_buffer
      - .offset:         88
        .size:           4
        .value_kind:     by_value
      - .offset:         92
        .size:           1
        .value_kind:     by_value
    .group_segment_fixed_size: 0
    .kernarg_segment_align: 8
    .kernarg_segment_size: 96
    .language:       OpenCL C
    .language_version:
      - 2
      - 0
    .max_flat_workgroup_size: 128
    .name:           _ZN9rocsparseL18bsrxmvn_4x4_kernelILj128ELj16EfiifffEEvT3_20rocsparse_direction_NS_24const_host_device_scalarIT1_EES1_PKS1_PKT2_SA_S7_PKT4_PKT5_S5_PT6_21rocsparse_index_base_b
    .private_segment_fixed_size: 0
    .sgpr_count:     28
    .sgpr_spill_count: 0
    .symbol:         _ZN9rocsparseL18bsrxmvn_4x4_kernelILj128ELj16EfiifffEEvT3_20rocsparse_direction_NS_24const_host_device_scalarIT1_EES1_PKS1_PKT2_SA_S7_PKT4_PKT5_S5_PT6_21rocsparse_index_base_b.kd
    .uniform_work_group_size: 1
    .uses_dynamic_stack: false
    .vgpr_count:     106
    .vgpr_spill_count: 0
    .wavefront_size: 64
  - .agpr_count:     0
    .args:
      - .offset:         0
        .size:           4
        .value_kind:     by_value
      - .offset:         4
        .size:           4
        .value_kind:     by_value
      - .offset:         8
        .size:           8
        .value_kind:     by_value
      - .offset:         16
        .size:           4
        .value_kind:     by_value
      - .actual_access:  read_only
        .address_space:  global
        .offset:         24
        .size:           8
        .value_kind:     global_buffer
      - .actual_access:  read_only
        .address_space:  global
        .offset:         32
        .size:           8
        .value_kind:     global_buffer
      - .actual_access:  read_only
        .address_space:  global
        .offset:         40
        .size:           8
        .value_kind:     global_buffer
      - .actual_access:  read_only
        .address_space:  global
        .offset:         48
        .size:           8
        .value_kind:     global_buffer
      - .actual_access:  read_only
        .address_space:  global
        .offset:         56
        .size:           8
        .value_kind:     global_buffer
      - .actual_access:  read_only
        .address_space:  global
        .offset:         64
        .size:           8
        .value_kind:     global_buffer
      - .offset:         72
        .size:           8
        .value_kind:     by_value
      - .address_space:  global
        .offset:         80
        .size:           8
        .value_kind:     global_buffer
      - .offset:         88
        .size:           4
        .value_kind:     by_value
      - .offset:         92
        .size:           1
        .value_kind:     by_value
    .group_segment_fixed_size: 0
    .kernarg_segment_align: 8
    .kernarg_segment_size: 96
    .language:       OpenCL C
    .language_version:
      - 2
      - 0
    .max_flat_workgroup_size: 128
    .name:           _ZN9rocsparseL18bsrxmvn_4x4_kernelILj128ELj32EfiifffEEvT3_20rocsparse_direction_NS_24const_host_device_scalarIT1_EES1_PKS1_PKT2_SA_S7_PKT4_PKT5_S5_PT6_21rocsparse_index_base_b
    .private_segment_fixed_size: 0
    .sgpr_count:     30
    .sgpr_spill_count: 0
    .symbol:         _ZN9rocsparseL18bsrxmvn_4x4_kernelILj128ELj32EfiifffEEvT3_20rocsparse_direction_NS_24const_host_device_scalarIT1_EES1_PKS1_PKT2_SA_S7_PKT4_PKT5_S5_PT6_21rocsparse_index_base_b.kd
    .uniform_work_group_size: 1
    .uses_dynamic_stack: false
    .vgpr_count:     106
    .vgpr_spill_count: 0
    .wavefront_size: 64
  - .agpr_count:     0
    .args:
      - .offset:         0
        .size:           4
        .value_kind:     by_value
      - .offset:         4
        .size:           4
        .value_kind:     by_value
      - .offset:         8
        .size:           8
        .value_kind:     by_value
      - .offset:         16
        .size:           4
        .value_kind:     by_value
      - .actual_access:  read_only
        .address_space:  global
        .offset:         24
        .size:           8
        .value_kind:     global_buffer
      - .actual_access:  read_only
        .address_space:  global
        .offset:         32
        .size:           8
        .value_kind:     global_buffer
      - .actual_access:  read_only
        .address_space:  global
        .offset:         40
        .size:           8
        .value_kind:     global_buffer
      - .actual_access:  read_only
        .address_space:  global
        .offset:         48
        .size:           8
        .value_kind:     global_buffer
      - .actual_access:  read_only
        .address_space:  global
        .offset:         56
        .size:           8
        .value_kind:     global_buffer
      - .actual_access:  read_only
        .address_space:  global
        .offset:         64
        .size:           8
        .value_kind:     global_buffer
      - .offset:         72
        .size:           8
        .value_kind:     by_value
      - .address_space:  global
        .offset:         80
        .size:           8
        .value_kind:     global_buffer
      - .offset:         88
        .size:           4
        .value_kind:     by_value
      - .offset:         92
        .size:           1
        .value_kind:     by_value
    .group_segment_fixed_size: 0
    .kernarg_segment_align: 8
    .kernarg_segment_size: 96
    .language:       OpenCL C
    .language_version:
      - 2
      - 0
    .max_flat_workgroup_size: 128
    .name:           _ZN9rocsparseL18bsrxmvn_4x4_kernelILj128ELj64EfiifffEEvT3_20rocsparse_direction_NS_24const_host_device_scalarIT1_EES1_PKS1_PKT2_SA_S7_PKT4_PKT5_S5_PT6_21rocsparse_index_base_b
    .private_segment_fixed_size: 0
    .sgpr_count:     34
    .sgpr_spill_count: 0
    .symbol:         _ZN9rocsparseL18bsrxmvn_4x4_kernelILj128ELj64EfiifffEEvT3_20rocsparse_direction_NS_24const_host_device_scalarIT1_EES1_PKS1_PKT2_SA_S7_PKT4_PKT5_S5_PT6_21rocsparse_index_base_b.kd
    .uniform_work_group_size: 1
    .uses_dynamic_stack: false
    .vgpr_count:     110
    .vgpr_spill_count: 0
    .wavefront_size: 64
  - .agpr_count:     0
    .args:
      - .offset:         0
        .size:           4
        .value_kind:     by_value
      - .offset:         4
        .size:           4
        .value_kind:     by_value
      - .offset:         8
        .size:           8
        .value_kind:     by_value
      - .offset:         16
        .size:           4
        .value_kind:     by_value
      - .actual_access:  read_only
        .address_space:  global
        .offset:         24
        .size:           8
        .value_kind:     global_buffer
      - .actual_access:  read_only
        .address_space:  global
        .offset:         32
        .size:           8
        .value_kind:     global_buffer
      - .actual_access:  read_only
        .address_space:  global
        .offset:         40
        .size:           8
        .value_kind:     global_buffer
      - .actual_access:  read_only
        .address_space:  global
        .offset:         48
        .size:           8
        .value_kind:     global_buffer
      - .actual_access:  read_only
        .address_space:  global
        .offset:         56
        .size:           8
        .value_kind:     global_buffer
      - .actual_access:  read_only
        .address_space:  global
        .offset:         64
        .size:           8
        .value_kind:     global_buffer
      - .offset:         72
        .size:           8
        .value_kind:     by_value
      - .address_space:  global
        .offset:         80
        .size:           8
        .value_kind:     global_buffer
      - .offset:         88
        .size:           4
        .value_kind:     by_value
      - .offset:         92
        .size:           1
        .value_kind:     by_value
    .group_segment_fixed_size: 0
    .kernarg_segment_align: 8
    .kernarg_segment_size: 96
    .language:       OpenCL C
    .language_version:
      - 2
      - 0
    .max_flat_workgroup_size: 128
    .name:           _ZN9rocsparseL18bsrxmvn_4x4_kernelILj128ELj4EdiidddEEvT3_20rocsparse_direction_NS_24const_host_device_scalarIT1_EES1_PKS1_PKT2_SA_S7_PKT4_PKT5_S5_PT6_21rocsparse_index_base_b
    .private_segment_fixed_size: 0
    .sgpr_count:     24
    .sgpr_spill_count: 0
    .symbol:         _ZN9rocsparseL18bsrxmvn_4x4_kernelILj128ELj4EdiidddEEvT3_20rocsparse_direction_NS_24const_host_device_scalarIT1_EES1_PKS1_PKT2_SA_S7_PKT4_PKT5_S5_PT6_21rocsparse_index_base_b.kd
    .uniform_work_group_size: 1
    .uses_dynamic_stack: false
    .vgpr_count:     104
    .vgpr_spill_count: 0
    .wavefront_size: 64
  - .agpr_count:     0
    .args:
      - .offset:         0
        .size:           4
        .value_kind:     by_value
      - .offset:         4
        .size:           4
        .value_kind:     by_value
      - .offset:         8
        .size:           8
        .value_kind:     by_value
      - .offset:         16
        .size:           4
        .value_kind:     by_value
      - .actual_access:  read_only
        .address_space:  global
        .offset:         24
        .size:           8
        .value_kind:     global_buffer
      - .actual_access:  read_only
        .address_space:  global
        .offset:         32
        .size:           8
        .value_kind:     global_buffer
      - .actual_access:  read_only
        .address_space:  global
        .offset:         40
        .size:           8
        .value_kind:     global_buffer
      - .actual_access:  read_only
        .address_space:  global
        .offset:         48
        .size:           8
        .value_kind:     global_buffer
      - .actual_access:  read_only
        .address_space:  global
        .offset:         56
        .size:           8
        .value_kind:     global_buffer
      - .actual_access:  read_only
        .address_space:  global
        .offset:         64
        .size:           8
        .value_kind:     global_buffer
      - .offset:         72
        .size:           8
        .value_kind:     by_value
      - .address_space:  global
        .offset:         80
        .size:           8
        .value_kind:     global_buffer
      - .offset:         88
        .size:           4
        .value_kind:     by_value
      - .offset:         92
        .size:           1
        .value_kind:     by_value
    .group_segment_fixed_size: 0
    .kernarg_segment_align: 8
    .kernarg_segment_size: 96
    .language:       OpenCL C
    .language_version:
      - 2
      - 0
    .max_flat_workgroup_size: 128
    .name:           _ZN9rocsparseL18bsrxmvn_4x4_kernelILj128ELj8EdiidddEEvT3_20rocsparse_direction_NS_24const_host_device_scalarIT1_EES1_PKS1_PKT2_SA_S7_PKT4_PKT5_S5_PT6_21rocsparse_index_base_b
    .private_segment_fixed_size: 0
    .sgpr_count:     24
    .sgpr_spill_count: 0
    .symbol:         _ZN9rocsparseL18bsrxmvn_4x4_kernelILj128ELj8EdiidddEEvT3_20rocsparse_direction_NS_24const_host_device_scalarIT1_EES1_PKS1_PKT2_SA_S7_PKT4_PKT5_S5_PT6_21rocsparse_index_base_b.kd
    .uniform_work_group_size: 1
    .uses_dynamic_stack: false
    .vgpr_count:     104
    .vgpr_spill_count: 0
    .wavefront_size: 64
  - .agpr_count:     0
    .args:
      - .offset:         0
        .size:           4
        .value_kind:     by_value
      - .offset:         4
        .size:           4
        .value_kind:     by_value
      - .offset:         8
        .size:           8
        .value_kind:     by_value
      - .offset:         16
        .size:           4
        .value_kind:     by_value
      - .actual_access:  read_only
        .address_space:  global
        .offset:         24
        .size:           8
        .value_kind:     global_buffer
      - .actual_access:  read_only
        .address_space:  global
        .offset:         32
        .size:           8
        .value_kind:     global_buffer
      - .actual_access:  read_only
        .address_space:  global
        .offset:         40
        .size:           8
        .value_kind:     global_buffer
      - .actual_access:  read_only
        .address_space:  global
        .offset:         48
        .size:           8
        .value_kind:     global_buffer
      - .actual_access:  read_only
        .address_space:  global
        .offset:         56
        .size:           8
        .value_kind:     global_buffer
      - .actual_access:  read_only
        .address_space:  global
        .offset:         64
        .size:           8
        .value_kind:     global_buffer
      - .offset:         72
        .size:           8
        .value_kind:     by_value
      - .address_space:  global
        .offset:         80
        .size:           8
        .value_kind:     global_buffer
      - .offset:         88
        .size:           4
        .value_kind:     by_value
      - .offset:         92
        .size:           1
        .value_kind:     by_value
    .group_segment_fixed_size: 0
    .kernarg_segment_align: 8
    .kernarg_segment_size: 96
    .language:       OpenCL C
    .language_version:
      - 2
      - 0
    .max_flat_workgroup_size: 128
    .name:           _ZN9rocsparseL18bsrxmvn_4x4_kernelILj128ELj16EdiidddEEvT3_20rocsparse_direction_NS_24const_host_device_scalarIT1_EES1_PKS1_PKT2_SA_S7_PKT4_PKT5_S5_PT6_21rocsparse_index_base_b
    .private_segment_fixed_size: 0
    .sgpr_count:     26
    .sgpr_spill_count: 0
    .symbol:         _ZN9rocsparseL18bsrxmvn_4x4_kernelILj128ELj16EdiidddEEvT3_20rocsparse_direction_NS_24const_host_device_scalarIT1_EES1_PKS1_PKT2_SA_S7_PKT4_PKT5_S5_PT6_21rocsparse_index_base_b.kd
    .uniform_work_group_size: 1
    .uses_dynamic_stack: false
    .vgpr_count:     104
    .vgpr_spill_count: 0
    .wavefront_size: 64
  - .agpr_count:     0
    .args:
      - .offset:         0
        .size:           4
        .value_kind:     by_value
      - .offset:         4
        .size:           4
        .value_kind:     by_value
      - .offset:         8
        .size:           8
        .value_kind:     by_value
      - .offset:         16
        .size:           4
        .value_kind:     by_value
      - .actual_access:  read_only
        .address_space:  global
        .offset:         24
        .size:           8
        .value_kind:     global_buffer
      - .actual_access:  read_only
        .address_space:  global
        .offset:         32
        .size:           8
        .value_kind:     global_buffer
      - .actual_access:  read_only
        .address_space:  global
        .offset:         40
        .size:           8
        .value_kind:     global_buffer
      - .actual_access:  read_only
        .address_space:  global
        .offset:         48
        .size:           8
        .value_kind:     global_buffer
      - .actual_access:  read_only
        .address_space:  global
        .offset:         56
        .size:           8
        .value_kind:     global_buffer
      - .actual_access:  read_only
        .address_space:  global
        .offset:         64
        .size:           8
        .value_kind:     global_buffer
      - .offset:         72
        .size:           8
        .value_kind:     by_value
      - .address_space:  global
        .offset:         80
        .size:           8
        .value_kind:     global_buffer
      - .offset:         88
        .size:           4
        .value_kind:     by_value
      - .offset:         92
        .size:           1
        .value_kind:     by_value
    .group_segment_fixed_size: 0
    .kernarg_segment_align: 8
    .kernarg_segment_size: 96
    .language:       OpenCL C
    .language_version:
      - 2
      - 0
    .max_flat_workgroup_size: 128
    .name:           _ZN9rocsparseL18bsrxmvn_4x4_kernelILj128ELj32EdiidddEEvT3_20rocsparse_direction_NS_24const_host_device_scalarIT1_EES1_PKS1_PKT2_SA_S7_PKT4_PKT5_S5_PT6_21rocsparse_index_base_b
    .private_segment_fixed_size: 0
    .sgpr_count:     31
    .sgpr_spill_count: 0
    .symbol:         _ZN9rocsparseL18bsrxmvn_4x4_kernelILj128ELj32EdiidddEEvT3_20rocsparse_direction_NS_24const_host_device_scalarIT1_EES1_PKS1_PKT2_SA_S7_PKT4_PKT5_S5_PT6_21rocsparse_index_base_b.kd
    .uniform_work_group_size: 1
    .uses_dynamic_stack: false
    .vgpr_count:     106
    .vgpr_spill_count: 0
    .wavefront_size: 64
  - .agpr_count:     0
    .args:
      - .offset:         0
        .size:           4
        .value_kind:     by_value
      - .offset:         4
        .size:           4
        .value_kind:     by_value
      - .offset:         8
        .size:           8
        .value_kind:     by_value
      - .offset:         16
        .size:           4
        .value_kind:     by_value
      - .actual_access:  read_only
        .address_space:  global
        .offset:         24
        .size:           8
        .value_kind:     global_buffer
      - .actual_access:  read_only
        .address_space:  global
        .offset:         32
        .size:           8
        .value_kind:     global_buffer
      - .actual_access:  read_only
        .address_space:  global
        .offset:         40
        .size:           8
        .value_kind:     global_buffer
      - .actual_access:  read_only
        .address_space:  global
        .offset:         48
        .size:           8
        .value_kind:     global_buffer
      - .actual_access:  read_only
        .address_space:  global
        .offset:         56
        .size:           8
        .value_kind:     global_buffer
      - .actual_access:  read_only
        .address_space:  global
        .offset:         64
        .size:           8
        .value_kind:     global_buffer
      - .offset:         72
        .size:           8
        .value_kind:     by_value
      - .address_space:  global
        .offset:         80
        .size:           8
        .value_kind:     global_buffer
      - .offset:         88
        .size:           4
        .value_kind:     by_value
      - .offset:         92
        .size:           1
        .value_kind:     by_value
    .group_segment_fixed_size: 0
    .kernarg_segment_align: 8
    .kernarg_segment_size: 96
    .language:       OpenCL C
    .language_version:
      - 2
      - 0
    .max_flat_workgroup_size: 128
    .name:           _ZN9rocsparseL18bsrxmvn_4x4_kernelILj128ELj64EdiidddEEvT3_20rocsparse_direction_NS_24const_host_device_scalarIT1_EES1_PKS1_PKT2_SA_S7_PKT4_PKT5_S5_PT6_21rocsparse_index_base_b
    .private_segment_fixed_size: 0
    .sgpr_count:     32
    .sgpr_spill_count: 0
    .symbol:         _ZN9rocsparseL18bsrxmvn_4x4_kernelILj128ELj64EdiidddEEvT3_20rocsparse_direction_NS_24const_host_device_scalarIT1_EES1_PKS1_PKT2_SA_S7_PKT4_PKT5_S5_PT6_21rocsparse_index_base_b.kd
    .uniform_work_group_size: 1
    .uses_dynamic_stack: false
    .vgpr_count:     108
    .vgpr_spill_count: 0
    .wavefront_size: 64
  - .agpr_count:     0
    .args:
      - .offset:         0
        .size:           4
        .value_kind:     by_value
      - .offset:         4
        .size:           4
        .value_kind:     by_value
      - .offset:         8
        .size:           8
        .value_kind:     by_value
      - .offset:         16
        .size:           4
        .value_kind:     by_value
      - .actual_access:  read_only
        .address_space:  global
        .offset:         24
        .size:           8
        .value_kind:     global_buffer
      - .actual_access:  read_only
        .address_space:  global
        .offset:         32
        .size:           8
        .value_kind:     global_buffer
      - .actual_access:  read_only
        .address_space:  global
        .offset:         40
        .size:           8
        .value_kind:     global_buffer
      - .actual_access:  read_only
        .address_space:  global
        .offset:         48
        .size:           8
        .value_kind:     global_buffer
      - .actual_access:  read_only
        .address_space:  global
        .offset:         56
        .size:           8
        .value_kind:     global_buffer
      - .actual_access:  read_only
        .address_space:  global
        .offset:         64
        .size:           8
        .value_kind:     global_buffer
      - .offset:         72
        .size:           8
        .value_kind:     by_value
      - .address_space:  global
        .offset:         80
        .size:           8
        .value_kind:     global_buffer
      - .offset:         88
        .size:           4
        .value_kind:     by_value
      - .offset:         92
        .size:           1
        .value_kind:     by_value
    .group_segment_fixed_size: 0
    .kernarg_segment_align: 8
    .kernarg_segment_size: 96
    .language:       OpenCL C
    .language_version:
      - 2
      - 0
    .max_flat_workgroup_size: 128
    .name:           _ZN9rocsparseL18bsrxmvn_4x4_kernelILj128ELj4E21rocsparse_complex_numIfEiiS2_S2_S2_EEvT3_20rocsparse_direction_NS_24const_host_device_scalarIT1_EES3_PKS3_PKT2_SC_S9_PKT4_PKT5_S7_PT6_21rocsparse_index_base_b
    .private_segment_fixed_size: 0
    .sgpr_count:     26
    .sgpr_spill_count: 0
    .symbol:         _ZN9rocsparseL18bsrxmvn_4x4_kernelILj128ELj4E21rocsparse_complex_numIfEiiS2_S2_S2_EEvT3_20rocsparse_direction_NS_24const_host_device_scalarIT1_EES3_PKS3_PKT2_SC_S9_PKT4_PKT5_S7_PT6_21rocsparse_index_base_b.kd
    .uniform_work_group_size: 1
    .uses_dynamic_stack: false
    .vgpr_count:     104
    .vgpr_spill_count: 0
    .wavefront_size: 64
  - .agpr_count:     0
    .args:
      - .offset:         0
        .size:           4
        .value_kind:     by_value
      - .offset:         4
        .size:           4
        .value_kind:     by_value
      - .offset:         8
        .size:           8
        .value_kind:     by_value
      - .offset:         16
        .size:           4
        .value_kind:     by_value
      - .actual_access:  read_only
        .address_space:  global
        .offset:         24
        .size:           8
        .value_kind:     global_buffer
      - .actual_access:  read_only
        .address_space:  global
        .offset:         32
        .size:           8
        .value_kind:     global_buffer
      - .actual_access:  read_only
        .address_space:  global
        .offset:         40
        .size:           8
        .value_kind:     global_buffer
      - .actual_access:  read_only
        .address_space:  global
        .offset:         48
        .size:           8
        .value_kind:     global_buffer
      - .actual_access:  read_only
        .address_space:  global
        .offset:         56
        .size:           8
        .value_kind:     global_buffer
      - .actual_access:  read_only
        .address_space:  global
        .offset:         64
        .size:           8
        .value_kind:     global_buffer
      - .offset:         72
        .size:           8
        .value_kind:     by_value
      - .address_space:  global
        .offset:         80
        .size:           8
        .value_kind:     global_buffer
      - .offset:         88
        .size:           4
        .value_kind:     by_value
      - .offset:         92
        .size:           1
        .value_kind:     by_value
    .group_segment_fixed_size: 0
    .kernarg_segment_align: 8
    .kernarg_segment_size: 96
    .language:       OpenCL C
    .language_version:
      - 2
      - 0
    .max_flat_workgroup_size: 128
    .name:           _ZN9rocsparseL18bsrxmvn_4x4_kernelILj128ELj8E21rocsparse_complex_numIfEiiS2_S2_S2_EEvT3_20rocsparse_direction_NS_24const_host_device_scalarIT1_EES3_PKS3_PKT2_SC_S9_PKT4_PKT5_S7_PT6_21rocsparse_index_base_b
    .private_segment_fixed_size: 0
    .sgpr_count:     26
    .sgpr_spill_count: 0
    .symbol:         _ZN9rocsparseL18bsrxmvn_4x4_kernelILj128ELj8E21rocsparse_complex_numIfEiiS2_S2_S2_EEvT3_20rocsparse_direction_NS_24const_host_device_scalarIT1_EES3_PKS3_PKT2_SC_S9_PKT4_PKT5_S7_PT6_21rocsparse_index_base_b.kd
    .uniform_work_group_size: 1
    .uses_dynamic_stack: false
    .vgpr_count:     104
    .vgpr_spill_count: 0
    .wavefront_size: 64
  - .agpr_count:     0
    .args:
      - .offset:         0
        .size:           4
        .value_kind:     by_value
      - .offset:         4
        .size:           4
        .value_kind:     by_value
      - .offset:         8
        .size:           8
        .value_kind:     by_value
      - .offset:         16
        .size:           4
        .value_kind:     by_value
      - .actual_access:  read_only
        .address_space:  global
        .offset:         24
        .size:           8
        .value_kind:     global_buffer
      - .actual_access:  read_only
        .address_space:  global
        .offset:         32
        .size:           8
        .value_kind:     global_buffer
      - .actual_access:  read_only
        .address_space:  global
        .offset:         40
        .size:           8
        .value_kind:     global_buffer
      - .actual_access:  read_only
        .address_space:  global
        .offset:         48
        .size:           8
        .value_kind:     global_buffer
      - .actual_access:  read_only
        .address_space:  global
        .offset:         56
        .size:           8
        .value_kind:     global_buffer
      - .actual_access:  read_only
        .address_space:  global
        .offset:         64
        .size:           8
        .value_kind:     global_buffer
      - .offset:         72
        .size:           8
        .value_kind:     by_value
      - .address_space:  global
        .offset:         80
        .size:           8
        .value_kind:     global_buffer
      - .offset:         88
        .size:           4
        .value_kind:     by_value
      - .offset:         92
        .size:           1
        .value_kind:     by_value
    .group_segment_fixed_size: 0
    .kernarg_segment_align: 8
    .kernarg_segment_size: 96
    .language:       OpenCL C
    .language_version:
      - 2
      - 0
    .max_flat_workgroup_size: 128
    .name:           _ZN9rocsparseL18bsrxmvn_4x4_kernelILj128ELj16E21rocsparse_complex_numIfEiiS2_S2_S2_EEvT3_20rocsparse_direction_NS_24const_host_device_scalarIT1_EES3_PKS3_PKT2_SC_S9_PKT4_PKT5_S7_PT6_21rocsparse_index_base_b
    .private_segment_fixed_size: 0
    .sgpr_count:     28
    .sgpr_spill_count: 0
    .symbol:         _ZN9rocsparseL18bsrxmvn_4x4_kernelILj128ELj16E21rocsparse_complex_numIfEiiS2_S2_S2_EEvT3_20rocsparse_direction_NS_24const_host_device_scalarIT1_EES3_PKS3_PKT2_SC_S9_PKT4_PKT5_S7_PT6_21rocsparse_index_base_b.kd
    .uniform_work_group_size: 1
    .uses_dynamic_stack: false
    .vgpr_count:     104
    .vgpr_spill_count: 0
    .wavefront_size: 64
  - .agpr_count:     0
    .args:
      - .offset:         0
        .size:           4
        .value_kind:     by_value
      - .offset:         4
        .size:           4
        .value_kind:     by_value
      - .offset:         8
        .size:           8
        .value_kind:     by_value
      - .offset:         16
        .size:           4
        .value_kind:     by_value
      - .actual_access:  read_only
        .address_space:  global
        .offset:         24
        .size:           8
        .value_kind:     global_buffer
      - .actual_access:  read_only
        .address_space:  global
        .offset:         32
        .size:           8
        .value_kind:     global_buffer
      - .actual_access:  read_only
        .address_space:  global
        .offset:         40
        .size:           8
        .value_kind:     global_buffer
      - .actual_access:  read_only
        .address_space:  global
        .offset:         48
        .size:           8
        .value_kind:     global_buffer
      - .actual_access:  read_only
        .address_space:  global
        .offset:         56
        .size:           8
        .value_kind:     global_buffer
      - .actual_access:  read_only
        .address_space:  global
        .offset:         64
        .size:           8
        .value_kind:     global_buffer
      - .offset:         72
        .size:           8
        .value_kind:     by_value
      - .address_space:  global
        .offset:         80
        .size:           8
        .value_kind:     global_buffer
      - .offset:         88
        .size:           4
        .value_kind:     by_value
      - .offset:         92
        .size:           1
        .value_kind:     by_value
    .group_segment_fixed_size: 0
    .kernarg_segment_align: 8
    .kernarg_segment_size: 96
    .language:       OpenCL C
    .language_version:
      - 2
      - 0
    .max_flat_workgroup_size: 128
    .name:           _ZN9rocsparseL18bsrxmvn_4x4_kernelILj128ELj32E21rocsparse_complex_numIfEiiS2_S2_S2_EEvT3_20rocsparse_direction_NS_24const_host_device_scalarIT1_EES3_PKS3_PKT2_SC_S9_PKT4_PKT5_S7_PT6_21rocsparse_index_base_b
    .private_segment_fixed_size: 0
    .sgpr_count:     35
    .sgpr_spill_count: 0
    .symbol:         _ZN9rocsparseL18bsrxmvn_4x4_kernelILj128ELj32E21rocsparse_complex_numIfEiiS2_S2_S2_EEvT3_20rocsparse_direction_NS_24const_host_device_scalarIT1_EES3_PKS3_PKT2_SC_S9_PKT4_PKT5_S7_PT6_21rocsparse_index_base_b.kd
    .uniform_work_group_size: 1
    .uses_dynamic_stack: false
    .vgpr_count:     104
    .vgpr_spill_count: 0
    .wavefront_size: 64
  - .agpr_count:     0
    .args:
      - .offset:         0
        .size:           4
        .value_kind:     by_value
      - .offset:         4
        .size:           4
        .value_kind:     by_value
      - .offset:         8
        .size:           8
        .value_kind:     by_value
      - .offset:         16
        .size:           4
        .value_kind:     by_value
      - .actual_access:  read_only
        .address_space:  global
        .offset:         24
        .size:           8
        .value_kind:     global_buffer
      - .actual_access:  read_only
        .address_space:  global
        .offset:         32
        .size:           8
        .value_kind:     global_buffer
      - .actual_access:  read_only
        .address_space:  global
        .offset:         40
        .size:           8
        .value_kind:     global_buffer
      - .actual_access:  read_only
        .address_space:  global
        .offset:         48
        .size:           8
        .value_kind:     global_buffer
      - .actual_access:  read_only
        .address_space:  global
        .offset:         56
        .size:           8
        .value_kind:     global_buffer
      - .actual_access:  read_only
        .address_space:  global
        .offset:         64
        .size:           8
        .value_kind:     global_buffer
      - .offset:         72
        .size:           8
        .value_kind:     by_value
      - .address_space:  global
        .offset:         80
        .size:           8
        .value_kind:     global_buffer
      - .offset:         88
        .size:           4
        .value_kind:     by_value
      - .offset:         92
        .size:           1
        .value_kind:     by_value
    .group_segment_fixed_size: 0
    .kernarg_segment_align: 8
    .kernarg_segment_size: 96
    .language:       OpenCL C
    .language_version:
      - 2
      - 0
    .max_flat_workgroup_size: 128
    .name:           _ZN9rocsparseL18bsrxmvn_4x4_kernelILj128ELj64E21rocsparse_complex_numIfEiiS2_S2_S2_EEvT3_20rocsparse_direction_NS_24const_host_device_scalarIT1_EES3_PKS3_PKT2_SC_S9_PKT4_PKT5_S7_PT6_21rocsparse_index_base_b
    .private_segment_fixed_size: 0
    .sgpr_count:     38
    .sgpr_spill_count: 0
    .symbol:         _ZN9rocsparseL18bsrxmvn_4x4_kernelILj128ELj64E21rocsparse_complex_numIfEiiS2_S2_S2_EEvT3_20rocsparse_direction_NS_24const_host_device_scalarIT1_EES3_PKS3_PKT2_SC_S9_PKT4_PKT5_S7_PT6_21rocsparse_index_base_b.kd
    .uniform_work_group_size: 1
    .uses_dynamic_stack: false
    .vgpr_count:     104
    .vgpr_spill_count: 0
    .wavefront_size: 64
  - .agpr_count:     0
    .args:
      - .offset:         0
        .size:           4
        .value_kind:     by_value
      - .offset:         4
        .size:           4
        .value_kind:     by_value
      - .offset:         8
        .size:           16
        .value_kind:     by_value
      - .offset:         24
        .size:           4
        .value_kind:     by_value
      - .actual_access:  read_only
        .address_space:  global
        .offset:         32
        .size:           8
        .value_kind:     global_buffer
      - .actual_access:  read_only
        .address_space:  global
        .offset:         40
        .size:           8
        .value_kind:     global_buffer
      - .actual_access:  read_only
        .address_space:  global
        .offset:         48
        .size:           8
        .value_kind:     global_buffer
      - .actual_access:  read_only
        .address_space:  global
        .offset:         56
        .size:           8
        .value_kind:     global_buffer
      - .actual_access:  read_only
        .address_space:  global
        .offset:         64
        .size:           8
        .value_kind:     global_buffer
      - .actual_access:  read_only
        .address_space:  global
        .offset:         72
        .size:           8
        .value_kind:     global_buffer
      - .offset:         80
        .size:           16
        .value_kind:     by_value
      - .address_space:  global
        .offset:         96
        .size:           8
        .value_kind:     global_buffer
      - .offset:         104
        .size:           4
        .value_kind:     by_value
      - .offset:         108
        .size:           1
        .value_kind:     by_value
    .group_segment_fixed_size: 0
    .kernarg_segment_align: 8
    .kernarg_segment_size: 112
    .language:       OpenCL C
    .language_version:
      - 2
      - 0
    .max_flat_workgroup_size: 128
    .name:           _ZN9rocsparseL18bsrxmvn_4x4_kernelILj128ELj4E21rocsparse_complex_numIdEiiS2_S2_S2_EEvT3_20rocsparse_direction_NS_24const_host_device_scalarIT1_EES3_PKS3_PKT2_SC_S9_PKT4_PKT5_S7_PT6_21rocsparse_index_base_b
    .private_segment_fixed_size: 0
    .sgpr_count:     24
    .sgpr_spill_count: 0
    .symbol:         _ZN9rocsparseL18bsrxmvn_4x4_kernelILj128ELj4E21rocsparse_complex_numIdEiiS2_S2_S2_EEvT3_20rocsparse_direction_NS_24const_host_device_scalarIT1_EES3_PKS3_PKT2_SC_S9_PKT4_PKT5_S7_PT6_21rocsparse_index_base_b.kd
    .uniform_work_group_size: 1
    .uses_dynamic_stack: false
    .vgpr_count:     118
    .vgpr_spill_count: 0
    .wavefront_size: 64
  - .agpr_count:     0
    .args:
      - .offset:         0
        .size:           4
        .value_kind:     by_value
      - .offset:         4
        .size:           4
        .value_kind:     by_value
      - .offset:         8
        .size:           16
        .value_kind:     by_value
      - .offset:         24
        .size:           4
        .value_kind:     by_value
      - .actual_access:  read_only
        .address_space:  global
        .offset:         32
        .size:           8
        .value_kind:     global_buffer
      - .actual_access:  read_only
        .address_space:  global
        .offset:         40
        .size:           8
        .value_kind:     global_buffer
      - .actual_access:  read_only
        .address_space:  global
        .offset:         48
        .size:           8
        .value_kind:     global_buffer
      - .actual_access:  read_only
        .address_space:  global
        .offset:         56
        .size:           8
        .value_kind:     global_buffer
      - .actual_access:  read_only
        .address_space:  global
        .offset:         64
        .size:           8
        .value_kind:     global_buffer
      - .actual_access:  read_only
        .address_space:  global
        .offset:         72
        .size:           8
        .value_kind:     global_buffer
      - .offset:         80
        .size:           16
        .value_kind:     by_value
      - .address_space:  global
        .offset:         96
        .size:           8
        .value_kind:     global_buffer
      - .offset:         104
        .size:           4
        .value_kind:     by_value
      - .offset:         108
        .size:           1
        .value_kind:     by_value
    .group_segment_fixed_size: 0
    .kernarg_segment_align: 8
    .kernarg_segment_size: 112
    .language:       OpenCL C
    .language_version:
      - 2
      - 0
    .max_flat_workgroup_size: 128
    .name:           _ZN9rocsparseL18bsrxmvn_4x4_kernelILj128ELj8E21rocsparse_complex_numIdEiiS2_S2_S2_EEvT3_20rocsparse_direction_NS_24const_host_device_scalarIT1_EES3_PKS3_PKT2_SC_S9_PKT4_PKT5_S7_PT6_21rocsparse_index_base_b
    .private_segment_fixed_size: 0
    .sgpr_count:     26
    .sgpr_spill_count: 0
    .symbol:         _ZN9rocsparseL18bsrxmvn_4x4_kernelILj128ELj8E21rocsparse_complex_numIdEiiS2_S2_S2_EEvT3_20rocsparse_direction_NS_24const_host_device_scalarIT1_EES3_PKS3_PKT2_SC_S9_PKT4_PKT5_S7_PT6_21rocsparse_index_base_b.kd
    .uniform_work_group_size: 1
    .uses_dynamic_stack: false
    .vgpr_count:     118
    .vgpr_spill_count: 0
    .wavefront_size: 64
  - .agpr_count:     0
    .args:
      - .offset:         0
        .size:           4
        .value_kind:     by_value
      - .offset:         4
        .size:           4
        .value_kind:     by_value
      - .offset:         8
        .size:           16
        .value_kind:     by_value
      - .offset:         24
        .size:           4
        .value_kind:     by_value
      - .actual_access:  read_only
        .address_space:  global
        .offset:         32
        .size:           8
        .value_kind:     global_buffer
      - .actual_access:  read_only
        .address_space:  global
        .offset:         40
        .size:           8
        .value_kind:     global_buffer
      - .actual_access:  read_only
        .address_space:  global
        .offset:         48
        .size:           8
        .value_kind:     global_buffer
      - .actual_access:  read_only
        .address_space:  global
        .offset:         56
        .size:           8
        .value_kind:     global_buffer
      - .actual_access:  read_only
        .address_space:  global
        .offset:         64
        .size:           8
        .value_kind:     global_buffer
      - .actual_access:  read_only
        .address_space:  global
        .offset:         72
        .size:           8
        .value_kind:     global_buffer
      - .offset:         80
        .size:           16
        .value_kind:     by_value
      - .address_space:  global
        .offset:         96
        .size:           8
        .value_kind:     global_buffer
      - .offset:         104
        .size:           4
        .value_kind:     by_value
      - .offset:         108
        .size:           1
        .value_kind:     by_value
    .group_segment_fixed_size: 0
    .kernarg_segment_align: 8
    .kernarg_segment_size: 112
    .language:       OpenCL C
    .language_version:
      - 2
      - 0
    .max_flat_workgroup_size: 128
    .name:           _ZN9rocsparseL18bsrxmvn_4x4_kernelILj128ELj16E21rocsparse_complex_numIdEiiS2_S2_S2_EEvT3_20rocsparse_direction_NS_24const_host_device_scalarIT1_EES3_PKS3_PKT2_SC_S9_PKT4_PKT5_S7_PT6_21rocsparse_index_base_b
    .private_segment_fixed_size: 0
    .sgpr_count:     31
    .sgpr_spill_count: 0
    .symbol:         _ZN9rocsparseL18bsrxmvn_4x4_kernelILj128ELj16E21rocsparse_complex_numIdEiiS2_S2_S2_EEvT3_20rocsparse_direction_NS_24const_host_device_scalarIT1_EES3_PKS3_PKT2_SC_S9_PKT4_PKT5_S7_PT6_21rocsparse_index_base_b.kd
    .uniform_work_group_size: 1
    .uses_dynamic_stack: false
    .vgpr_count:     116
    .vgpr_spill_count: 0
    .wavefront_size: 64
  - .agpr_count:     0
    .args:
      - .offset:         0
        .size:           4
        .value_kind:     by_value
      - .offset:         4
        .size:           4
        .value_kind:     by_value
      - .offset:         8
        .size:           16
        .value_kind:     by_value
      - .offset:         24
        .size:           4
        .value_kind:     by_value
      - .actual_access:  read_only
        .address_space:  global
        .offset:         32
        .size:           8
        .value_kind:     global_buffer
      - .actual_access:  read_only
        .address_space:  global
        .offset:         40
        .size:           8
        .value_kind:     global_buffer
      - .actual_access:  read_only
        .address_space:  global
        .offset:         48
        .size:           8
        .value_kind:     global_buffer
      - .actual_access:  read_only
        .address_space:  global
        .offset:         56
        .size:           8
        .value_kind:     global_buffer
      - .actual_access:  read_only
        .address_space:  global
        .offset:         64
        .size:           8
        .value_kind:     global_buffer
      - .actual_access:  read_only
        .address_space:  global
        .offset:         72
        .size:           8
        .value_kind:     global_buffer
      - .offset:         80
        .size:           16
        .value_kind:     by_value
      - .address_space:  global
        .offset:         96
        .size:           8
        .value_kind:     global_buffer
      - .offset:         104
        .size:           4
        .value_kind:     by_value
      - .offset:         108
        .size:           1
        .value_kind:     by_value
    .group_segment_fixed_size: 0
    .kernarg_segment_align: 8
    .kernarg_segment_size: 112
    .language:       OpenCL C
    .language_version:
      - 2
      - 0
    .max_flat_workgroup_size: 128
    .name:           _ZN9rocsparseL18bsrxmvn_4x4_kernelILj128ELj32E21rocsparse_complex_numIdEiiS2_S2_S2_EEvT3_20rocsparse_direction_NS_24const_host_device_scalarIT1_EES3_PKS3_PKT2_SC_S9_PKT4_PKT5_S7_PT6_21rocsparse_index_base_b
    .private_segment_fixed_size: 0
    .sgpr_count:     34
    .sgpr_spill_count: 0
    .symbol:         _ZN9rocsparseL18bsrxmvn_4x4_kernelILj128ELj32E21rocsparse_complex_numIdEiiS2_S2_S2_EEvT3_20rocsparse_direction_NS_24const_host_device_scalarIT1_EES3_PKS3_PKT2_SC_S9_PKT4_PKT5_S7_PT6_21rocsparse_index_base_b.kd
    .uniform_work_group_size: 1
    .uses_dynamic_stack: false
    .vgpr_count:     116
    .vgpr_spill_count: 0
    .wavefront_size: 64
  - .agpr_count:     0
    .args:
      - .offset:         0
        .size:           4
        .value_kind:     by_value
      - .offset:         4
        .size:           4
        .value_kind:     by_value
      - .offset:         8
        .size:           16
        .value_kind:     by_value
      - .offset:         24
        .size:           4
        .value_kind:     by_value
      - .actual_access:  read_only
        .address_space:  global
        .offset:         32
        .size:           8
        .value_kind:     global_buffer
      - .actual_access:  read_only
        .address_space:  global
        .offset:         40
        .size:           8
        .value_kind:     global_buffer
      - .actual_access:  read_only
        .address_space:  global
        .offset:         48
        .size:           8
        .value_kind:     global_buffer
      - .actual_access:  read_only
        .address_space:  global
        .offset:         56
        .size:           8
        .value_kind:     global_buffer
      - .actual_access:  read_only
        .address_space:  global
        .offset:         64
        .size:           8
        .value_kind:     global_buffer
      - .actual_access:  read_only
        .address_space:  global
        .offset:         72
        .size:           8
        .value_kind:     global_buffer
      - .offset:         80
        .size:           16
        .value_kind:     by_value
      - .address_space:  global
        .offset:         96
        .size:           8
        .value_kind:     global_buffer
      - .offset:         104
        .size:           4
        .value_kind:     by_value
      - .offset:         108
        .size:           1
        .value_kind:     by_value
    .group_segment_fixed_size: 0
    .kernarg_segment_align: 8
    .kernarg_segment_size: 112
    .language:       OpenCL C
    .language_version:
      - 2
      - 0
    .max_flat_workgroup_size: 128
    .name:           _ZN9rocsparseL18bsrxmvn_4x4_kernelILj128ELj64E21rocsparse_complex_numIdEiiS2_S2_S2_EEvT3_20rocsparse_direction_NS_24const_host_device_scalarIT1_EES3_PKS3_PKT2_SC_S9_PKT4_PKT5_S7_PT6_21rocsparse_index_base_b
    .private_segment_fixed_size: 0
    .sgpr_count:     34
    .sgpr_spill_count: 0
    .symbol:         _ZN9rocsparseL18bsrxmvn_4x4_kernelILj128ELj64E21rocsparse_complex_numIdEiiS2_S2_S2_EEvT3_20rocsparse_direction_NS_24const_host_device_scalarIT1_EES3_PKS3_PKT2_SC_S9_PKT4_PKT5_S7_PT6_21rocsparse_index_base_b.kd
    .uniform_work_group_size: 1
    .uses_dynamic_stack: false
    .vgpr_count:     116
    .vgpr_spill_count: 0
    .wavefront_size: 64
  - .agpr_count:     0
    .args:
      - .offset:         0
        .size:           4
        .value_kind:     by_value
      - .offset:         4
        .size:           4
        .value_kind:     by_value
      - .offset:         8
        .size:           8
        .value_kind:     by_value
      - .offset:         16
        .size:           4
        .value_kind:     by_value
      - .actual_access:  read_only
        .address_space:  global
        .offset:         24
        .size:           8
        .value_kind:     global_buffer
      - .actual_access:  read_only
        .address_space:  global
        .offset:         32
        .size:           8
        .value_kind:     global_buffer
      - .actual_access:  read_only
        .address_space:  global
        .offset:         40
        .size:           8
        .value_kind:     global_buffer
      - .actual_access:  read_only
        .address_space:  global
        .offset:         48
        .size:           8
        .value_kind:     global_buffer
      - .actual_access:  read_only
        .address_space:  global
        .offset:         56
        .size:           8
        .value_kind:     global_buffer
      - .actual_access:  read_only
        .address_space:  global
        .offset:         64
        .size:           8
        .value_kind:     global_buffer
      - .offset:         72
        .size:           8
        .value_kind:     by_value
      - .address_space:  global
        .offset:         80
        .size:           8
        .value_kind:     global_buffer
      - .offset:         88
        .size:           4
        .value_kind:     by_value
      - .offset:         92
        .size:           1
        .value_kind:     by_value
    .group_segment_fixed_size: 0
    .kernarg_segment_align: 8
    .kernarg_segment_size: 96
    .language:       OpenCL C
    .language_version:
      - 2
      - 0
    .max_flat_workgroup_size: 128
    .name:           _ZN9rocsparseL18bsrxmvn_4x4_kernelILj128ELj4EflifffEEvT3_20rocsparse_direction_NS_24const_host_device_scalarIT1_EES1_PKS1_PKT2_SA_S7_PKT4_PKT5_S5_PT6_21rocsparse_index_base_b
    .private_segment_fixed_size: 0
    .sgpr_count:     28
    .sgpr_spill_count: 0
    .symbol:         _ZN9rocsparseL18bsrxmvn_4x4_kernelILj128ELj4EflifffEEvT3_20rocsparse_direction_NS_24const_host_device_scalarIT1_EES1_PKS1_PKT2_SA_S7_PKT4_PKT5_S5_PT6_21rocsparse_index_base_b.kd
    .uniform_work_group_size: 1
    .uses_dynamic_stack: false
    .vgpr_count:     112
    .vgpr_spill_count: 0
    .wavefront_size: 64
  - .agpr_count:     0
    .args:
      - .offset:         0
        .size:           4
        .value_kind:     by_value
      - .offset:         4
        .size:           4
        .value_kind:     by_value
      - .offset:         8
        .size:           8
        .value_kind:     by_value
      - .offset:         16
        .size:           4
        .value_kind:     by_value
      - .actual_access:  read_only
        .address_space:  global
        .offset:         24
        .size:           8
        .value_kind:     global_buffer
      - .actual_access:  read_only
        .address_space:  global
        .offset:         32
        .size:           8
        .value_kind:     global_buffer
      - .actual_access:  read_only
        .address_space:  global
        .offset:         40
        .size:           8
        .value_kind:     global_buffer
      - .actual_access:  read_only
        .address_space:  global
        .offset:         48
        .size:           8
        .value_kind:     global_buffer
      - .actual_access:  read_only
        .address_space:  global
        .offset:         56
        .size:           8
        .value_kind:     global_buffer
      - .actual_access:  read_only
        .address_space:  global
        .offset:         64
        .size:           8
        .value_kind:     global_buffer
      - .offset:         72
        .size:           8
        .value_kind:     by_value
      - .address_space:  global
        .offset:         80
        .size:           8
        .value_kind:     global_buffer
      - .offset:         88
        .size:           4
        .value_kind:     by_value
      - .offset:         92
        .size:           1
        .value_kind:     by_value
    .group_segment_fixed_size: 0
    .kernarg_segment_align: 8
    .kernarg_segment_size: 96
    .language:       OpenCL C
    .language_version:
      - 2
      - 0
    .max_flat_workgroup_size: 128
    .name:           _ZN9rocsparseL18bsrxmvn_4x4_kernelILj128ELj8EflifffEEvT3_20rocsparse_direction_NS_24const_host_device_scalarIT1_EES1_PKS1_PKT2_SA_S7_PKT4_PKT5_S5_PT6_21rocsparse_index_base_b
    .private_segment_fixed_size: 0
    .sgpr_count:     30
    .sgpr_spill_count: 0
    .symbol:         _ZN9rocsparseL18bsrxmvn_4x4_kernelILj128ELj8EflifffEEvT3_20rocsparse_direction_NS_24const_host_device_scalarIT1_EES1_PKS1_PKT2_SA_S7_PKT4_PKT5_S5_PT6_21rocsparse_index_base_b.kd
    .uniform_work_group_size: 1
    .uses_dynamic_stack: false
    .vgpr_count:     104
    .vgpr_spill_count: 0
    .wavefront_size: 64
  - .agpr_count:     0
    .args:
      - .offset:         0
        .size:           4
        .value_kind:     by_value
      - .offset:         4
        .size:           4
        .value_kind:     by_value
      - .offset:         8
        .size:           8
        .value_kind:     by_value
      - .offset:         16
        .size:           4
        .value_kind:     by_value
      - .actual_access:  read_only
        .address_space:  global
        .offset:         24
        .size:           8
        .value_kind:     global_buffer
      - .actual_access:  read_only
        .address_space:  global
        .offset:         32
        .size:           8
        .value_kind:     global_buffer
      - .actual_access:  read_only
        .address_space:  global
        .offset:         40
        .size:           8
        .value_kind:     global_buffer
      - .actual_access:  read_only
        .address_space:  global
        .offset:         48
        .size:           8
        .value_kind:     global_buffer
      - .actual_access:  read_only
        .address_space:  global
        .offset:         56
        .size:           8
        .value_kind:     global_buffer
      - .actual_access:  read_only
        .address_space:  global
        .offset:         64
        .size:           8
        .value_kind:     global_buffer
      - .offset:         72
        .size:           8
        .value_kind:     by_value
      - .address_space:  global
        .offset:         80
        .size:           8
        .value_kind:     global_buffer
      - .offset:         88
        .size:           4
        .value_kind:     by_value
      - .offset:         92
        .size:           1
        .value_kind:     by_value
    .group_segment_fixed_size: 0
    .kernarg_segment_align: 8
    .kernarg_segment_size: 96
    .language:       OpenCL C
    .language_version:
      - 2
      - 0
    .max_flat_workgroup_size: 128
    .name:           _ZN9rocsparseL18bsrxmvn_4x4_kernelILj128ELj16EflifffEEvT3_20rocsparse_direction_NS_24const_host_device_scalarIT1_EES1_PKS1_PKT2_SA_S7_PKT4_PKT5_S5_PT6_21rocsparse_index_base_b
    .private_segment_fixed_size: 0
    .sgpr_count:     30
    .sgpr_spill_count: 0
    .symbol:         _ZN9rocsparseL18bsrxmvn_4x4_kernelILj128ELj16EflifffEEvT3_20rocsparse_direction_NS_24const_host_device_scalarIT1_EES1_PKS1_PKT2_SA_S7_PKT4_PKT5_S5_PT6_21rocsparse_index_base_b.kd
    .uniform_work_group_size: 1
    .uses_dynamic_stack: false
    .vgpr_count:     112
    .vgpr_spill_count: 0
    .wavefront_size: 64
  - .agpr_count:     0
    .args:
      - .offset:         0
        .size:           4
        .value_kind:     by_value
      - .offset:         4
        .size:           4
        .value_kind:     by_value
      - .offset:         8
        .size:           8
        .value_kind:     by_value
      - .offset:         16
        .size:           4
        .value_kind:     by_value
      - .actual_access:  read_only
        .address_space:  global
        .offset:         24
        .size:           8
        .value_kind:     global_buffer
      - .actual_access:  read_only
        .address_space:  global
        .offset:         32
        .size:           8
        .value_kind:     global_buffer
      - .actual_access:  read_only
        .address_space:  global
        .offset:         40
        .size:           8
        .value_kind:     global_buffer
      - .actual_access:  read_only
        .address_space:  global
        .offset:         48
        .size:           8
        .value_kind:     global_buffer
      - .actual_access:  read_only
        .address_space:  global
        .offset:         56
        .size:           8
        .value_kind:     global_buffer
      - .actual_access:  read_only
        .address_space:  global
        .offset:         64
        .size:           8
        .value_kind:     global_buffer
      - .offset:         72
        .size:           8
        .value_kind:     by_value
      - .address_space:  global
        .offset:         80
        .size:           8
        .value_kind:     global_buffer
      - .offset:         88
        .size:           4
        .value_kind:     by_value
      - .offset:         92
        .size:           1
        .value_kind:     by_value
    .group_segment_fixed_size: 0
    .kernarg_segment_align: 8
    .kernarg_segment_size: 96
    .language:       OpenCL C
    .language_version:
      - 2
      - 0
    .max_flat_workgroup_size: 128
    .name:           _ZN9rocsparseL18bsrxmvn_4x4_kernelILj128ELj32EflifffEEvT3_20rocsparse_direction_NS_24const_host_device_scalarIT1_EES1_PKS1_PKT2_SA_S7_PKT4_PKT5_S5_PT6_21rocsparse_index_base_b
    .private_segment_fixed_size: 0
    .sgpr_count:     34
    .sgpr_spill_count: 0
    .symbol:         _ZN9rocsparseL18bsrxmvn_4x4_kernelILj128ELj32EflifffEEvT3_20rocsparse_direction_NS_24const_host_device_scalarIT1_EES1_PKS1_PKT2_SA_S7_PKT4_PKT5_S5_PT6_21rocsparse_index_base_b.kd
    .uniform_work_group_size: 1
    .uses_dynamic_stack: false
    .vgpr_count:     112
    .vgpr_spill_count: 0
    .wavefront_size: 64
  - .agpr_count:     0
    .args:
      - .offset:         0
        .size:           4
        .value_kind:     by_value
      - .offset:         4
        .size:           4
        .value_kind:     by_value
      - .offset:         8
        .size:           8
        .value_kind:     by_value
      - .offset:         16
        .size:           4
        .value_kind:     by_value
      - .actual_access:  read_only
        .address_space:  global
        .offset:         24
        .size:           8
        .value_kind:     global_buffer
      - .actual_access:  read_only
        .address_space:  global
        .offset:         32
        .size:           8
        .value_kind:     global_buffer
      - .actual_access:  read_only
        .address_space:  global
        .offset:         40
        .size:           8
        .value_kind:     global_buffer
      - .actual_access:  read_only
        .address_space:  global
        .offset:         48
        .size:           8
        .value_kind:     global_buffer
      - .actual_access:  read_only
        .address_space:  global
        .offset:         56
        .size:           8
        .value_kind:     global_buffer
      - .actual_access:  read_only
        .address_space:  global
        .offset:         64
        .size:           8
        .value_kind:     global_buffer
      - .offset:         72
        .size:           8
        .value_kind:     by_value
      - .address_space:  global
        .offset:         80
        .size:           8
        .value_kind:     global_buffer
      - .offset:         88
        .size:           4
        .value_kind:     by_value
      - .offset:         92
        .size:           1
        .value_kind:     by_value
    .group_segment_fixed_size: 0
    .kernarg_segment_align: 8
    .kernarg_segment_size: 96
    .language:       OpenCL C
    .language_version:
      - 2
      - 0
    .max_flat_workgroup_size: 128
    .name:           _ZN9rocsparseL18bsrxmvn_4x4_kernelILj128ELj64EflifffEEvT3_20rocsparse_direction_NS_24const_host_device_scalarIT1_EES1_PKS1_PKT2_SA_S7_PKT4_PKT5_S5_PT6_21rocsparse_index_base_b
    .private_segment_fixed_size: 0
    .sgpr_count:     42
    .sgpr_spill_count: 0
    .symbol:         _ZN9rocsparseL18bsrxmvn_4x4_kernelILj128ELj64EflifffEEvT3_20rocsparse_direction_NS_24const_host_device_scalarIT1_EES1_PKS1_PKT2_SA_S7_PKT4_PKT5_S5_PT6_21rocsparse_index_base_b.kd
    .uniform_work_group_size: 1
    .uses_dynamic_stack: false
    .vgpr_count:     116
    .vgpr_spill_count: 0
    .wavefront_size: 64
  - .agpr_count:     0
    .args:
      - .offset:         0
        .size:           4
        .value_kind:     by_value
      - .offset:         4
        .size:           4
        .value_kind:     by_value
      - .offset:         8
        .size:           8
        .value_kind:     by_value
      - .offset:         16
        .size:           4
        .value_kind:     by_value
      - .actual_access:  read_only
        .address_space:  global
        .offset:         24
        .size:           8
        .value_kind:     global_buffer
      - .actual_access:  read_only
        .address_space:  global
        .offset:         32
        .size:           8
        .value_kind:     global_buffer
      - .actual_access:  read_only
        .address_space:  global
        .offset:         40
        .size:           8
        .value_kind:     global_buffer
      - .actual_access:  read_only
        .address_space:  global
        .offset:         48
        .size:           8
        .value_kind:     global_buffer
      - .actual_access:  read_only
        .address_space:  global
        .offset:         56
        .size:           8
        .value_kind:     global_buffer
      - .actual_access:  read_only
        .address_space:  global
        .offset:         64
        .size:           8
        .value_kind:     global_buffer
      - .offset:         72
        .size:           8
        .value_kind:     by_value
      - .address_space:  global
        .offset:         80
        .size:           8
        .value_kind:     global_buffer
      - .offset:         88
        .size:           4
        .value_kind:     by_value
      - .offset:         92
        .size:           1
        .value_kind:     by_value
    .group_segment_fixed_size: 0
    .kernarg_segment_align: 8
    .kernarg_segment_size: 96
    .language:       OpenCL C
    .language_version:
      - 2
      - 0
    .max_flat_workgroup_size: 128
    .name:           _ZN9rocsparseL18bsrxmvn_4x4_kernelILj128ELj4EdlidddEEvT3_20rocsparse_direction_NS_24const_host_device_scalarIT1_EES1_PKS1_PKT2_SA_S7_PKT4_PKT5_S5_PT6_21rocsparse_index_base_b
    .private_segment_fixed_size: 0
    .sgpr_count:     24
    .sgpr_spill_count: 0
    .symbol:         _ZN9rocsparseL18bsrxmvn_4x4_kernelILj128ELj4EdlidddEEvT3_20rocsparse_direction_NS_24const_host_device_scalarIT1_EES1_PKS1_PKT2_SA_S7_PKT4_PKT5_S5_PT6_21rocsparse_index_base_b.kd
    .uniform_work_group_size: 1
    .uses_dynamic_stack: false
    .vgpr_count:     101
    .vgpr_spill_count: 0
    .wavefront_size: 64
  - .agpr_count:     0
    .args:
      - .offset:         0
        .size:           4
        .value_kind:     by_value
      - .offset:         4
        .size:           4
        .value_kind:     by_value
      - .offset:         8
        .size:           8
        .value_kind:     by_value
      - .offset:         16
        .size:           4
        .value_kind:     by_value
      - .actual_access:  read_only
        .address_space:  global
        .offset:         24
        .size:           8
        .value_kind:     global_buffer
      - .actual_access:  read_only
        .address_space:  global
        .offset:         32
        .size:           8
        .value_kind:     global_buffer
      - .actual_access:  read_only
        .address_space:  global
        .offset:         40
        .size:           8
        .value_kind:     global_buffer
      - .actual_access:  read_only
        .address_space:  global
        .offset:         48
        .size:           8
        .value_kind:     global_buffer
      - .actual_access:  read_only
        .address_space:  global
        .offset:         56
        .size:           8
        .value_kind:     global_buffer
      - .actual_access:  read_only
        .address_space:  global
        .offset:         64
        .size:           8
        .value_kind:     global_buffer
      - .offset:         72
        .size:           8
        .value_kind:     by_value
      - .address_space:  global
        .offset:         80
        .size:           8
        .value_kind:     global_buffer
      - .offset:         88
        .size:           4
        .value_kind:     by_value
      - .offset:         92
        .size:           1
        .value_kind:     by_value
    .group_segment_fixed_size: 0
    .kernarg_segment_align: 8
    .kernarg_segment_size: 96
    .language:       OpenCL C
    .language_version:
      - 2
      - 0
    .max_flat_workgroup_size: 128
    .name:           _ZN9rocsparseL18bsrxmvn_4x4_kernelILj128ELj8EdlidddEEvT3_20rocsparse_direction_NS_24const_host_device_scalarIT1_EES1_PKS1_PKT2_SA_S7_PKT4_PKT5_S5_PT6_21rocsparse_index_base_b
    .private_segment_fixed_size: 0
    .sgpr_count:     26
    .sgpr_spill_count: 0
    .symbol:         _ZN9rocsparseL18bsrxmvn_4x4_kernelILj128ELj8EdlidddEEvT3_20rocsparse_direction_NS_24const_host_device_scalarIT1_EES1_PKS1_PKT2_SA_S7_PKT4_PKT5_S5_PT6_21rocsparse_index_base_b.kd
    .uniform_work_group_size: 1
    .uses_dynamic_stack: false
    .vgpr_count:     101
    .vgpr_spill_count: 0
    .wavefront_size: 64
  - .agpr_count:     0
    .args:
      - .offset:         0
        .size:           4
        .value_kind:     by_value
      - .offset:         4
        .size:           4
        .value_kind:     by_value
      - .offset:         8
        .size:           8
        .value_kind:     by_value
      - .offset:         16
        .size:           4
        .value_kind:     by_value
      - .actual_access:  read_only
        .address_space:  global
        .offset:         24
        .size:           8
        .value_kind:     global_buffer
      - .actual_access:  read_only
        .address_space:  global
        .offset:         32
        .size:           8
        .value_kind:     global_buffer
      - .actual_access:  read_only
        .address_space:  global
        .offset:         40
        .size:           8
        .value_kind:     global_buffer
      - .actual_access:  read_only
        .address_space:  global
        .offset:         48
        .size:           8
        .value_kind:     global_buffer
      - .actual_access:  read_only
        .address_space:  global
        .offset:         56
        .size:           8
        .value_kind:     global_buffer
      - .actual_access:  read_only
        .address_space:  global
        .offset:         64
        .size:           8
        .value_kind:     global_buffer
      - .offset:         72
        .size:           8
        .value_kind:     by_value
      - .address_space:  global
        .offset:         80
        .size:           8
        .value_kind:     global_buffer
      - .offset:         88
        .size:           4
        .value_kind:     by_value
      - .offset:         92
        .size:           1
        .value_kind:     by_value
    .group_segment_fixed_size: 0
    .kernarg_segment_align: 8
    .kernarg_segment_size: 96
    .language:       OpenCL C
    .language_version:
      - 2
      - 0
    .max_flat_workgroup_size: 128
    .name:           _ZN9rocsparseL18bsrxmvn_4x4_kernelILj128ELj16EdlidddEEvT3_20rocsparse_direction_NS_24const_host_device_scalarIT1_EES1_PKS1_PKT2_SA_S7_PKT4_PKT5_S5_PT6_21rocsparse_index_base_b
    .private_segment_fixed_size: 0
    .sgpr_count:     28
    .sgpr_spill_count: 0
    .symbol:         _ZN9rocsparseL18bsrxmvn_4x4_kernelILj128ELj16EdlidddEEvT3_20rocsparse_direction_NS_24const_host_device_scalarIT1_EES1_PKS1_PKT2_SA_S7_PKT4_PKT5_S5_PT6_21rocsparse_index_base_b.kd
    .uniform_work_group_size: 1
    .uses_dynamic_stack: false
    .vgpr_count:     101
    .vgpr_spill_count: 0
    .wavefront_size: 64
  - .agpr_count:     0
    .args:
      - .offset:         0
        .size:           4
        .value_kind:     by_value
      - .offset:         4
        .size:           4
        .value_kind:     by_value
      - .offset:         8
        .size:           8
        .value_kind:     by_value
      - .offset:         16
        .size:           4
        .value_kind:     by_value
      - .actual_access:  read_only
        .address_space:  global
        .offset:         24
        .size:           8
        .value_kind:     global_buffer
      - .actual_access:  read_only
        .address_space:  global
        .offset:         32
        .size:           8
        .value_kind:     global_buffer
      - .actual_access:  read_only
        .address_space:  global
        .offset:         40
        .size:           8
        .value_kind:     global_buffer
      - .actual_access:  read_only
        .address_space:  global
        .offset:         48
        .size:           8
        .value_kind:     global_buffer
      - .actual_access:  read_only
        .address_space:  global
        .offset:         56
        .size:           8
        .value_kind:     global_buffer
      - .actual_access:  read_only
        .address_space:  global
        .offset:         64
        .size:           8
        .value_kind:     global_buffer
      - .offset:         72
        .size:           8
        .value_kind:     by_value
      - .address_space:  global
        .offset:         80
        .size:           8
        .value_kind:     global_buffer
      - .offset:         88
        .size:           4
        .value_kind:     by_value
      - .offset:         92
        .size:           1
        .value_kind:     by_value
    .group_segment_fixed_size: 0
    .kernarg_segment_align: 8
    .kernarg_segment_size: 96
    .language:       OpenCL C
    .language_version:
      - 2
      - 0
    .max_flat_workgroup_size: 128
    .name:           _ZN9rocsparseL18bsrxmvn_4x4_kernelILj128ELj32EdlidddEEvT3_20rocsparse_direction_NS_24const_host_device_scalarIT1_EES1_PKS1_PKT2_SA_S7_PKT4_PKT5_S5_PT6_21rocsparse_index_base_b
    .private_segment_fixed_size: 0
    .sgpr_count:     37
    .sgpr_spill_count: 0
    .symbol:         _ZN9rocsparseL18bsrxmvn_4x4_kernelILj128ELj32EdlidddEEvT3_20rocsparse_direction_NS_24const_host_device_scalarIT1_EES1_PKS1_PKT2_SA_S7_PKT4_PKT5_S5_PT6_21rocsparse_index_base_b.kd
    .uniform_work_group_size: 1
    .uses_dynamic_stack: false
    .vgpr_count:     108
    .vgpr_spill_count: 0
    .wavefront_size: 64
  - .agpr_count:     0
    .args:
      - .offset:         0
        .size:           4
        .value_kind:     by_value
      - .offset:         4
        .size:           4
        .value_kind:     by_value
      - .offset:         8
        .size:           8
        .value_kind:     by_value
      - .offset:         16
        .size:           4
        .value_kind:     by_value
      - .actual_access:  read_only
        .address_space:  global
        .offset:         24
        .size:           8
        .value_kind:     global_buffer
      - .actual_access:  read_only
        .address_space:  global
        .offset:         32
        .size:           8
        .value_kind:     global_buffer
      - .actual_access:  read_only
        .address_space:  global
        .offset:         40
        .size:           8
        .value_kind:     global_buffer
      - .actual_access:  read_only
        .address_space:  global
        .offset:         48
        .size:           8
        .value_kind:     global_buffer
      - .actual_access:  read_only
        .address_space:  global
        .offset:         56
        .size:           8
        .value_kind:     global_buffer
      - .actual_access:  read_only
        .address_space:  global
        .offset:         64
        .size:           8
        .value_kind:     global_buffer
      - .offset:         72
        .size:           8
        .value_kind:     by_value
      - .address_space:  global
        .offset:         80
        .size:           8
        .value_kind:     global_buffer
      - .offset:         88
        .size:           4
        .value_kind:     by_value
      - .offset:         92
        .size:           1
        .value_kind:     by_value
    .group_segment_fixed_size: 0
    .kernarg_segment_align: 8
    .kernarg_segment_size: 96
    .language:       OpenCL C
    .language_version:
      - 2
      - 0
    .max_flat_workgroup_size: 128
    .name:           _ZN9rocsparseL18bsrxmvn_4x4_kernelILj128ELj64EdlidddEEvT3_20rocsparse_direction_NS_24const_host_device_scalarIT1_EES1_PKS1_PKT2_SA_S7_PKT4_PKT5_S5_PT6_21rocsparse_index_base_b
    .private_segment_fixed_size: 0
    .sgpr_count:     41
    .sgpr_spill_count: 0
    .symbol:         _ZN9rocsparseL18bsrxmvn_4x4_kernelILj128ELj64EdlidddEEvT3_20rocsparse_direction_NS_24const_host_device_scalarIT1_EES1_PKS1_PKT2_SA_S7_PKT4_PKT5_S5_PT6_21rocsparse_index_base_b.kd
    .uniform_work_group_size: 1
    .uses_dynamic_stack: false
    .vgpr_count:     106
    .vgpr_spill_count: 0
    .wavefront_size: 64
  - .agpr_count:     0
    .args:
      - .offset:         0
        .size:           4
        .value_kind:     by_value
      - .offset:         4
        .size:           4
        .value_kind:     by_value
      - .offset:         8
        .size:           8
        .value_kind:     by_value
      - .offset:         16
        .size:           4
        .value_kind:     by_value
      - .actual_access:  read_only
        .address_space:  global
        .offset:         24
        .size:           8
        .value_kind:     global_buffer
      - .actual_access:  read_only
        .address_space:  global
        .offset:         32
        .size:           8
        .value_kind:     global_buffer
      - .actual_access:  read_only
        .address_space:  global
        .offset:         40
        .size:           8
        .value_kind:     global_buffer
      - .actual_access:  read_only
        .address_space:  global
        .offset:         48
        .size:           8
        .value_kind:     global_buffer
      - .actual_access:  read_only
        .address_space:  global
        .offset:         56
        .size:           8
        .value_kind:     global_buffer
      - .actual_access:  read_only
        .address_space:  global
        .offset:         64
        .size:           8
        .value_kind:     global_buffer
      - .offset:         72
        .size:           8
        .value_kind:     by_value
      - .address_space:  global
        .offset:         80
        .size:           8
        .value_kind:     global_buffer
      - .offset:         88
        .size:           4
        .value_kind:     by_value
      - .offset:         92
        .size:           1
        .value_kind:     by_value
    .group_segment_fixed_size: 0
    .kernarg_segment_align: 8
    .kernarg_segment_size: 96
    .language:       OpenCL C
    .language_version:
      - 2
      - 0
    .max_flat_workgroup_size: 128
    .name:           _ZN9rocsparseL18bsrxmvn_4x4_kernelILj128ELj4E21rocsparse_complex_numIfEliS2_S2_S2_EEvT3_20rocsparse_direction_NS_24const_host_device_scalarIT1_EES3_PKS3_PKT2_SC_S9_PKT4_PKT5_S7_PT6_21rocsparse_index_base_b
    .private_segment_fixed_size: 0
    .sgpr_count:     26
    .sgpr_spill_count: 0
    .symbol:         _ZN9rocsparseL18bsrxmvn_4x4_kernelILj128ELj4E21rocsparse_complex_numIfEliS2_S2_S2_EEvT3_20rocsparse_direction_NS_24const_host_device_scalarIT1_EES3_PKS3_PKT2_SC_S9_PKT4_PKT5_S7_PT6_21rocsparse_index_base_b.kd
    .uniform_work_group_size: 1
    .uses_dynamic_stack: false
    .vgpr_count:     104
    .vgpr_spill_count: 0
    .wavefront_size: 64
  - .agpr_count:     0
    .args:
      - .offset:         0
        .size:           4
        .value_kind:     by_value
      - .offset:         4
        .size:           4
        .value_kind:     by_value
      - .offset:         8
        .size:           8
        .value_kind:     by_value
      - .offset:         16
        .size:           4
        .value_kind:     by_value
      - .actual_access:  read_only
        .address_space:  global
        .offset:         24
        .size:           8
        .value_kind:     global_buffer
      - .actual_access:  read_only
        .address_space:  global
        .offset:         32
        .size:           8
        .value_kind:     global_buffer
      - .actual_access:  read_only
        .address_space:  global
        .offset:         40
        .size:           8
        .value_kind:     global_buffer
      - .actual_access:  read_only
        .address_space:  global
        .offset:         48
        .size:           8
        .value_kind:     global_buffer
      - .actual_access:  read_only
        .address_space:  global
        .offset:         56
        .size:           8
        .value_kind:     global_buffer
      - .actual_access:  read_only
        .address_space:  global
        .offset:         64
        .size:           8
        .value_kind:     global_buffer
      - .offset:         72
        .size:           8
        .value_kind:     by_value
      - .address_space:  global
        .offset:         80
        .size:           8
        .value_kind:     global_buffer
      - .offset:         88
        .size:           4
        .value_kind:     by_value
      - .offset:         92
        .size:           1
        .value_kind:     by_value
    .group_segment_fixed_size: 0
    .kernarg_segment_align: 8
    .kernarg_segment_size: 96
    .language:       OpenCL C
    .language_version:
      - 2
      - 0
    .max_flat_workgroup_size: 128
    .name:           _ZN9rocsparseL18bsrxmvn_4x4_kernelILj128ELj8E21rocsparse_complex_numIfEliS2_S2_S2_EEvT3_20rocsparse_direction_NS_24const_host_device_scalarIT1_EES3_PKS3_PKT2_SC_S9_PKT4_PKT5_S7_PT6_21rocsparse_index_base_b
    .private_segment_fixed_size: 0
    .sgpr_count:     28
    .sgpr_spill_count: 0
    .symbol:         _ZN9rocsparseL18bsrxmvn_4x4_kernelILj128ELj8E21rocsparse_complex_numIfEliS2_S2_S2_EEvT3_20rocsparse_direction_NS_24const_host_device_scalarIT1_EES3_PKS3_PKT2_SC_S9_PKT4_PKT5_S7_PT6_21rocsparse_index_base_b.kd
    .uniform_work_group_size: 1
    .uses_dynamic_stack: false
    .vgpr_count:     104
    .vgpr_spill_count: 0
    .wavefront_size: 64
  - .agpr_count:     0
    .args:
      - .offset:         0
        .size:           4
        .value_kind:     by_value
      - .offset:         4
        .size:           4
        .value_kind:     by_value
      - .offset:         8
        .size:           8
        .value_kind:     by_value
      - .offset:         16
        .size:           4
        .value_kind:     by_value
      - .actual_access:  read_only
        .address_space:  global
        .offset:         24
        .size:           8
        .value_kind:     global_buffer
      - .actual_access:  read_only
        .address_space:  global
        .offset:         32
        .size:           8
        .value_kind:     global_buffer
      - .actual_access:  read_only
        .address_space:  global
        .offset:         40
        .size:           8
        .value_kind:     global_buffer
      - .actual_access:  read_only
        .address_space:  global
        .offset:         48
        .size:           8
        .value_kind:     global_buffer
      - .actual_access:  read_only
        .address_space:  global
        .offset:         56
        .size:           8
        .value_kind:     global_buffer
      - .actual_access:  read_only
        .address_space:  global
        .offset:         64
        .size:           8
        .value_kind:     global_buffer
      - .offset:         72
        .size:           8
        .value_kind:     by_value
      - .address_space:  global
        .offset:         80
        .size:           8
        .value_kind:     global_buffer
      - .offset:         88
        .size:           4
        .value_kind:     by_value
      - .offset:         92
        .size:           1
        .value_kind:     by_value
    .group_segment_fixed_size: 0
    .kernarg_segment_align: 8
    .kernarg_segment_size: 96
    .language:       OpenCL C
    .language_version:
      - 2
      - 0
    .max_flat_workgroup_size: 128
    .name:           _ZN9rocsparseL18bsrxmvn_4x4_kernelILj128ELj16E21rocsparse_complex_numIfEliS2_S2_S2_EEvT3_20rocsparse_direction_NS_24const_host_device_scalarIT1_EES3_PKS3_PKT2_SC_S9_PKT4_PKT5_S7_PT6_21rocsparse_index_base_b
    .private_segment_fixed_size: 0
    .sgpr_count:     30
    .sgpr_spill_count: 0
    .symbol:         _ZN9rocsparseL18bsrxmvn_4x4_kernelILj128ELj16E21rocsparse_complex_numIfEliS2_S2_S2_EEvT3_20rocsparse_direction_NS_24const_host_device_scalarIT1_EES3_PKS3_PKT2_SC_S9_PKT4_PKT5_S7_PT6_21rocsparse_index_base_b.kd
    .uniform_work_group_size: 1
    .uses_dynamic_stack: false
    .vgpr_count:     102
    .vgpr_spill_count: 0
    .wavefront_size: 64
  - .agpr_count:     0
    .args:
      - .offset:         0
        .size:           4
        .value_kind:     by_value
      - .offset:         4
        .size:           4
        .value_kind:     by_value
      - .offset:         8
        .size:           8
        .value_kind:     by_value
      - .offset:         16
        .size:           4
        .value_kind:     by_value
      - .actual_access:  read_only
        .address_space:  global
        .offset:         24
        .size:           8
        .value_kind:     global_buffer
      - .actual_access:  read_only
        .address_space:  global
        .offset:         32
        .size:           8
        .value_kind:     global_buffer
      - .actual_access:  read_only
        .address_space:  global
        .offset:         40
        .size:           8
        .value_kind:     global_buffer
      - .actual_access:  read_only
        .address_space:  global
        .offset:         48
        .size:           8
        .value_kind:     global_buffer
      - .actual_access:  read_only
        .address_space:  global
        .offset:         56
        .size:           8
        .value_kind:     global_buffer
      - .actual_access:  read_only
        .address_space:  global
        .offset:         64
        .size:           8
        .value_kind:     global_buffer
      - .offset:         72
        .size:           8
        .value_kind:     by_value
      - .address_space:  global
        .offset:         80
        .size:           8
        .value_kind:     global_buffer
      - .offset:         88
        .size:           4
        .value_kind:     by_value
      - .offset:         92
        .size:           1
        .value_kind:     by_value
    .group_segment_fixed_size: 0
    .kernarg_segment_align: 8
    .kernarg_segment_size: 96
    .language:       OpenCL C
    .language_version:
      - 2
      - 0
    .max_flat_workgroup_size: 128
    .name:           _ZN9rocsparseL18bsrxmvn_4x4_kernelILj128ELj32E21rocsparse_complex_numIfEliS2_S2_S2_EEvT3_20rocsparse_direction_NS_24const_host_device_scalarIT1_EES3_PKS3_PKT2_SC_S9_PKT4_PKT5_S7_PT6_21rocsparse_index_base_b
    .private_segment_fixed_size: 0
    .sgpr_count:     37
    .sgpr_spill_count: 0
    .symbol:         _ZN9rocsparseL18bsrxmvn_4x4_kernelILj128ELj32E21rocsparse_complex_numIfEliS2_S2_S2_EEvT3_20rocsparse_direction_NS_24const_host_device_scalarIT1_EES3_PKS3_PKT2_SC_S9_PKT4_PKT5_S7_PT6_21rocsparse_index_base_b.kd
    .uniform_work_group_size: 1
    .uses_dynamic_stack: false
    .vgpr_count:     104
    .vgpr_spill_count: 0
    .wavefront_size: 64
  - .agpr_count:     0
    .args:
      - .offset:         0
        .size:           4
        .value_kind:     by_value
      - .offset:         4
        .size:           4
        .value_kind:     by_value
      - .offset:         8
        .size:           8
        .value_kind:     by_value
      - .offset:         16
        .size:           4
        .value_kind:     by_value
      - .actual_access:  read_only
        .address_space:  global
        .offset:         24
        .size:           8
        .value_kind:     global_buffer
      - .actual_access:  read_only
        .address_space:  global
        .offset:         32
        .size:           8
        .value_kind:     global_buffer
      - .actual_access:  read_only
        .address_space:  global
        .offset:         40
        .size:           8
        .value_kind:     global_buffer
      - .actual_access:  read_only
        .address_space:  global
        .offset:         48
        .size:           8
        .value_kind:     global_buffer
      - .actual_access:  read_only
        .address_space:  global
        .offset:         56
        .size:           8
        .value_kind:     global_buffer
      - .actual_access:  read_only
        .address_space:  global
        .offset:         64
        .size:           8
        .value_kind:     global_buffer
      - .offset:         72
        .size:           8
        .value_kind:     by_value
      - .address_space:  global
        .offset:         80
        .size:           8
        .value_kind:     global_buffer
      - .offset:         88
        .size:           4
        .value_kind:     by_value
      - .offset:         92
        .size:           1
        .value_kind:     by_value
    .group_segment_fixed_size: 0
    .kernarg_segment_align: 8
    .kernarg_segment_size: 96
    .language:       OpenCL C
    .language_version:
      - 2
      - 0
    .max_flat_workgroup_size: 128
    .name:           _ZN9rocsparseL18bsrxmvn_4x4_kernelILj128ELj64E21rocsparse_complex_numIfEliS2_S2_S2_EEvT3_20rocsparse_direction_NS_24const_host_device_scalarIT1_EES3_PKS3_PKT2_SC_S9_PKT4_PKT5_S7_PT6_21rocsparse_index_base_b
    .private_segment_fixed_size: 0
    .sgpr_count:     38
    .sgpr_spill_count: 0
    .symbol:         _ZN9rocsparseL18bsrxmvn_4x4_kernelILj128ELj64E21rocsparse_complex_numIfEliS2_S2_S2_EEvT3_20rocsparse_direction_NS_24const_host_device_scalarIT1_EES3_PKS3_PKT2_SC_S9_PKT4_PKT5_S7_PT6_21rocsparse_index_base_b.kd
    .uniform_work_group_size: 1
    .uses_dynamic_stack: false
    .vgpr_count:     104
    .vgpr_spill_count: 0
    .wavefront_size: 64
  - .agpr_count:     0
    .args:
      - .offset:         0
        .size:           4
        .value_kind:     by_value
      - .offset:         4
        .size:           4
        .value_kind:     by_value
      - .offset:         8
        .size:           16
        .value_kind:     by_value
      - .offset:         24
        .size:           4
        .value_kind:     by_value
      - .actual_access:  read_only
        .address_space:  global
        .offset:         32
        .size:           8
        .value_kind:     global_buffer
      - .actual_access:  read_only
        .address_space:  global
        .offset:         40
        .size:           8
        .value_kind:     global_buffer
      - .actual_access:  read_only
        .address_space:  global
        .offset:         48
        .size:           8
        .value_kind:     global_buffer
      - .actual_access:  read_only
        .address_space:  global
        .offset:         56
        .size:           8
        .value_kind:     global_buffer
      - .actual_access:  read_only
        .address_space:  global
        .offset:         64
        .size:           8
        .value_kind:     global_buffer
      - .actual_access:  read_only
        .address_space:  global
        .offset:         72
        .size:           8
        .value_kind:     global_buffer
      - .offset:         80
        .size:           16
        .value_kind:     by_value
      - .address_space:  global
        .offset:         96
        .size:           8
        .value_kind:     global_buffer
      - .offset:         104
        .size:           4
        .value_kind:     by_value
      - .offset:         108
        .size:           1
        .value_kind:     by_value
    .group_segment_fixed_size: 0
    .kernarg_segment_align: 8
    .kernarg_segment_size: 112
    .language:       OpenCL C
    .language_version:
      - 2
      - 0
    .max_flat_workgroup_size: 128
    .name:           _ZN9rocsparseL18bsrxmvn_4x4_kernelILj128ELj4E21rocsparse_complex_numIdEliS2_S2_S2_EEvT3_20rocsparse_direction_NS_24const_host_device_scalarIT1_EES3_PKS3_PKT2_SC_S9_PKT4_PKT5_S7_PT6_21rocsparse_index_base_b
    .private_segment_fixed_size: 0
    .sgpr_count:     24
    .sgpr_spill_count: 0
    .symbol:         _ZN9rocsparseL18bsrxmvn_4x4_kernelILj128ELj4E21rocsparse_complex_numIdEliS2_S2_S2_EEvT3_20rocsparse_direction_NS_24const_host_device_scalarIT1_EES3_PKS3_PKT2_SC_S9_PKT4_PKT5_S7_PT6_21rocsparse_index_base_b.kd
    .uniform_work_group_size: 1
    .uses_dynamic_stack: false
    .vgpr_count:     130
    .vgpr_spill_count: 0
    .wavefront_size: 64
  - .agpr_count:     0
    .args:
      - .offset:         0
        .size:           4
        .value_kind:     by_value
      - .offset:         4
        .size:           4
        .value_kind:     by_value
      - .offset:         8
        .size:           16
        .value_kind:     by_value
      - .offset:         24
        .size:           4
        .value_kind:     by_value
      - .actual_access:  read_only
        .address_space:  global
        .offset:         32
        .size:           8
        .value_kind:     global_buffer
      - .actual_access:  read_only
        .address_space:  global
        .offset:         40
        .size:           8
        .value_kind:     global_buffer
      - .actual_access:  read_only
        .address_space:  global
        .offset:         48
        .size:           8
        .value_kind:     global_buffer
      - .actual_access:  read_only
        .address_space:  global
        .offset:         56
        .size:           8
        .value_kind:     global_buffer
      - .actual_access:  read_only
        .address_space:  global
        .offset:         64
        .size:           8
        .value_kind:     global_buffer
      - .actual_access:  read_only
        .address_space:  global
        .offset:         72
        .size:           8
        .value_kind:     global_buffer
      - .offset:         80
        .size:           16
        .value_kind:     by_value
      - .address_space:  global
        .offset:         96
        .size:           8
        .value_kind:     global_buffer
      - .offset:         104
        .size:           4
        .value_kind:     by_value
      - .offset:         108
        .size:           1
        .value_kind:     by_value
    .group_segment_fixed_size: 0
    .kernarg_segment_align: 8
    .kernarg_segment_size: 112
    .language:       OpenCL C
    .language_version:
      - 2
      - 0
    .max_flat_workgroup_size: 128
    .name:           _ZN9rocsparseL18bsrxmvn_4x4_kernelILj128ELj8E21rocsparse_complex_numIdEliS2_S2_S2_EEvT3_20rocsparse_direction_NS_24const_host_device_scalarIT1_EES3_PKS3_PKT2_SC_S9_PKT4_PKT5_S7_PT6_21rocsparse_index_base_b
    .private_segment_fixed_size: 0
    .sgpr_count:     28
    .sgpr_spill_count: 0
    .symbol:         _ZN9rocsparseL18bsrxmvn_4x4_kernelILj128ELj8E21rocsparse_complex_numIdEliS2_S2_S2_EEvT3_20rocsparse_direction_NS_24const_host_device_scalarIT1_EES3_PKS3_PKT2_SC_S9_PKT4_PKT5_S7_PT6_21rocsparse_index_base_b.kd
    .uniform_work_group_size: 1
    .uses_dynamic_stack: false
    .vgpr_count:     128
    .vgpr_spill_count: 0
    .wavefront_size: 64
  - .agpr_count:     0
    .args:
      - .offset:         0
        .size:           4
        .value_kind:     by_value
      - .offset:         4
        .size:           4
        .value_kind:     by_value
      - .offset:         8
        .size:           16
        .value_kind:     by_value
      - .offset:         24
        .size:           4
        .value_kind:     by_value
      - .actual_access:  read_only
        .address_space:  global
        .offset:         32
        .size:           8
        .value_kind:     global_buffer
      - .actual_access:  read_only
        .address_space:  global
        .offset:         40
        .size:           8
        .value_kind:     global_buffer
      - .actual_access:  read_only
        .address_space:  global
        .offset:         48
        .size:           8
        .value_kind:     global_buffer
      - .actual_access:  read_only
        .address_space:  global
        .offset:         56
        .size:           8
        .value_kind:     global_buffer
      - .actual_access:  read_only
        .address_space:  global
        .offset:         64
        .size:           8
        .value_kind:     global_buffer
      - .actual_access:  read_only
        .address_space:  global
        .offset:         72
        .size:           8
        .value_kind:     global_buffer
      - .offset:         80
        .size:           16
        .value_kind:     by_value
      - .address_space:  global
        .offset:         96
        .size:           8
        .value_kind:     global_buffer
      - .offset:         104
        .size:           4
        .value_kind:     by_value
      - .offset:         108
        .size:           1
        .value_kind:     by_value
    .group_segment_fixed_size: 0
    .kernarg_segment_align: 8
    .kernarg_segment_size: 112
    .language:       OpenCL C
    .language_version:
      - 2
      - 0
    .max_flat_workgroup_size: 128
    .name:           _ZN9rocsparseL18bsrxmvn_4x4_kernelILj128ELj16E21rocsparse_complex_numIdEliS2_S2_S2_EEvT3_20rocsparse_direction_NS_24const_host_device_scalarIT1_EES3_PKS3_PKT2_SC_S9_PKT4_PKT5_S7_PT6_21rocsparse_index_base_b
    .private_segment_fixed_size: 0
    .sgpr_count:     33
    .sgpr_spill_count: 0
    .symbol:         _ZN9rocsparseL18bsrxmvn_4x4_kernelILj128ELj16E21rocsparse_complex_numIdEliS2_S2_S2_EEvT3_20rocsparse_direction_NS_24const_host_device_scalarIT1_EES3_PKS3_PKT2_SC_S9_PKT4_PKT5_S7_PT6_21rocsparse_index_base_b.kd
    .uniform_work_group_size: 1
    .uses_dynamic_stack: false
    .vgpr_count:     128
    .vgpr_spill_count: 0
    .wavefront_size: 64
  - .agpr_count:     0
    .args:
      - .offset:         0
        .size:           4
        .value_kind:     by_value
      - .offset:         4
        .size:           4
        .value_kind:     by_value
      - .offset:         8
        .size:           16
        .value_kind:     by_value
      - .offset:         24
        .size:           4
        .value_kind:     by_value
      - .actual_access:  read_only
        .address_space:  global
        .offset:         32
        .size:           8
        .value_kind:     global_buffer
      - .actual_access:  read_only
        .address_space:  global
        .offset:         40
        .size:           8
        .value_kind:     global_buffer
      - .actual_access:  read_only
        .address_space:  global
        .offset:         48
        .size:           8
        .value_kind:     global_buffer
      - .actual_access:  read_only
        .address_space:  global
        .offset:         56
        .size:           8
        .value_kind:     global_buffer
      - .actual_access:  read_only
        .address_space:  global
        .offset:         64
        .size:           8
        .value_kind:     global_buffer
      - .actual_access:  read_only
        .address_space:  global
        .offset:         72
        .size:           8
        .value_kind:     global_buffer
      - .offset:         80
        .size:           16
        .value_kind:     by_value
      - .address_space:  global
        .offset:         96
        .size:           8
        .value_kind:     global_buffer
      - .offset:         104
        .size:           4
        .value_kind:     by_value
      - .offset:         108
        .size:           1
        .value_kind:     by_value
    .group_segment_fixed_size: 0
    .kernarg_segment_align: 8
    .kernarg_segment_size: 112
    .language:       OpenCL C
    .language_version:
      - 2
      - 0
    .max_flat_workgroup_size: 128
    .name:           _ZN9rocsparseL18bsrxmvn_4x4_kernelILj128ELj32E21rocsparse_complex_numIdEliS2_S2_S2_EEvT3_20rocsparse_direction_NS_24const_host_device_scalarIT1_EES3_PKS3_PKT2_SC_S9_PKT4_PKT5_S7_PT6_21rocsparse_index_base_b
    .private_segment_fixed_size: 0
    .sgpr_count:     36
    .sgpr_spill_count: 0
    .symbol:         _ZN9rocsparseL18bsrxmvn_4x4_kernelILj128ELj32E21rocsparse_complex_numIdEliS2_S2_S2_EEvT3_20rocsparse_direction_NS_24const_host_device_scalarIT1_EES3_PKS3_PKT2_SC_S9_PKT4_PKT5_S7_PT6_21rocsparse_index_base_b.kd
    .uniform_work_group_size: 1
    .uses_dynamic_stack: false
    .vgpr_count:     128
    .vgpr_spill_count: 0
    .wavefront_size: 64
  - .agpr_count:     0
    .args:
      - .offset:         0
        .size:           4
        .value_kind:     by_value
      - .offset:         4
        .size:           4
        .value_kind:     by_value
      - .offset:         8
        .size:           16
        .value_kind:     by_value
      - .offset:         24
        .size:           4
        .value_kind:     by_value
      - .actual_access:  read_only
        .address_space:  global
        .offset:         32
        .size:           8
        .value_kind:     global_buffer
      - .actual_access:  read_only
        .address_space:  global
        .offset:         40
        .size:           8
        .value_kind:     global_buffer
      - .actual_access:  read_only
        .address_space:  global
        .offset:         48
        .size:           8
        .value_kind:     global_buffer
      - .actual_access:  read_only
        .address_space:  global
        .offset:         56
        .size:           8
        .value_kind:     global_buffer
      - .actual_access:  read_only
        .address_space:  global
        .offset:         64
        .size:           8
        .value_kind:     global_buffer
      - .actual_access:  read_only
        .address_space:  global
        .offset:         72
        .size:           8
        .value_kind:     global_buffer
      - .offset:         80
        .size:           16
        .value_kind:     by_value
      - .address_space:  global
        .offset:         96
        .size:           8
        .value_kind:     global_buffer
      - .offset:         104
        .size:           4
        .value_kind:     by_value
      - .offset:         108
        .size:           1
        .value_kind:     by_value
    .group_segment_fixed_size: 0
    .kernarg_segment_align: 8
    .kernarg_segment_size: 112
    .language:       OpenCL C
    .language_version:
      - 2
      - 0
    .max_flat_workgroup_size: 128
    .name:           _ZN9rocsparseL18bsrxmvn_4x4_kernelILj128ELj64E21rocsparse_complex_numIdEliS2_S2_S2_EEvT3_20rocsparse_direction_NS_24const_host_device_scalarIT1_EES3_PKS3_PKT2_SC_S9_PKT4_PKT5_S7_PT6_21rocsparse_index_base_b
    .private_segment_fixed_size: 0
    .sgpr_count:     36
    .sgpr_spill_count: 0
    .symbol:         _ZN9rocsparseL18bsrxmvn_4x4_kernelILj128ELj64E21rocsparse_complex_numIdEliS2_S2_S2_EEvT3_20rocsparse_direction_NS_24const_host_device_scalarIT1_EES3_PKS3_PKT2_SC_S9_PKT4_PKT5_S7_PT6_21rocsparse_index_base_b.kd
    .uniform_work_group_size: 1
    .uses_dynamic_stack: false
    .vgpr_count:     128
    .vgpr_spill_count: 0
    .wavefront_size: 64
  - .agpr_count:     0
    .args:
      - .offset:         0
        .size:           8
        .value_kind:     by_value
      - .offset:         8
        .size:           4
        .value_kind:     by_value
      - .offset:         16
        .size:           8
        .value_kind:     by_value
      - .offset:         24
        .size:           8
        .value_kind:     by_value
      - .actual_access:  read_only
        .address_space:  global
        .offset:         32
        .size:           8
        .value_kind:     global_buffer
      - .actual_access:  read_only
        .address_space:  global
        .offset:         40
        .size:           8
        .value_kind:     global_buffer
      - .actual_access:  read_only
        .address_space:  global
        .offset:         48
        .size:           8
        .value_kind:     global_buffer
      - .actual_access:  read_only
        .address_space:  global
        .offset:         56
        .size:           8
        .value_kind:     global_buffer
      - .actual_access:  read_only
        .address_space:  global
        .offset:         64
        .size:           8
        .value_kind:     global_buffer
      - .actual_access:  read_only
        .address_space:  global
        .offset:         72
        .size:           8
        .value_kind:     global_buffer
      - .offset:         80
        .size:           8
        .value_kind:     by_value
      - .address_space:  global
        .offset:         88
        .size:           8
        .value_kind:     global_buffer
      - .offset:         96
        .size:           4
        .value_kind:     by_value
      - .offset:         100
        .size:           1
        .value_kind:     by_value
    .group_segment_fixed_size: 0
    .kernarg_segment_align: 8
    .kernarg_segment_size: 104
    .language:       OpenCL C
    .language_version:
      - 2
      - 0
    .max_flat_workgroup_size: 128
    .name:           _ZN9rocsparseL18bsrxmvn_4x4_kernelILj128ELj4EfllfffEEvT3_20rocsparse_direction_NS_24const_host_device_scalarIT1_EES1_PKS1_PKT2_SA_S7_PKT4_PKT5_S5_PT6_21rocsparse_index_base_b
    .private_segment_fixed_size: 0
    .sgpr_count:     34
    .sgpr_spill_count: 0
    .symbol:         _ZN9rocsparseL18bsrxmvn_4x4_kernelILj128ELj4EfllfffEEvT3_20rocsparse_direction_NS_24const_host_device_scalarIT1_EES1_PKS1_PKT2_SA_S7_PKT4_PKT5_S5_PT6_21rocsparse_index_base_b.kd
    .uniform_work_group_size: 1
    .uses_dynamic_stack: false
    .vgpr_count:     114
    .vgpr_spill_count: 0
    .wavefront_size: 64
  - .agpr_count:     0
    .args:
      - .offset:         0
        .size:           8
        .value_kind:     by_value
      - .offset:         8
        .size:           4
        .value_kind:     by_value
      - .offset:         16
        .size:           8
        .value_kind:     by_value
      - .offset:         24
        .size:           8
        .value_kind:     by_value
      - .actual_access:  read_only
        .address_space:  global
        .offset:         32
        .size:           8
        .value_kind:     global_buffer
      - .actual_access:  read_only
        .address_space:  global
        .offset:         40
        .size:           8
        .value_kind:     global_buffer
      - .actual_access:  read_only
        .address_space:  global
        .offset:         48
        .size:           8
        .value_kind:     global_buffer
      - .actual_access:  read_only
        .address_space:  global
        .offset:         56
        .size:           8
        .value_kind:     global_buffer
      - .actual_access:  read_only
        .address_space:  global
        .offset:         64
        .size:           8
        .value_kind:     global_buffer
      - .actual_access:  read_only
        .address_space:  global
        .offset:         72
        .size:           8
        .value_kind:     global_buffer
      - .offset:         80
        .size:           8
        .value_kind:     by_value
      - .address_space:  global
        .offset:         88
        .size:           8
        .value_kind:     global_buffer
      - .offset:         96
        .size:           4
        .value_kind:     by_value
      - .offset:         100
        .size:           1
        .value_kind:     by_value
    .group_segment_fixed_size: 0
    .kernarg_segment_align: 8
    .kernarg_segment_size: 104
    .language:       OpenCL C
    .language_version:
      - 2
      - 0
    .max_flat_workgroup_size: 128
    .name:           _ZN9rocsparseL18bsrxmvn_4x4_kernelILj128ELj8EfllfffEEvT3_20rocsparse_direction_NS_24const_host_device_scalarIT1_EES1_PKS1_PKT2_SA_S7_PKT4_PKT5_S5_PT6_21rocsparse_index_base_b
    .private_segment_fixed_size: 0
    .sgpr_count:     28
    .sgpr_spill_count: 0
    .symbol:         _ZN9rocsparseL18bsrxmvn_4x4_kernelILj128ELj8EfllfffEEvT3_20rocsparse_direction_NS_24const_host_device_scalarIT1_EES1_PKS1_PKT2_SA_S7_PKT4_PKT5_S5_PT6_21rocsparse_index_base_b.kd
    .uniform_work_group_size: 1
    .uses_dynamic_stack: false
    .vgpr_count:     106
    .vgpr_spill_count: 0
    .wavefront_size: 64
  - .agpr_count:     0
    .args:
      - .offset:         0
        .size:           8
        .value_kind:     by_value
      - .offset:         8
        .size:           4
        .value_kind:     by_value
      - .offset:         16
        .size:           8
        .value_kind:     by_value
      - .offset:         24
        .size:           8
        .value_kind:     by_value
      - .actual_access:  read_only
        .address_space:  global
        .offset:         32
        .size:           8
        .value_kind:     global_buffer
      - .actual_access:  read_only
        .address_space:  global
        .offset:         40
        .size:           8
        .value_kind:     global_buffer
      - .actual_access:  read_only
        .address_space:  global
        .offset:         48
        .size:           8
        .value_kind:     global_buffer
      - .actual_access:  read_only
        .address_space:  global
        .offset:         56
        .size:           8
        .value_kind:     global_buffer
      - .actual_access:  read_only
        .address_space:  global
        .offset:         64
        .size:           8
        .value_kind:     global_buffer
      - .actual_access:  read_only
        .address_space:  global
        .offset:         72
        .size:           8
        .value_kind:     global_buffer
      - .offset:         80
        .size:           8
        .value_kind:     by_value
      - .address_space:  global
        .offset:         88
        .size:           8
        .value_kind:     global_buffer
      - .offset:         96
        .size:           4
        .value_kind:     by_value
      - .offset:         100
        .size:           1
        .value_kind:     by_value
    .group_segment_fixed_size: 0
    .kernarg_segment_align: 8
    .kernarg_segment_size: 104
    .language:       OpenCL C
    .language_version:
      - 2
      - 0
    .max_flat_workgroup_size: 128
    .name:           _ZN9rocsparseL18bsrxmvn_4x4_kernelILj128ELj16EfllfffEEvT3_20rocsparse_direction_NS_24const_host_device_scalarIT1_EES1_PKS1_PKT2_SA_S7_PKT4_PKT5_S5_PT6_21rocsparse_index_base_b
    .private_segment_fixed_size: 0
    .sgpr_count:     34
    .sgpr_spill_count: 0
    .symbol:         _ZN9rocsparseL18bsrxmvn_4x4_kernelILj128ELj16EfllfffEEvT3_20rocsparse_direction_NS_24const_host_device_scalarIT1_EES1_PKS1_PKT2_SA_S7_PKT4_PKT5_S5_PT6_21rocsparse_index_base_b.kd
    .uniform_work_group_size: 1
    .uses_dynamic_stack: false
    .vgpr_count:     114
    .vgpr_spill_count: 0
    .wavefront_size: 64
  - .agpr_count:     0
    .args:
      - .offset:         0
        .size:           8
        .value_kind:     by_value
      - .offset:         8
        .size:           4
        .value_kind:     by_value
      - .offset:         16
        .size:           8
        .value_kind:     by_value
      - .offset:         24
        .size:           8
        .value_kind:     by_value
      - .actual_access:  read_only
        .address_space:  global
        .offset:         32
        .size:           8
        .value_kind:     global_buffer
      - .actual_access:  read_only
        .address_space:  global
        .offset:         40
        .size:           8
        .value_kind:     global_buffer
      - .actual_access:  read_only
        .address_space:  global
        .offset:         48
        .size:           8
        .value_kind:     global_buffer
      - .actual_access:  read_only
        .address_space:  global
        .offset:         56
        .size:           8
        .value_kind:     global_buffer
      - .actual_access:  read_only
        .address_space:  global
        .offset:         64
        .size:           8
        .value_kind:     global_buffer
      - .actual_access:  read_only
        .address_space:  global
        .offset:         72
        .size:           8
        .value_kind:     global_buffer
      - .offset:         80
        .size:           8
        .value_kind:     by_value
      - .address_space:  global
        .offset:         88
        .size:           8
        .value_kind:     global_buffer
      - .offset:         96
        .size:           4
        .value_kind:     by_value
      - .offset:         100
        .size:           1
        .value_kind:     by_value
    .group_segment_fixed_size: 0
    .kernarg_segment_align: 8
    .kernarg_segment_size: 104
    .language:       OpenCL C
    .language_version:
      - 2
      - 0
    .max_flat_workgroup_size: 128
    .name:           _ZN9rocsparseL18bsrxmvn_4x4_kernelILj128ELj32EfllfffEEvT3_20rocsparse_direction_NS_24const_host_device_scalarIT1_EES1_PKS1_PKT2_SA_S7_PKT4_PKT5_S5_PT6_21rocsparse_index_base_b
    .private_segment_fixed_size: 0
    .sgpr_count:     38
    .sgpr_spill_count: 0
    .symbol:         _ZN9rocsparseL18bsrxmvn_4x4_kernelILj128ELj32EfllfffEEvT3_20rocsparse_direction_NS_24const_host_device_scalarIT1_EES1_PKS1_PKT2_SA_S7_PKT4_PKT5_S5_PT6_21rocsparse_index_base_b.kd
    .uniform_work_group_size: 1
    .uses_dynamic_stack: false
    .vgpr_count:     114
    .vgpr_spill_count: 0
    .wavefront_size: 64
  - .agpr_count:     0
    .args:
      - .offset:         0
        .size:           8
        .value_kind:     by_value
      - .offset:         8
        .size:           4
        .value_kind:     by_value
      - .offset:         16
        .size:           8
        .value_kind:     by_value
      - .offset:         24
        .size:           8
        .value_kind:     by_value
      - .actual_access:  read_only
        .address_space:  global
        .offset:         32
        .size:           8
        .value_kind:     global_buffer
      - .actual_access:  read_only
        .address_space:  global
        .offset:         40
        .size:           8
        .value_kind:     global_buffer
      - .actual_access:  read_only
        .address_space:  global
        .offset:         48
        .size:           8
        .value_kind:     global_buffer
      - .actual_access:  read_only
        .address_space:  global
        .offset:         56
        .size:           8
        .value_kind:     global_buffer
      - .actual_access:  read_only
        .address_space:  global
        .offset:         64
        .size:           8
        .value_kind:     global_buffer
      - .actual_access:  read_only
        .address_space:  global
        .offset:         72
        .size:           8
        .value_kind:     global_buffer
      - .offset:         80
        .size:           8
        .value_kind:     by_value
      - .address_space:  global
        .offset:         88
        .size:           8
        .value_kind:     global_buffer
      - .offset:         96
        .size:           4
        .value_kind:     by_value
      - .offset:         100
        .size:           1
        .value_kind:     by_value
    .group_segment_fixed_size: 0
    .kernarg_segment_align: 8
    .kernarg_segment_size: 104
    .language:       OpenCL C
    .language_version:
      - 2
      - 0
    .max_flat_workgroup_size: 128
    .name:           _ZN9rocsparseL18bsrxmvn_4x4_kernelILj128ELj64EfllfffEEvT3_20rocsparse_direction_NS_24const_host_device_scalarIT1_EES1_PKS1_PKT2_SA_S7_PKT4_PKT5_S5_PT6_21rocsparse_index_base_b
    .private_segment_fixed_size: 0
    .sgpr_count:     44
    .sgpr_spill_count: 0
    .symbol:         _ZN9rocsparseL18bsrxmvn_4x4_kernelILj128ELj64EfllfffEEvT3_20rocsparse_direction_NS_24const_host_device_scalarIT1_EES1_PKS1_PKT2_SA_S7_PKT4_PKT5_S5_PT6_21rocsparse_index_base_b.kd
    .uniform_work_group_size: 1
    .uses_dynamic_stack: false
    .vgpr_count:     118
    .vgpr_spill_count: 0
    .wavefront_size: 64
  - .agpr_count:     0
    .args:
      - .offset:         0
        .size:           8
        .value_kind:     by_value
      - .offset:         8
        .size:           4
        .value_kind:     by_value
      - .offset:         16
        .size:           8
        .value_kind:     by_value
      - .offset:         24
        .size:           8
        .value_kind:     by_value
      - .actual_access:  read_only
        .address_space:  global
        .offset:         32
        .size:           8
        .value_kind:     global_buffer
      - .actual_access:  read_only
        .address_space:  global
        .offset:         40
        .size:           8
        .value_kind:     global_buffer
      - .actual_access:  read_only
        .address_space:  global
        .offset:         48
        .size:           8
        .value_kind:     global_buffer
      - .actual_access:  read_only
        .address_space:  global
        .offset:         56
        .size:           8
        .value_kind:     global_buffer
      - .actual_access:  read_only
        .address_space:  global
        .offset:         64
        .size:           8
        .value_kind:     global_buffer
      - .actual_access:  read_only
        .address_space:  global
        .offset:         72
        .size:           8
        .value_kind:     global_buffer
      - .offset:         80
        .size:           8
        .value_kind:     by_value
      - .address_space:  global
        .offset:         88
        .size:           8
        .value_kind:     global_buffer
      - .offset:         96
        .size:           4
        .value_kind:     by_value
      - .offset:         100
        .size:           1
        .value_kind:     by_value
    .group_segment_fixed_size: 0
    .kernarg_segment_align: 8
    .kernarg_segment_size: 104
    .language:       OpenCL C
    .language_version:
      - 2
      - 0
    .max_flat_workgroup_size: 128
    .name:           _ZN9rocsparseL18bsrxmvn_4x4_kernelILj128ELj4EdlldddEEvT3_20rocsparse_direction_NS_24const_host_device_scalarIT1_EES1_PKS1_PKT2_SA_S7_PKT4_PKT5_S5_PT6_21rocsparse_index_base_b
    .private_segment_fixed_size: 0
    .sgpr_count:     24
    .sgpr_spill_count: 0
    .symbol:         _ZN9rocsparseL18bsrxmvn_4x4_kernelILj128ELj4EdlldddEEvT3_20rocsparse_direction_NS_24const_host_device_scalarIT1_EES1_PKS1_PKT2_SA_S7_PKT4_PKT5_S5_PT6_21rocsparse_index_base_b.kd
    .uniform_work_group_size: 1
    .uses_dynamic_stack: false
    .vgpr_count:     104
    .vgpr_spill_count: 0
    .wavefront_size: 64
  - .agpr_count:     0
    .args:
      - .offset:         0
        .size:           8
        .value_kind:     by_value
      - .offset:         8
        .size:           4
        .value_kind:     by_value
      - .offset:         16
        .size:           8
        .value_kind:     by_value
      - .offset:         24
        .size:           8
        .value_kind:     by_value
      - .actual_access:  read_only
        .address_space:  global
        .offset:         32
        .size:           8
        .value_kind:     global_buffer
      - .actual_access:  read_only
        .address_space:  global
        .offset:         40
        .size:           8
        .value_kind:     global_buffer
      - .actual_access:  read_only
        .address_space:  global
        .offset:         48
        .size:           8
        .value_kind:     global_buffer
      - .actual_access:  read_only
        .address_space:  global
        .offset:         56
        .size:           8
        .value_kind:     global_buffer
      - .actual_access:  read_only
        .address_space:  global
        .offset:         64
        .size:           8
        .value_kind:     global_buffer
      - .actual_access:  read_only
        .address_space:  global
        .offset:         72
        .size:           8
        .value_kind:     global_buffer
      - .offset:         80
        .size:           8
        .value_kind:     by_value
      - .address_space:  global
        .offset:         88
        .size:           8
        .value_kind:     global_buffer
      - .offset:         96
        .size:           4
        .value_kind:     by_value
      - .offset:         100
        .size:           1
        .value_kind:     by_value
    .group_segment_fixed_size: 0
    .kernarg_segment_align: 8
    .kernarg_segment_size: 104
    .language:       OpenCL C
    .language_version:
      - 2
      - 0
    .max_flat_workgroup_size: 128
    .name:           _ZN9rocsparseL18bsrxmvn_4x4_kernelILj128ELj8EdlldddEEvT3_20rocsparse_direction_NS_24const_host_device_scalarIT1_EES1_PKS1_PKT2_SA_S7_PKT4_PKT5_S5_PT6_21rocsparse_index_base_b
    .private_segment_fixed_size: 0
    .sgpr_count:     24
    .sgpr_spill_count: 0
    .symbol:         _ZN9rocsparseL18bsrxmvn_4x4_kernelILj128ELj8EdlldddEEvT3_20rocsparse_direction_NS_24const_host_device_scalarIT1_EES1_PKS1_PKT2_SA_S7_PKT4_PKT5_S5_PT6_21rocsparse_index_base_b.kd
    .uniform_work_group_size: 1
    .uses_dynamic_stack: false
    .vgpr_count:     104
    .vgpr_spill_count: 0
    .wavefront_size: 64
  - .agpr_count:     0
    .args:
      - .offset:         0
        .size:           8
        .value_kind:     by_value
      - .offset:         8
        .size:           4
        .value_kind:     by_value
      - .offset:         16
        .size:           8
        .value_kind:     by_value
      - .offset:         24
        .size:           8
        .value_kind:     by_value
      - .actual_access:  read_only
        .address_space:  global
        .offset:         32
        .size:           8
        .value_kind:     global_buffer
      - .actual_access:  read_only
        .address_space:  global
        .offset:         40
        .size:           8
        .value_kind:     global_buffer
      - .actual_access:  read_only
        .address_space:  global
        .offset:         48
        .size:           8
        .value_kind:     global_buffer
      - .actual_access:  read_only
        .address_space:  global
        .offset:         56
        .size:           8
        .value_kind:     global_buffer
      - .actual_access:  read_only
        .address_space:  global
        .offset:         64
        .size:           8
        .value_kind:     global_buffer
      - .actual_access:  read_only
        .address_space:  global
        .offset:         72
        .size:           8
        .value_kind:     global_buffer
      - .offset:         80
        .size:           8
        .value_kind:     by_value
      - .address_space:  global
        .offset:         88
        .size:           8
        .value_kind:     global_buffer
      - .offset:         96
        .size:           4
        .value_kind:     by_value
      - .offset:         100
        .size:           1
        .value_kind:     by_value
    .group_segment_fixed_size: 0
    .kernarg_segment_align: 8
    .kernarg_segment_size: 104
    .language:       OpenCL C
    .language_version:
      - 2
      - 0
    .max_flat_workgroup_size: 128
    .name:           _ZN9rocsparseL18bsrxmvn_4x4_kernelILj128ELj16EdlldddEEvT3_20rocsparse_direction_NS_24const_host_device_scalarIT1_EES1_PKS1_PKT2_SA_S7_PKT4_PKT5_S5_PT6_21rocsparse_index_base_b
    .private_segment_fixed_size: 0
    .sgpr_count:     27
    .sgpr_spill_count: 0
    .symbol:         _ZN9rocsparseL18bsrxmvn_4x4_kernelILj128ELj16EdlldddEEvT3_20rocsparse_direction_NS_24const_host_device_scalarIT1_EES1_PKS1_PKT2_SA_S7_PKT4_PKT5_S5_PT6_21rocsparse_index_base_b.kd
    .uniform_work_group_size: 1
    .uses_dynamic_stack: false
    .vgpr_count:     106
    .vgpr_spill_count: 0
    .wavefront_size: 64
  - .agpr_count:     0
    .args:
      - .offset:         0
        .size:           8
        .value_kind:     by_value
      - .offset:         8
        .size:           4
        .value_kind:     by_value
      - .offset:         16
        .size:           8
        .value_kind:     by_value
      - .offset:         24
        .size:           8
        .value_kind:     by_value
      - .actual_access:  read_only
        .address_space:  global
        .offset:         32
        .size:           8
        .value_kind:     global_buffer
      - .actual_access:  read_only
        .address_space:  global
        .offset:         40
        .size:           8
        .value_kind:     global_buffer
      - .actual_access:  read_only
        .address_space:  global
        .offset:         48
        .size:           8
        .value_kind:     global_buffer
      - .actual_access:  read_only
        .address_space:  global
        .offset:         56
        .size:           8
        .value_kind:     global_buffer
      - .actual_access:  read_only
        .address_space:  global
        .offset:         64
        .size:           8
        .value_kind:     global_buffer
      - .actual_access:  read_only
        .address_space:  global
        .offset:         72
        .size:           8
        .value_kind:     global_buffer
      - .offset:         80
        .size:           8
        .value_kind:     by_value
      - .address_space:  global
        .offset:         88
        .size:           8
        .value_kind:     global_buffer
      - .offset:         96
        .size:           4
        .value_kind:     by_value
      - .offset:         100
        .size:           1
        .value_kind:     by_value
    .group_segment_fixed_size: 0
    .kernarg_segment_align: 8
    .kernarg_segment_size: 104
    .language:       OpenCL C
    .language_version:
      - 2
      - 0
    .max_flat_workgroup_size: 128
    .name:           _ZN9rocsparseL18bsrxmvn_4x4_kernelILj128ELj32EdlldddEEvT3_20rocsparse_direction_NS_24const_host_device_scalarIT1_EES1_PKS1_PKT2_SA_S7_PKT4_PKT5_S5_PT6_21rocsparse_index_base_b
    .private_segment_fixed_size: 0
    .sgpr_count:     36
    .sgpr_spill_count: 0
    .symbol:         _ZN9rocsparseL18bsrxmvn_4x4_kernelILj128ELj32EdlldddEEvT3_20rocsparse_direction_NS_24const_host_device_scalarIT1_EES1_PKS1_PKT2_SA_S7_PKT4_PKT5_S5_PT6_21rocsparse_index_base_b.kd
    .uniform_work_group_size: 1
    .uses_dynamic_stack: false
    .vgpr_count:     102
    .vgpr_spill_count: 0
    .wavefront_size: 64
  - .agpr_count:     0
    .args:
      - .offset:         0
        .size:           8
        .value_kind:     by_value
      - .offset:         8
        .size:           4
        .value_kind:     by_value
      - .offset:         16
        .size:           8
        .value_kind:     by_value
      - .offset:         24
        .size:           8
        .value_kind:     by_value
      - .actual_access:  read_only
        .address_space:  global
        .offset:         32
        .size:           8
        .value_kind:     global_buffer
      - .actual_access:  read_only
        .address_space:  global
        .offset:         40
        .size:           8
        .value_kind:     global_buffer
      - .actual_access:  read_only
        .address_space:  global
        .offset:         48
        .size:           8
        .value_kind:     global_buffer
      - .actual_access:  read_only
        .address_space:  global
        .offset:         56
        .size:           8
        .value_kind:     global_buffer
      - .actual_access:  read_only
        .address_space:  global
        .offset:         64
        .size:           8
        .value_kind:     global_buffer
      - .actual_access:  read_only
        .address_space:  global
        .offset:         72
        .size:           8
        .value_kind:     global_buffer
      - .offset:         80
        .size:           8
        .value_kind:     by_value
      - .address_space:  global
        .offset:         88
        .size:           8
        .value_kind:     global_buffer
      - .offset:         96
        .size:           4
        .value_kind:     by_value
      - .offset:         100
        .size:           1
        .value_kind:     by_value
    .group_segment_fixed_size: 0
    .kernarg_segment_align: 8
    .kernarg_segment_size: 104
    .language:       OpenCL C
    .language_version:
      - 2
      - 0
    .max_flat_workgroup_size: 128
    .name:           _ZN9rocsparseL18bsrxmvn_4x4_kernelILj128ELj64EdlldddEEvT3_20rocsparse_direction_NS_24const_host_device_scalarIT1_EES1_PKS1_PKT2_SA_S7_PKT4_PKT5_S5_PT6_21rocsparse_index_base_b
    .private_segment_fixed_size: 0
    .sgpr_count:     40
    .sgpr_spill_count: 0
    .symbol:         _ZN9rocsparseL18bsrxmvn_4x4_kernelILj128ELj64EdlldddEEvT3_20rocsparse_direction_NS_24const_host_device_scalarIT1_EES1_PKS1_PKT2_SA_S7_PKT4_PKT5_S5_PT6_21rocsparse_index_base_b.kd
    .uniform_work_group_size: 1
    .uses_dynamic_stack: false
    .vgpr_count:     102
    .vgpr_spill_count: 0
    .wavefront_size: 64
  - .agpr_count:     0
    .args:
      - .offset:         0
        .size:           8
        .value_kind:     by_value
      - .offset:         8
        .size:           4
        .value_kind:     by_value
      - .offset:         16
        .size:           8
        .value_kind:     by_value
      - .offset:         24
        .size:           8
        .value_kind:     by_value
      - .actual_access:  read_only
        .address_space:  global
        .offset:         32
        .size:           8
        .value_kind:     global_buffer
      - .actual_access:  read_only
        .address_space:  global
        .offset:         40
        .size:           8
        .value_kind:     global_buffer
      - .actual_access:  read_only
        .address_space:  global
        .offset:         48
        .size:           8
        .value_kind:     global_buffer
      - .actual_access:  read_only
        .address_space:  global
        .offset:         56
        .size:           8
        .value_kind:     global_buffer
      - .actual_access:  read_only
        .address_space:  global
        .offset:         64
        .size:           8
        .value_kind:     global_buffer
      - .actual_access:  read_only
        .address_space:  global
        .offset:         72
        .size:           8
        .value_kind:     global_buffer
      - .offset:         80
        .size:           8
        .value_kind:     by_value
      - .address_space:  global
        .offset:         88
        .size:           8
        .value_kind:     global_buffer
      - .offset:         96
        .size:           4
        .value_kind:     by_value
      - .offset:         100
        .size:           1
        .value_kind:     by_value
    .group_segment_fixed_size: 0
    .kernarg_segment_align: 8
    .kernarg_segment_size: 104
    .language:       OpenCL C
    .language_version:
      - 2
      - 0
    .max_flat_workgroup_size: 128
    .name:           _ZN9rocsparseL18bsrxmvn_4x4_kernelILj128ELj4E21rocsparse_complex_numIfEllS2_S2_S2_EEvT3_20rocsparse_direction_NS_24const_host_device_scalarIT1_EES3_PKS3_PKT2_SC_S9_PKT4_PKT5_S7_PT6_21rocsparse_index_base_b
    .private_segment_fixed_size: 0
    .sgpr_count:     26
    .sgpr_spill_count: 0
    .symbol:         _ZN9rocsparseL18bsrxmvn_4x4_kernelILj128ELj4E21rocsparse_complex_numIfEllS2_S2_S2_EEvT3_20rocsparse_direction_NS_24const_host_device_scalarIT1_EES3_PKS3_PKT2_SC_S9_PKT4_PKT5_S7_PT6_21rocsparse_index_base_b.kd
    .uniform_work_group_size: 1
    .uses_dynamic_stack: false
    .vgpr_count:     106
    .vgpr_spill_count: 0
    .wavefront_size: 64
  - .agpr_count:     0
    .args:
      - .offset:         0
        .size:           8
        .value_kind:     by_value
      - .offset:         8
        .size:           4
        .value_kind:     by_value
      - .offset:         16
        .size:           8
        .value_kind:     by_value
      - .offset:         24
        .size:           8
        .value_kind:     by_value
      - .actual_access:  read_only
        .address_space:  global
        .offset:         32
        .size:           8
        .value_kind:     global_buffer
      - .actual_access:  read_only
        .address_space:  global
        .offset:         40
        .size:           8
        .value_kind:     global_buffer
      - .actual_access:  read_only
        .address_space:  global
        .offset:         48
        .size:           8
        .value_kind:     global_buffer
      - .actual_access:  read_only
        .address_space:  global
        .offset:         56
        .size:           8
        .value_kind:     global_buffer
      - .actual_access:  read_only
        .address_space:  global
        .offset:         64
        .size:           8
        .value_kind:     global_buffer
      - .actual_access:  read_only
        .address_space:  global
        .offset:         72
        .size:           8
        .value_kind:     global_buffer
      - .offset:         80
        .size:           8
        .value_kind:     by_value
      - .address_space:  global
        .offset:         88
        .size:           8
        .value_kind:     global_buffer
      - .offset:         96
        .size:           4
        .value_kind:     by_value
      - .offset:         100
        .size:           1
        .value_kind:     by_value
    .group_segment_fixed_size: 0
    .kernarg_segment_align: 8
    .kernarg_segment_size: 104
    .language:       OpenCL C
    .language_version:
      - 2
      - 0
    .max_flat_workgroup_size: 128
    .name:           _ZN9rocsparseL18bsrxmvn_4x4_kernelILj128ELj8E21rocsparse_complex_numIfEllS2_S2_S2_EEvT3_20rocsparse_direction_NS_24const_host_device_scalarIT1_EES3_PKS3_PKT2_SC_S9_PKT4_PKT5_S7_PT6_21rocsparse_index_base_b
    .private_segment_fixed_size: 0
    .sgpr_count:     26
    .sgpr_spill_count: 0
    .symbol:         _ZN9rocsparseL18bsrxmvn_4x4_kernelILj128ELj8E21rocsparse_complex_numIfEllS2_S2_S2_EEvT3_20rocsparse_direction_NS_24const_host_device_scalarIT1_EES3_PKS3_PKT2_SC_S9_PKT4_PKT5_S7_PT6_21rocsparse_index_base_b.kd
    .uniform_work_group_size: 1
    .uses_dynamic_stack: false
    .vgpr_count:     106
    .vgpr_spill_count: 0
    .wavefront_size: 64
  - .agpr_count:     0
    .args:
      - .offset:         0
        .size:           8
        .value_kind:     by_value
      - .offset:         8
        .size:           4
        .value_kind:     by_value
      - .offset:         16
        .size:           8
        .value_kind:     by_value
      - .offset:         24
        .size:           8
        .value_kind:     by_value
      - .actual_access:  read_only
        .address_space:  global
        .offset:         32
        .size:           8
        .value_kind:     global_buffer
      - .actual_access:  read_only
        .address_space:  global
        .offset:         40
        .size:           8
        .value_kind:     global_buffer
      - .actual_access:  read_only
        .address_space:  global
        .offset:         48
        .size:           8
        .value_kind:     global_buffer
      - .actual_access:  read_only
        .address_space:  global
        .offset:         56
        .size:           8
        .value_kind:     global_buffer
      - .actual_access:  read_only
        .address_space:  global
        .offset:         64
        .size:           8
        .value_kind:     global_buffer
      - .actual_access:  read_only
        .address_space:  global
        .offset:         72
        .size:           8
        .value_kind:     global_buffer
      - .offset:         80
        .size:           8
        .value_kind:     by_value
      - .address_space:  global
        .offset:         88
        .size:           8
        .value_kind:     global_buffer
      - .offset:         96
        .size:           4
        .value_kind:     by_value
      - .offset:         100
        .size:           1
        .value_kind:     by_value
    .group_segment_fixed_size: 0
    .kernarg_segment_align: 8
    .kernarg_segment_size: 104
    .language:       OpenCL C
    .language_version:
      - 2
      - 0
    .max_flat_workgroup_size: 128
    .name:           _ZN9rocsparseL18bsrxmvn_4x4_kernelILj128ELj16E21rocsparse_complex_numIfEllS2_S2_S2_EEvT3_20rocsparse_direction_NS_24const_host_device_scalarIT1_EES3_PKS3_PKT2_SC_S9_PKT4_PKT5_S7_PT6_21rocsparse_index_base_b
    .private_segment_fixed_size: 0
    .sgpr_count:     29
    .sgpr_spill_count: 0
    .symbol:         _ZN9rocsparseL18bsrxmvn_4x4_kernelILj128ELj16E21rocsparse_complex_numIfEllS2_S2_S2_EEvT3_20rocsparse_direction_NS_24const_host_device_scalarIT1_EES3_PKS3_PKT2_SC_S9_PKT4_PKT5_S7_PT6_21rocsparse_index_base_b.kd
    .uniform_work_group_size: 1
    .uses_dynamic_stack: false
    .vgpr_count:     104
    .vgpr_spill_count: 0
    .wavefront_size: 64
  - .agpr_count:     0
    .args:
      - .offset:         0
        .size:           8
        .value_kind:     by_value
      - .offset:         8
        .size:           4
        .value_kind:     by_value
      - .offset:         16
        .size:           8
        .value_kind:     by_value
      - .offset:         24
        .size:           8
        .value_kind:     by_value
      - .actual_access:  read_only
        .address_space:  global
        .offset:         32
        .size:           8
        .value_kind:     global_buffer
      - .actual_access:  read_only
        .address_space:  global
        .offset:         40
        .size:           8
        .value_kind:     global_buffer
      - .actual_access:  read_only
        .address_space:  global
        .offset:         48
        .size:           8
        .value_kind:     global_buffer
      - .actual_access:  read_only
        .address_space:  global
        .offset:         56
        .size:           8
        .value_kind:     global_buffer
      - .actual_access:  read_only
        .address_space:  global
        .offset:         64
        .size:           8
        .value_kind:     global_buffer
      - .actual_access:  read_only
        .address_space:  global
        .offset:         72
        .size:           8
        .value_kind:     global_buffer
      - .offset:         80
        .size:           8
        .value_kind:     by_value
      - .address_space:  global
        .offset:         88
        .size:           8
        .value_kind:     global_buffer
      - .offset:         96
        .size:           4
        .value_kind:     by_value
      - .offset:         100
        .size:           1
        .value_kind:     by_value
    .group_segment_fixed_size: 0
    .kernarg_segment_align: 8
    .kernarg_segment_size: 104
    .language:       OpenCL C
    .language_version:
      - 2
      - 0
    .max_flat_workgroup_size: 128
    .name:           _ZN9rocsparseL18bsrxmvn_4x4_kernelILj128ELj32E21rocsparse_complex_numIfEllS2_S2_S2_EEvT3_20rocsparse_direction_NS_24const_host_device_scalarIT1_EES3_PKS3_PKT2_SC_S9_PKT4_PKT5_S7_PT6_21rocsparse_index_base_b
    .private_segment_fixed_size: 0
    .sgpr_count:     36
    .sgpr_spill_count: 0
    .symbol:         _ZN9rocsparseL18bsrxmvn_4x4_kernelILj128ELj32E21rocsparse_complex_numIfEllS2_S2_S2_EEvT3_20rocsparse_direction_NS_24const_host_device_scalarIT1_EES3_PKS3_PKT2_SC_S9_PKT4_PKT5_S7_PT6_21rocsparse_index_base_b.kd
    .uniform_work_group_size: 1
    .uses_dynamic_stack: false
    .vgpr_count:     106
    .vgpr_spill_count: 0
    .wavefront_size: 64
  - .agpr_count:     0
    .args:
      - .offset:         0
        .size:           8
        .value_kind:     by_value
      - .offset:         8
        .size:           4
        .value_kind:     by_value
      - .offset:         16
        .size:           8
        .value_kind:     by_value
      - .offset:         24
        .size:           8
        .value_kind:     by_value
      - .actual_access:  read_only
        .address_space:  global
        .offset:         32
        .size:           8
        .value_kind:     global_buffer
      - .actual_access:  read_only
        .address_space:  global
        .offset:         40
        .size:           8
        .value_kind:     global_buffer
      - .actual_access:  read_only
        .address_space:  global
        .offset:         48
        .size:           8
        .value_kind:     global_buffer
      - .actual_access:  read_only
        .address_space:  global
        .offset:         56
        .size:           8
        .value_kind:     global_buffer
      - .actual_access:  read_only
        .address_space:  global
        .offset:         64
        .size:           8
        .value_kind:     global_buffer
      - .actual_access:  read_only
        .address_space:  global
        .offset:         72
        .size:           8
        .value_kind:     global_buffer
      - .offset:         80
        .size:           8
        .value_kind:     by_value
      - .address_space:  global
        .offset:         88
        .size:           8
        .value_kind:     global_buffer
      - .offset:         96
        .size:           4
        .value_kind:     by_value
      - .offset:         100
        .size:           1
        .value_kind:     by_value
    .group_segment_fixed_size: 0
    .kernarg_segment_align: 8
    .kernarg_segment_size: 104
    .language:       OpenCL C
    .language_version:
      - 2
      - 0
    .max_flat_workgroup_size: 128
    .name:           _ZN9rocsparseL18bsrxmvn_4x4_kernelILj128ELj64E21rocsparse_complex_numIfEllS2_S2_S2_EEvT3_20rocsparse_direction_NS_24const_host_device_scalarIT1_EES3_PKS3_PKT2_SC_S9_PKT4_PKT5_S7_PT6_21rocsparse_index_base_b
    .private_segment_fixed_size: 0
    .sgpr_count:     37
    .sgpr_spill_count: 0
    .symbol:         _ZN9rocsparseL18bsrxmvn_4x4_kernelILj128ELj64E21rocsparse_complex_numIfEllS2_S2_S2_EEvT3_20rocsparse_direction_NS_24const_host_device_scalarIT1_EES3_PKS3_PKT2_SC_S9_PKT4_PKT5_S7_PT6_21rocsparse_index_base_b.kd
    .uniform_work_group_size: 1
    .uses_dynamic_stack: false
    .vgpr_count:     106
    .vgpr_spill_count: 0
    .wavefront_size: 64
  - .agpr_count:     0
    .args:
      - .offset:         0
        .size:           8
        .value_kind:     by_value
      - .offset:         8
        .size:           4
        .value_kind:     by_value
      - .offset:         16
        .size:           16
        .value_kind:     by_value
      - .offset:         32
        .size:           8
        .value_kind:     by_value
      - .actual_access:  read_only
        .address_space:  global
        .offset:         40
        .size:           8
        .value_kind:     global_buffer
      - .actual_access:  read_only
        .address_space:  global
        .offset:         48
        .size:           8
        .value_kind:     global_buffer
      - .actual_access:  read_only
        .address_space:  global
        .offset:         56
        .size:           8
        .value_kind:     global_buffer
      - .actual_access:  read_only
        .address_space:  global
        .offset:         64
        .size:           8
        .value_kind:     global_buffer
      - .actual_access:  read_only
        .address_space:  global
        .offset:         72
        .size:           8
        .value_kind:     global_buffer
      - .actual_access:  read_only
        .address_space:  global
        .offset:         80
        .size:           8
        .value_kind:     global_buffer
      - .offset:         88
        .size:           16
        .value_kind:     by_value
      - .address_space:  global
        .offset:         104
        .size:           8
        .value_kind:     global_buffer
      - .offset:         112
        .size:           4
        .value_kind:     by_value
      - .offset:         116
        .size:           1
        .value_kind:     by_value
    .group_segment_fixed_size: 0
    .kernarg_segment_align: 8
    .kernarg_segment_size: 120
    .language:       OpenCL C
    .language_version:
      - 2
      - 0
    .max_flat_workgroup_size: 128
    .name:           _ZN9rocsparseL18bsrxmvn_4x4_kernelILj128ELj4E21rocsparse_complex_numIdEllS2_S2_S2_EEvT3_20rocsparse_direction_NS_24const_host_device_scalarIT1_EES3_PKS3_PKT2_SC_S9_PKT4_PKT5_S7_PT6_21rocsparse_index_base_b
    .private_segment_fixed_size: 0
    .sgpr_count:     24
    .sgpr_spill_count: 0
    .symbol:         _ZN9rocsparseL18bsrxmvn_4x4_kernelILj128ELj4E21rocsparse_complex_numIdEllS2_S2_S2_EEvT3_20rocsparse_direction_NS_24const_host_device_scalarIT1_EES3_PKS3_PKT2_SC_S9_PKT4_PKT5_S7_PT6_21rocsparse_index_base_b.kd
    .uniform_work_group_size: 1
    .uses_dynamic_stack: false
    .vgpr_count:     124
    .vgpr_spill_count: 0
    .wavefront_size: 64
  - .agpr_count:     0
    .args:
      - .offset:         0
        .size:           8
        .value_kind:     by_value
      - .offset:         8
        .size:           4
        .value_kind:     by_value
      - .offset:         16
        .size:           16
        .value_kind:     by_value
      - .offset:         32
        .size:           8
        .value_kind:     by_value
      - .actual_access:  read_only
        .address_space:  global
        .offset:         40
        .size:           8
        .value_kind:     global_buffer
      - .actual_access:  read_only
        .address_space:  global
        .offset:         48
        .size:           8
        .value_kind:     global_buffer
      - .actual_access:  read_only
        .address_space:  global
        .offset:         56
        .size:           8
        .value_kind:     global_buffer
      - .actual_access:  read_only
        .address_space:  global
        .offset:         64
        .size:           8
        .value_kind:     global_buffer
      - .actual_access:  read_only
        .address_space:  global
        .offset:         72
        .size:           8
        .value_kind:     global_buffer
      - .actual_access:  read_only
        .address_space:  global
        .offset:         80
        .size:           8
        .value_kind:     global_buffer
      - .offset:         88
        .size:           16
        .value_kind:     by_value
      - .address_space:  global
        .offset:         104
        .size:           8
        .value_kind:     global_buffer
      - .offset:         112
        .size:           4
        .value_kind:     by_value
      - .offset:         116
        .size:           1
        .value_kind:     by_value
    .group_segment_fixed_size: 0
    .kernarg_segment_align: 8
    .kernarg_segment_size: 120
    .language:       OpenCL C
    .language_version:
      - 2
      - 0
    .max_flat_workgroup_size: 128
    .name:           _ZN9rocsparseL18bsrxmvn_4x4_kernelILj128ELj8E21rocsparse_complex_numIdEllS2_S2_S2_EEvT3_20rocsparse_direction_NS_24const_host_device_scalarIT1_EES3_PKS3_PKT2_SC_S9_PKT4_PKT5_S7_PT6_21rocsparse_index_base_b
    .private_segment_fixed_size: 0
    .sgpr_count:     27
    .sgpr_spill_count: 0
    .symbol:         _ZN9rocsparseL18bsrxmvn_4x4_kernelILj128ELj8E21rocsparse_complex_numIdEllS2_S2_S2_EEvT3_20rocsparse_direction_NS_24const_host_device_scalarIT1_EES3_PKS3_PKT2_SC_S9_PKT4_PKT5_S7_PT6_21rocsparse_index_base_b.kd
    .uniform_work_group_size: 1
    .uses_dynamic_stack: false
    .vgpr_count:     124
    .vgpr_spill_count: 0
    .wavefront_size: 64
  - .agpr_count:     0
    .args:
      - .offset:         0
        .size:           8
        .value_kind:     by_value
      - .offset:         8
        .size:           4
        .value_kind:     by_value
      - .offset:         16
        .size:           16
        .value_kind:     by_value
      - .offset:         32
        .size:           8
        .value_kind:     by_value
      - .actual_access:  read_only
        .address_space:  global
        .offset:         40
        .size:           8
        .value_kind:     global_buffer
      - .actual_access:  read_only
        .address_space:  global
        .offset:         48
        .size:           8
        .value_kind:     global_buffer
      - .actual_access:  read_only
        .address_space:  global
        .offset:         56
        .size:           8
        .value_kind:     global_buffer
      - .actual_access:  read_only
        .address_space:  global
        .offset:         64
        .size:           8
        .value_kind:     global_buffer
      - .actual_access:  read_only
        .address_space:  global
        .offset:         72
        .size:           8
        .value_kind:     global_buffer
      - .actual_access:  read_only
        .address_space:  global
        .offset:         80
        .size:           8
        .value_kind:     global_buffer
      - .offset:         88
        .size:           16
        .value_kind:     by_value
      - .address_space:  global
        .offset:         104
        .size:           8
        .value_kind:     global_buffer
      - .offset:         112
        .size:           4
        .value_kind:     by_value
      - .offset:         116
        .size:           1
        .value_kind:     by_value
    .group_segment_fixed_size: 0
    .kernarg_segment_align: 8
    .kernarg_segment_size: 120
    .language:       OpenCL C
    .language_version:
      - 2
      - 0
    .max_flat_workgroup_size: 128
    .name:           _ZN9rocsparseL18bsrxmvn_4x4_kernelILj128ELj16E21rocsparse_complex_numIdEllS2_S2_S2_EEvT3_20rocsparse_direction_NS_24const_host_device_scalarIT1_EES3_PKS3_PKT2_SC_S9_PKT4_PKT5_S7_PT6_21rocsparse_index_base_b
    .private_segment_fixed_size: 0
    .sgpr_count:     32
    .sgpr_spill_count: 0
    .symbol:         _ZN9rocsparseL18bsrxmvn_4x4_kernelILj128ELj16E21rocsparse_complex_numIdEllS2_S2_S2_EEvT3_20rocsparse_direction_NS_24const_host_device_scalarIT1_EES3_PKS3_PKT2_SC_S9_PKT4_PKT5_S7_PT6_21rocsparse_index_base_b.kd
    .uniform_work_group_size: 1
    .uses_dynamic_stack: false
    .vgpr_count:     124
    .vgpr_spill_count: 0
    .wavefront_size: 64
  - .agpr_count:     0
    .args:
      - .offset:         0
        .size:           8
        .value_kind:     by_value
      - .offset:         8
        .size:           4
        .value_kind:     by_value
      - .offset:         16
        .size:           16
        .value_kind:     by_value
      - .offset:         32
        .size:           8
        .value_kind:     by_value
      - .actual_access:  read_only
        .address_space:  global
        .offset:         40
        .size:           8
        .value_kind:     global_buffer
      - .actual_access:  read_only
        .address_space:  global
        .offset:         48
        .size:           8
        .value_kind:     global_buffer
      - .actual_access:  read_only
        .address_space:  global
        .offset:         56
        .size:           8
        .value_kind:     global_buffer
      - .actual_access:  read_only
        .address_space:  global
        .offset:         64
        .size:           8
        .value_kind:     global_buffer
      - .actual_access:  read_only
        .address_space:  global
        .offset:         72
        .size:           8
        .value_kind:     global_buffer
      - .actual_access:  read_only
        .address_space:  global
        .offset:         80
        .size:           8
        .value_kind:     global_buffer
      - .offset:         88
        .size:           16
        .value_kind:     by_value
      - .address_space:  global
        .offset:         104
        .size:           8
        .value_kind:     global_buffer
      - .offset:         112
        .size:           4
        .value_kind:     by_value
      - .offset:         116
        .size:           1
        .value_kind:     by_value
    .group_segment_fixed_size: 0
    .kernarg_segment_align: 8
    .kernarg_segment_size: 120
    .language:       OpenCL C
    .language_version:
      - 2
      - 0
    .max_flat_workgroup_size: 128
    .name:           _ZN9rocsparseL18bsrxmvn_4x4_kernelILj128ELj32E21rocsparse_complex_numIdEllS2_S2_S2_EEvT3_20rocsparse_direction_NS_24const_host_device_scalarIT1_EES3_PKS3_PKT2_SC_S9_PKT4_PKT5_S7_PT6_21rocsparse_index_base_b
    .private_segment_fixed_size: 0
    .sgpr_count:     35
    .sgpr_spill_count: 0
    .symbol:         _ZN9rocsparseL18bsrxmvn_4x4_kernelILj128ELj32E21rocsparse_complex_numIdEllS2_S2_S2_EEvT3_20rocsparse_direction_NS_24const_host_device_scalarIT1_EES3_PKS3_PKT2_SC_S9_PKT4_PKT5_S7_PT6_21rocsparse_index_base_b.kd
    .uniform_work_group_size: 1
    .uses_dynamic_stack: false
    .vgpr_count:     124
    .vgpr_spill_count: 0
    .wavefront_size: 64
  - .agpr_count:     0
    .args:
      - .offset:         0
        .size:           8
        .value_kind:     by_value
      - .offset:         8
        .size:           4
        .value_kind:     by_value
      - .offset:         16
        .size:           16
        .value_kind:     by_value
      - .offset:         32
        .size:           8
        .value_kind:     by_value
      - .actual_access:  read_only
        .address_space:  global
        .offset:         40
        .size:           8
        .value_kind:     global_buffer
      - .actual_access:  read_only
        .address_space:  global
        .offset:         48
        .size:           8
        .value_kind:     global_buffer
      - .actual_access:  read_only
        .address_space:  global
        .offset:         56
        .size:           8
        .value_kind:     global_buffer
      - .actual_access:  read_only
        .address_space:  global
        .offset:         64
        .size:           8
        .value_kind:     global_buffer
      - .actual_access:  read_only
        .address_space:  global
        .offset:         72
        .size:           8
        .value_kind:     global_buffer
      - .actual_access:  read_only
        .address_space:  global
        .offset:         80
        .size:           8
        .value_kind:     global_buffer
      - .offset:         88
        .size:           16
        .value_kind:     by_value
      - .address_space:  global
        .offset:         104
        .size:           8
        .value_kind:     global_buffer
      - .offset:         112
        .size:           4
        .value_kind:     by_value
      - .offset:         116
        .size:           1
        .value_kind:     by_value
    .group_segment_fixed_size: 0
    .kernarg_segment_align: 8
    .kernarg_segment_size: 120
    .language:       OpenCL C
    .language_version:
      - 2
      - 0
    .max_flat_workgroup_size: 128
    .name:           _ZN9rocsparseL18bsrxmvn_4x4_kernelILj128ELj64E21rocsparse_complex_numIdEllS2_S2_S2_EEvT3_20rocsparse_direction_NS_24const_host_device_scalarIT1_EES3_PKS3_PKT2_SC_S9_PKT4_PKT5_S7_PT6_21rocsparse_index_base_b
    .private_segment_fixed_size: 0
    .sgpr_count:     35
    .sgpr_spill_count: 0
    .symbol:         _ZN9rocsparseL18bsrxmvn_4x4_kernelILj128ELj64E21rocsparse_complex_numIdEllS2_S2_S2_EEvT3_20rocsparse_direction_NS_24const_host_device_scalarIT1_EES3_PKS3_PKT2_SC_S9_PKT4_PKT5_S7_PT6_21rocsparse_index_base_b.kd
    .uniform_work_group_size: 1
    .uses_dynamic_stack: false
    .vgpr_count:     124
    .vgpr_spill_count: 0
    .wavefront_size: 64
  - .agpr_count:     0
    .args:
      - .offset:         0
        .size:           4
        .value_kind:     by_value
      - .offset:         4
        .size:           4
        .value_kind:     by_value
      - .offset:         8
        .size:           8
        .value_kind:     by_value
      - .offset:         16
        .size:           4
        .value_kind:     by_value
      - .actual_access:  read_only
        .address_space:  global
        .offset:         24
        .size:           8
        .value_kind:     global_buffer
      - .actual_access:  read_only
        .address_space:  global
        .offset:         32
        .size:           8
        .value_kind:     global_buffer
      - .actual_access:  read_only
        .address_space:  global
        .offset:         40
        .size:           8
        .value_kind:     global_buffer
      - .actual_access:  read_only
        .address_space:  global
        .offset:         48
        .size:           8
        .value_kind:     global_buffer
      - .actual_access:  read_only
        .address_space:  global
        .offset:         56
        .size:           8
        .value_kind:     global_buffer
      - .actual_access:  read_only
        .address_space:  global
        .offset:         64
        .size:           8
        .value_kind:     global_buffer
      - .offset:         72
        .size:           8
        .value_kind:     by_value
      - .address_space:  global
        .offset:         80
        .size:           8
        .value_kind:     global_buffer
      - .offset:         88
        .size:           4
        .value_kind:     by_value
      - .offset:         92
        .size:           1
        .value_kind:     by_value
    .group_segment_fixed_size: 0
    .kernarg_segment_align: 8
    .kernarg_segment_size: 96
    .language:       OpenCL C
    .language_version:
      - 2
      - 0
    .max_flat_workgroup_size: 128
    .name:           _ZN9rocsparseL18bsrxmvn_4x4_kernelILj128ELj4EiiiaaiEEvT3_20rocsparse_direction_NS_24const_host_device_scalarIT1_EES1_PKS1_PKT2_SA_S7_PKT4_PKT5_S5_PT6_21rocsparse_index_base_b
    .private_segment_fixed_size: 0
    .sgpr_count:     31
    .sgpr_spill_count: 0
    .symbol:         _ZN9rocsparseL18bsrxmvn_4x4_kernelILj128ELj4EiiiaaiEEvT3_20rocsparse_direction_NS_24const_host_device_scalarIT1_EES1_PKS1_PKT2_SA_S7_PKT4_PKT5_S5_PT6_21rocsparse_index_base_b.kd
    .uniform_work_group_size: 1
    .uses_dynamic_stack: false
    .vgpr_count:     48
    .vgpr_spill_count: 0
    .wavefront_size: 64
  - .agpr_count:     0
    .args:
      - .offset:         0
        .size:           4
        .value_kind:     by_value
      - .offset:         4
        .size:           4
        .value_kind:     by_value
      - .offset:         8
        .size:           8
        .value_kind:     by_value
      - .offset:         16
        .size:           4
        .value_kind:     by_value
      - .actual_access:  read_only
        .address_space:  global
        .offset:         24
        .size:           8
        .value_kind:     global_buffer
      - .actual_access:  read_only
        .address_space:  global
        .offset:         32
        .size:           8
        .value_kind:     global_buffer
      - .actual_access:  read_only
        .address_space:  global
        .offset:         40
        .size:           8
        .value_kind:     global_buffer
      - .actual_access:  read_only
        .address_space:  global
        .offset:         48
        .size:           8
        .value_kind:     global_buffer
      - .actual_access:  read_only
        .address_space:  global
        .offset:         56
        .size:           8
        .value_kind:     global_buffer
      - .actual_access:  read_only
        .address_space:  global
        .offset:         64
        .size:           8
        .value_kind:     global_buffer
      - .offset:         72
        .size:           8
        .value_kind:     by_value
      - .address_space:  global
        .offset:         80
        .size:           8
        .value_kind:     global_buffer
      - .offset:         88
        .size:           4
        .value_kind:     by_value
      - .offset:         92
        .size:           1
        .value_kind:     by_value
    .group_segment_fixed_size: 0
    .kernarg_segment_align: 8
    .kernarg_segment_size: 96
    .language:       OpenCL C
    .language_version:
      - 2
      - 0
    .max_flat_workgroup_size: 128
    .name:           _ZN9rocsparseL18bsrxmvn_4x4_kernelILj128ELj8EiiiaaiEEvT3_20rocsparse_direction_NS_24const_host_device_scalarIT1_EES1_PKS1_PKT2_SA_S7_PKT4_PKT5_S5_PT6_21rocsparse_index_base_b
    .private_segment_fixed_size: 0
    .sgpr_count:     31
    .sgpr_spill_count: 0
    .symbol:         _ZN9rocsparseL18bsrxmvn_4x4_kernelILj128ELj8EiiiaaiEEvT3_20rocsparse_direction_NS_24const_host_device_scalarIT1_EES1_PKS1_PKT2_SA_S7_PKT4_PKT5_S5_PT6_21rocsparse_index_base_b.kd
    .uniform_work_group_size: 1
    .uses_dynamic_stack: false
    .vgpr_count:     48
    .vgpr_spill_count: 0
    .wavefront_size: 64
  - .agpr_count:     0
    .args:
      - .offset:         0
        .size:           4
        .value_kind:     by_value
      - .offset:         4
        .size:           4
        .value_kind:     by_value
      - .offset:         8
        .size:           8
        .value_kind:     by_value
      - .offset:         16
        .size:           4
        .value_kind:     by_value
      - .actual_access:  read_only
        .address_space:  global
        .offset:         24
        .size:           8
        .value_kind:     global_buffer
      - .actual_access:  read_only
        .address_space:  global
        .offset:         32
        .size:           8
        .value_kind:     global_buffer
      - .actual_access:  read_only
        .address_space:  global
        .offset:         40
        .size:           8
        .value_kind:     global_buffer
      - .actual_access:  read_only
        .address_space:  global
        .offset:         48
        .size:           8
        .value_kind:     global_buffer
      - .actual_access:  read_only
        .address_space:  global
        .offset:         56
        .size:           8
        .value_kind:     global_buffer
      - .actual_access:  read_only
        .address_space:  global
        .offset:         64
        .size:           8
        .value_kind:     global_buffer
      - .offset:         72
        .size:           8
        .value_kind:     by_value
      - .address_space:  global
        .offset:         80
        .size:           8
        .value_kind:     global_buffer
      - .offset:         88
        .size:           4
        .value_kind:     by_value
      - .offset:         92
        .size:           1
        .value_kind:     by_value
    .group_segment_fixed_size: 0
    .kernarg_segment_align: 8
    .kernarg_segment_size: 96
    .language:       OpenCL C
    .language_version:
      - 2
      - 0
    .max_flat_workgroup_size: 128
    .name:           _ZN9rocsparseL18bsrxmvn_4x4_kernelILj128ELj16EiiiaaiEEvT3_20rocsparse_direction_NS_24const_host_device_scalarIT1_EES1_PKS1_PKT2_SA_S7_PKT4_PKT5_S5_PT6_21rocsparse_index_base_b
    .private_segment_fixed_size: 0
    .sgpr_count:     31
    .sgpr_spill_count: 0
    .symbol:         _ZN9rocsparseL18bsrxmvn_4x4_kernelILj128ELj16EiiiaaiEEvT3_20rocsparse_direction_NS_24const_host_device_scalarIT1_EES1_PKS1_PKT2_SA_S7_PKT4_PKT5_S5_PT6_21rocsparse_index_base_b.kd
    .uniform_work_group_size: 1
    .uses_dynamic_stack: false
    .vgpr_count:     48
    .vgpr_spill_count: 0
    .wavefront_size: 64
  - .agpr_count:     0
    .args:
      - .offset:         0
        .size:           4
        .value_kind:     by_value
      - .offset:         4
        .size:           4
        .value_kind:     by_value
      - .offset:         8
        .size:           8
        .value_kind:     by_value
      - .offset:         16
        .size:           4
        .value_kind:     by_value
      - .actual_access:  read_only
        .address_space:  global
        .offset:         24
        .size:           8
        .value_kind:     global_buffer
      - .actual_access:  read_only
        .address_space:  global
        .offset:         32
        .size:           8
        .value_kind:     global_buffer
      - .actual_access:  read_only
        .address_space:  global
        .offset:         40
        .size:           8
        .value_kind:     global_buffer
      - .actual_access:  read_only
        .address_space:  global
        .offset:         48
        .size:           8
        .value_kind:     global_buffer
      - .actual_access:  read_only
        .address_space:  global
        .offset:         56
        .size:           8
        .value_kind:     global_buffer
      - .actual_access:  read_only
        .address_space:  global
        .offset:         64
        .size:           8
        .value_kind:     global_buffer
      - .offset:         72
        .size:           8
        .value_kind:     by_value
      - .address_space:  global
        .offset:         80
        .size:           8
        .value_kind:     global_buffer
      - .offset:         88
        .size:           4
        .value_kind:     by_value
      - .offset:         92
        .size:           1
        .value_kind:     by_value
    .group_segment_fixed_size: 0
    .kernarg_segment_align: 8
    .kernarg_segment_size: 96
    .language:       OpenCL C
    .language_version:
      - 2
      - 0
    .max_flat_workgroup_size: 128
    .name:           _ZN9rocsparseL18bsrxmvn_4x4_kernelILj128ELj32EiiiaaiEEvT3_20rocsparse_direction_NS_24const_host_device_scalarIT1_EES1_PKS1_PKT2_SA_S7_PKT4_PKT5_S5_PT6_21rocsparse_index_base_b
    .private_segment_fixed_size: 0
    .sgpr_count:     33
    .sgpr_spill_count: 0
    .symbol:         _ZN9rocsparseL18bsrxmvn_4x4_kernelILj128ELj32EiiiaaiEEvT3_20rocsparse_direction_NS_24const_host_device_scalarIT1_EES1_PKS1_PKT2_SA_S7_PKT4_PKT5_S5_PT6_21rocsparse_index_base_b.kd
    .uniform_work_group_size: 1
    .uses_dynamic_stack: false
    .vgpr_count:     71
    .vgpr_spill_count: 0
    .wavefront_size: 64
  - .agpr_count:     0
    .args:
      - .offset:         0
        .size:           4
        .value_kind:     by_value
      - .offset:         4
        .size:           4
        .value_kind:     by_value
      - .offset:         8
        .size:           8
        .value_kind:     by_value
      - .offset:         16
        .size:           4
        .value_kind:     by_value
      - .actual_access:  read_only
        .address_space:  global
        .offset:         24
        .size:           8
        .value_kind:     global_buffer
      - .actual_access:  read_only
        .address_space:  global
        .offset:         32
        .size:           8
        .value_kind:     global_buffer
      - .actual_access:  read_only
        .address_space:  global
        .offset:         40
        .size:           8
        .value_kind:     global_buffer
      - .actual_access:  read_only
        .address_space:  global
        .offset:         48
        .size:           8
        .value_kind:     global_buffer
      - .actual_access:  read_only
        .address_space:  global
        .offset:         56
        .size:           8
        .value_kind:     global_buffer
      - .actual_access:  read_only
        .address_space:  global
        .offset:         64
        .size:           8
        .value_kind:     global_buffer
      - .offset:         72
        .size:           8
        .value_kind:     by_value
      - .address_space:  global
        .offset:         80
        .size:           8
        .value_kind:     global_buffer
      - .offset:         88
        .size:           4
        .value_kind:     by_value
      - .offset:         92
        .size:           1
        .value_kind:     by_value
    .group_segment_fixed_size: 0
    .kernarg_segment_align: 8
    .kernarg_segment_size: 96
    .language:       OpenCL C
    .language_version:
      - 2
      - 0
    .max_flat_workgroup_size: 128
    .name:           _ZN9rocsparseL18bsrxmvn_4x4_kernelILj128ELj64EiiiaaiEEvT3_20rocsparse_direction_NS_24const_host_device_scalarIT1_EES1_PKS1_PKT2_SA_S7_PKT4_PKT5_S5_PT6_21rocsparse_index_base_b
    .private_segment_fixed_size: 0
    .sgpr_count:     29
    .sgpr_spill_count: 0
    .symbol:         _ZN9rocsparseL18bsrxmvn_4x4_kernelILj128ELj64EiiiaaiEEvT3_20rocsparse_direction_NS_24const_host_device_scalarIT1_EES1_PKS1_PKT2_SA_S7_PKT4_PKT5_S5_PT6_21rocsparse_index_base_b.kd
    .uniform_work_group_size: 1
    .uses_dynamic_stack: false
    .vgpr_count:     61
    .vgpr_spill_count: 0
    .wavefront_size: 64
  - .agpr_count:     0
    .args:
      - .offset:         0
        .size:           4
        .value_kind:     by_value
      - .offset:         4
        .size:           4
        .value_kind:     by_value
      - .offset:         8
        .size:           8
        .value_kind:     by_value
      - .offset:         16
        .size:           4
        .value_kind:     by_value
      - .actual_access:  read_only
        .address_space:  global
        .offset:         24
        .size:           8
        .value_kind:     global_buffer
      - .actual_access:  read_only
        .address_space:  global
        .offset:         32
        .size:           8
        .value_kind:     global_buffer
      - .actual_access:  read_only
        .address_space:  global
        .offset:         40
        .size:           8
        .value_kind:     global_buffer
      - .actual_access:  read_only
        .address_space:  global
        .offset:         48
        .size:           8
        .value_kind:     global_buffer
      - .actual_access:  read_only
        .address_space:  global
        .offset:         56
        .size:           8
        .value_kind:     global_buffer
      - .actual_access:  read_only
        .address_space:  global
        .offset:         64
        .size:           8
        .value_kind:     global_buffer
      - .offset:         72
        .size:           8
        .value_kind:     by_value
      - .address_space:  global
        .offset:         80
        .size:           8
        .value_kind:     global_buffer
      - .offset:         88
        .size:           4
        .value_kind:     by_value
      - .offset:         92
        .size:           1
        .value_kind:     by_value
    .group_segment_fixed_size: 0
    .kernarg_segment_align: 8
    .kernarg_segment_size: 96
    .language:       OpenCL C
    .language_version:
      - 2
      - 0
    .max_flat_workgroup_size: 128
    .name:           _ZN9rocsparseL18bsrxmvn_4x4_kernelILj128ELj4EiliaaiEEvT3_20rocsparse_direction_NS_24const_host_device_scalarIT1_EES1_PKS1_PKT2_SA_S7_PKT4_PKT5_S5_PT6_21rocsparse_index_base_b
    .private_segment_fixed_size: 0
    .sgpr_count:     43
    .sgpr_spill_count: 0
    .symbol:         _ZN9rocsparseL18bsrxmvn_4x4_kernelILj128ELj4EiliaaiEEvT3_20rocsparse_direction_NS_24const_host_device_scalarIT1_EES1_PKS1_PKT2_SA_S7_PKT4_PKT5_S5_PT6_21rocsparse_index_base_b.kd
    .uniform_work_group_size: 1
    .uses_dynamic_stack: false
    .vgpr_count:     62
    .vgpr_spill_count: 0
    .wavefront_size: 64
  - .agpr_count:     0
    .args:
      - .offset:         0
        .size:           4
        .value_kind:     by_value
      - .offset:         4
        .size:           4
        .value_kind:     by_value
      - .offset:         8
        .size:           8
        .value_kind:     by_value
      - .offset:         16
        .size:           4
        .value_kind:     by_value
      - .actual_access:  read_only
        .address_space:  global
        .offset:         24
        .size:           8
        .value_kind:     global_buffer
      - .actual_access:  read_only
        .address_space:  global
        .offset:         32
        .size:           8
        .value_kind:     global_buffer
      - .actual_access:  read_only
        .address_space:  global
        .offset:         40
        .size:           8
        .value_kind:     global_buffer
      - .actual_access:  read_only
        .address_space:  global
        .offset:         48
        .size:           8
        .value_kind:     global_buffer
      - .actual_access:  read_only
        .address_space:  global
        .offset:         56
        .size:           8
        .value_kind:     global_buffer
      - .actual_access:  read_only
        .address_space:  global
        .offset:         64
        .size:           8
        .value_kind:     global_buffer
      - .offset:         72
        .size:           8
        .value_kind:     by_value
      - .address_space:  global
        .offset:         80
        .size:           8
        .value_kind:     global_buffer
      - .offset:         88
        .size:           4
        .value_kind:     by_value
      - .offset:         92
        .size:           1
        .value_kind:     by_value
    .group_segment_fixed_size: 0
    .kernarg_segment_align: 8
    .kernarg_segment_size: 96
    .language:       OpenCL C
    .language_version:
      - 2
      - 0
    .max_flat_workgroup_size: 128
    .name:           _ZN9rocsparseL18bsrxmvn_4x4_kernelILj128ELj8EiliaaiEEvT3_20rocsparse_direction_NS_24const_host_device_scalarIT1_EES1_PKS1_PKT2_SA_S7_PKT4_PKT5_S5_PT6_21rocsparse_index_base_b
    .private_segment_fixed_size: 0
    .sgpr_count:     45
    .sgpr_spill_count: 0
    .symbol:         _ZN9rocsparseL18bsrxmvn_4x4_kernelILj128ELj8EiliaaiEEvT3_20rocsparse_direction_NS_24const_host_device_scalarIT1_EES1_PKS1_PKT2_SA_S7_PKT4_PKT5_S5_PT6_21rocsparse_index_base_b.kd
    .uniform_work_group_size: 1
    .uses_dynamic_stack: false
    .vgpr_count:     63
    .vgpr_spill_count: 0
    .wavefront_size: 64
  - .agpr_count:     0
    .args:
      - .offset:         0
        .size:           4
        .value_kind:     by_value
      - .offset:         4
        .size:           4
        .value_kind:     by_value
      - .offset:         8
        .size:           8
        .value_kind:     by_value
      - .offset:         16
        .size:           4
        .value_kind:     by_value
      - .actual_access:  read_only
        .address_space:  global
        .offset:         24
        .size:           8
        .value_kind:     global_buffer
      - .actual_access:  read_only
        .address_space:  global
        .offset:         32
        .size:           8
        .value_kind:     global_buffer
      - .actual_access:  read_only
        .address_space:  global
        .offset:         40
        .size:           8
        .value_kind:     global_buffer
      - .actual_access:  read_only
        .address_space:  global
        .offset:         48
        .size:           8
        .value_kind:     global_buffer
      - .actual_access:  read_only
        .address_space:  global
        .offset:         56
        .size:           8
        .value_kind:     global_buffer
      - .actual_access:  read_only
        .address_space:  global
        .offset:         64
        .size:           8
        .value_kind:     global_buffer
      - .offset:         72
        .size:           8
        .value_kind:     by_value
      - .address_space:  global
        .offset:         80
        .size:           8
        .value_kind:     global_buffer
      - .offset:         88
        .size:           4
        .value_kind:     by_value
      - .offset:         92
        .size:           1
        .value_kind:     by_value
    .group_segment_fixed_size: 0
    .kernarg_segment_align: 8
    .kernarg_segment_size: 96
    .language:       OpenCL C
    .language_version:
      - 2
      - 0
    .max_flat_workgroup_size: 128
    .name:           _ZN9rocsparseL18bsrxmvn_4x4_kernelILj128ELj16EiliaaiEEvT3_20rocsparse_direction_NS_24const_host_device_scalarIT1_EES1_PKS1_PKT2_SA_S7_PKT4_PKT5_S5_PT6_21rocsparse_index_base_b
    .private_segment_fixed_size: 0
    .sgpr_count:     45
    .sgpr_spill_count: 0
    .symbol:         _ZN9rocsparseL18bsrxmvn_4x4_kernelILj128ELj16EiliaaiEEvT3_20rocsparse_direction_NS_24const_host_device_scalarIT1_EES1_PKS1_PKT2_SA_S7_PKT4_PKT5_S5_PT6_21rocsparse_index_base_b.kd
    .uniform_work_group_size: 1
    .uses_dynamic_stack: false
    .vgpr_count:     55
    .vgpr_spill_count: 0
    .wavefront_size: 64
  - .agpr_count:     0
    .args:
      - .offset:         0
        .size:           4
        .value_kind:     by_value
      - .offset:         4
        .size:           4
        .value_kind:     by_value
      - .offset:         8
        .size:           8
        .value_kind:     by_value
      - .offset:         16
        .size:           4
        .value_kind:     by_value
      - .actual_access:  read_only
        .address_space:  global
        .offset:         24
        .size:           8
        .value_kind:     global_buffer
      - .actual_access:  read_only
        .address_space:  global
        .offset:         32
        .size:           8
        .value_kind:     global_buffer
      - .actual_access:  read_only
        .address_space:  global
        .offset:         40
        .size:           8
        .value_kind:     global_buffer
      - .actual_access:  read_only
        .address_space:  global
        .offset:         48
        .size:           8
        .value_kind:     global_buffer
      - .actual_access:  read_only
        .address_space:  global
        .offset:         56
        .size:           8
        .value_kind:     global_buffer
      - .actual_access:  read_only
        .address_space:  global
        .offset:         64
        .size:           8
        .value_kind:     global_buffer
      - .offset:         72
        .size:           8
        .value_kind:     by_value
      - .address_space:  global
        .offset:         80
        .size:           8
        .value_kind:     global_buffer
      - .offset:         88
        .size:           4
        .value_kind:     by_value
      - .offset:         92
        .size:           1
        .value_kind:     by_value
    .group_segment_fixed_size: 0
    .kernarg_segment_align: 8
    .kernarg_segment_size: 96
    .language:       OpenCL C
    .language_version:
      - 2
      - 0
    .max_flat_workgroup_size: 128
    .name:           _ZN9rocsparseL18bsrxmvn_4x4_kernelILj128ELj32EiliaaiEEvT3_20rocsparse_direction_NS_24const_host_device_scalarIT1_EES1_PKS1_PKT2_SA_S7_PKT4_PKT5_S5_PT6_21rocsparse_index_base_b
    .private_segment_fixed_size: 0
    .sgpr_count:     41
    .sgpr_spill_count: 0
    .symbol:         _ZN9rocsparseL18bsrxmvn_4x4_kernelILj128ELj32EiliaaiEEvT3_20rocsparse_direction_NS_24const_host_device_scalarIT1_EES1_PKS1_PKT2_SA_S7_PKT4_PKT5_S5_PT6_21rocsparse_index_base_b.kd
    .uniform_work_group_size: 1
    .uses_dynamic_stack: false
    .vgpr_count:     62
    .vgpr_spill_count: 0
    .wavefront_size: 64
  - .agpr_count:     0
    .args:
      - .offset:         0
        .size:           4
        .value_kind:     by_value
      - .offset:         4
        .size:           4
        .value_kind:     by_value
      - .offset:         8
        .size:           8
        .value_kind:     by_value
      - .offset:         16
        .size:           4
        .value_kind:     by_value
      - .actual_access:  read_only
        .address_space:  global
        .offset:         24
        .size:           8
        .value_kind:     global_buffer
      - .actual_access:  read_only
        .address_space:  global
        .offset:         32
        .size:           8
        .value_kind:     global_buffer
      - .actual_access:  read_only
        .address_space:  global
        .offset:         40
        .size:           8
        .value_kind:     global_buffer
      - .actual_access:  read_only
        .address_space:  global
        .offset:         48
        .size:           8
        .value_kind:     global_buffer
      - .actual_access:  read_only
        .address_space:  global
        .offset:         56
        .size:           8
        .value_kind:     global_buffer
      - .actual_access:  read_only
        .address_space:  global
        .offset:         64
        .size:           8
        .value_kind:     global_buffer
      - .offset:         72
        .size:           8
        .value_kind:     by_value
      - .address_space:  global
        .offset:         80
        .size:           8
        .value_kind:     global_buffer
      - .offset:         88
        .size:           4
        .value_kind:     by_value
      - .offset:         92
        .size:           1
        .value_kind:     by_value
    .group_segment_fixed_size: 0
    .kernarg_segment_align: 8
    .kernarg_segment_size: 96
    .language:       OpenCL C
    .language_version:
      - 2
      - 0
    .max_flat_workgroup_size: 128
    .name:           _ZN9rocsparseL18bsrxmvn_4x4_kernelILj128ELj64EiliaaiEEvT3_20rocsparse_direction_NS_24const_host_device_scalarIT1_EES1_PKS1_PKT2_SA_S7_PKT4_PKT5_S5_PT6_21rocsparse_index_base_b
    .private_segment_fixed_size: 0
    .sgpr_count:     47
    .sgpr_spill_count: 0
    .symbol:         _ZN9rocsparseL18bsrxmvn_4x4_kernelILj128ELj64EiliaaiEEvT3_20rocsparse_direction_NS_24const_host_device_scalarIT1_EES1_PKS1_PKT2_SA_S7_PKT4_PKT5_S5_PT6_21rocsparse_index_base_b.kd
    .uniform_work_group_size: 1
    .uses_dynamic_stack: false
    .vgpr_count:     62
    .vgpr_spill_count: 0
    .wavefront_size: 64
  - .agpr_count:     0
    .args:
      - .offset:         0
        .size:           8
        .value_kind:     by_value
      - .offset:         8
        .size:           4
        .value_kind:     by_value
      - .offset:         16
        .size:           8
        .value_kind:     by_value
      - .offset:         24
        .size:           8
        .value_kind:     by_value
      - .actual_access:  read_only
        .address_space:  global
        .offset:         32
        .size:           8
        .value_kind:     global_buffer
      - .actual_access:  read_only
        .address_space:  global
        .offset:         40
        .size:           8
        .value_kind:     global_buffer
      - .actual_access:  read_only
        .address_space:  global
        .offset:         48
        .size:           8
        .value_kind:     global_buffer
      - .actual_access:  read_only
        .address_space:  global
        .offset:         56
        .size:           8
        .value_kind:     global_buffer
      - .actual_access:  read_only
        .address_space:  global
        .offset:         64
        .size:           8
        .value_kind:     global_buffer
      - .actual_access:  read_only
        .address_space:  global
        .offset:         72
        .size:           8
        .value_kind:     global_buffer
      - .offset:         80
        .size:           8
        .value_kind:     by_value
      - .address_space:  global
        .offset:         88
        .size:           8
        .value_kind:     global_buffer
      - .offset:         96
        .size:           4
        .value_kind:     by_value
      - .offset:         100
        .size:           1
        .value_kind:     by_value
    .group_segment_fixed_size: 0
    .kernarg_segment_align: 8
    .kernarg_segment_size: 104
    .language:       OpenCL C
    .language_version:
      - 2
      - 0
    .max_flat_workgroup_size: 128
    .name:           _ZN9rocsparseL18bsrxmvn_4x4_kernelILj128ELj4EillaaiEEvT3_20rocsparse_direction_NS_24const_host_device_scalarIT1_EES1_PKS1_PKT2_SA_S7_PKT4_PKT5_S5_PT6_21rocsparse_index_base_b
    .private_segment_fixed_size: 0
    .sgpr_count:     44
    .sgpr_spill_count: 0
    .symbol:         _ZN9rocsparseL18bsrxmvn_4x4_kernelILj128ELj4EillaaiEEvT3_20rocsparse_direction_NS_24const_host_device_scalarIT1_EES1_PKS1_PKT2_SA_S7_PKT4_PKT5_S5_PT6_21rocsparse_index_base_b.kd
    .uniform_work_group_size: 1
    .uses_dynamic_stack: false
    .vgpr_count:     59
    .vgpr_spill_count: 0
    .wavefront_size: 64
  - .agpr_count:     0
    .args:
      - .offset:         0
        .size:           8
        .value_kind:     by_value
      - .offset:         8
        .size:           4
        .value_kind:     by_value
      - .offset:         16
        .size:           8
        .value_kind:     by_value
      - .offset:         24
        .size:           8
        .value_kind:     by_value
      - .actual_access:  read_only
        .address_space:  global
        .offset:         32
        .size:           8
        .value_kind:     global_buffer
      - .actual_access:  read_only
        .address_space:  global
        .offset:         40
        .size:           8
        .value_kind:     global_buffer
      - .actual_access:  read_only
        .address_space:  global
        .offset:         48
        .size:           8
        .value_kind:     global_buffer
      - .actual_access:  read_only
        .address_space:  global
        .offset:         56
        .size:           8
        .value_kind:     global_buffer
      - .actual_access:  read_only
        .address_space:  global
        .offset:         64
        .size:           8
        .value_kind:     global_buffer
      - .actual_access:  read_only
        .address_space:  global
        .offset:         72
        .size:           8
        .value_kind:     global_buffer
      - .offset:         80
        .size:           8
        .value_kind:     by_value
      - .address_space:  global
        .offset:         88
        .size:           8
        .value_kind:     global_buffer
      - .offset:         96
        .size:           4
        .value_kind:     by_value
      - .offset:         100
        .size:           1
        .value_kind:     by_value
    .group_segment_fixed_size: 0
    .kernarg_segment_align: 8
    .kernarg_segment_size: 104
    .language:       OpenCL C
    .language_version:
      - 2
      - 0
    .max_flat_workgroup_size: 128
    .name:           _ZN9rocsparseL18bsrxmvn_4x4_kernelILj128ELj8EillaaiEEvT3_20rocsparse_direction_NS_24const_host_device_scalarIT1_EES1_PKS1_PKT2_SA_S7_PKT4_PKT5_S5_PT6_21rocsparse_index_base_b
    .private_segment_fixed_size: 0
    .sgpr_count:     44
    .sgpr_spill_count: 0
    .symbol:         _ZN9rocsparseL18bsrxmvn_4x4_kernelILj128ELj8EillaaiEEvT3_20rocsparse_direction_NS_24const_host_device_scalarIT1_EES1_PKS1_PKT2_SA_S7_PKT4_PKT5_S5_PT6_21rocsparse_index_base_b.kd
    .uniform_work_group_size: 1
    .uses_dynamic_stack: false
    .vgpr_count:     61
    .vgpr_spill_count: 0
    .wavefront_size: 64
  - .agpr_count:     0
    .args:
      - .offset:         0
        .size:           8
        .value_kind:     by_value
      - .offset:         8
        .size:           4
        .value_kind:     by_value
      - .offset:         16
        .size:           8
        .value_kind:     by_value
      - .offset:         24
        .size:           8
        .value_kind:     by_value
      - .actual_access:  read_only
        .address_space:  global
        .offset:         32
        .size:           8
        .value_kind:     global_buffer
      - .actual_access:  read_only
        .address_space:  global
        .offset:         40
        .size:           8
        .value_kind:     global_buffer
      - .actual_access:  read_only
        .address_space:  global
        .offset:         48
        .size:           8
        .value_kind:     global_buffer
      - .actual_access:  read_only
        .address_space:  global
        .offset:         56
        .size:           8
        .value_kind:     global_buffer
      - .actual_access:  read_only
        .address_space:  global
        .offset:         64
        .size:           8
        .value_kind:     global_buffer
      - .actual_access:  read_only
        .address_space:  global
        .offset:         72
        .size:           8
        .value_kind:     global_buffer
      - .offset:         80
        .size:           8
        .value_kind:     by_value
      - .address_space:  global
        .offset:         88
        .size:           8
        .value_kind:     global_buffer
      - .offset:         96
        .size:           4
        .value_kind:     by_value
      - .offset:         100
        .size:           1
        .value_kind:     by_value
    .group_segment_fixed_size: 0
    .kernarg_segment_align: 8
    .kernarg_segment_size: 104
    .language:       OpenCL C
    .language_version:
      - 2
      - 0
    .max_flat_workgroup_size: 128
    .name:           _ZN9rocsparseL18bsrxmvn_4x4_kernelILj128ELj16EillaaiEEvT3_20rocsparse_direction_NS_24const_host_device_scalarIT1_EES1_PKS1_PKT2_SA_S7_PKT4_PKT5_S5_PT6_21rocsparse_index_base_b
    .private_segment_fixed_size: 0
    .sgpr_count:     44
    .sgpr_spill_count: 0
    .symbol:         _ZN9rocsparseL18bsrxmvn_4x4_kernelILj128ELj16EillaaiEEvT3_20rocsparse_direction_NS_24const_host_device_scalarIT1_EES1_PKS1_PKT2_SA_S7_PKT4_PKT5_S5_PT6_21rocsparse_index_base_b.kd
    .uniform_work_group_size: 1
    .uses_dynamic_stack: false
    .vgpr_count:     58
    .vgpr_spill_count: 0
    .wavefront_size: 64
  - .agpr_count:     0
    .args:
      - .offset:         0
        .size:           8
        .value_kind:     by_value
      - .offset:         8
        .size:           4
        .value_kind:     by_value
      - .offset:         16
        .size:           8
        .value_kind:     by_value
      - .offset:         24
        .size:           8
        .value_kind:     by_value
      - .actual_access:  read_only
        .address_space:  global
        .offset:         32
        .size:           8
        .value_kind:     global_buffer
      - .actual_access:  read_only
        .address_space:  global
        .offset:         40
        .size:           8
        .value_kind:     global_buffer
      - .actual_access:  read_only
        .address_space:  global
        .offset:         48
        .size:           8
        .value_kind:     global_buffer
      - .actual_access:  read_only
        .address_space:  global
        .offset:         56
        .size:           8
        .value_kind:     global_buffer
      - .actual_access:  read_only
        .address_space:  global
        .offset:         64
        .size:           8
        .value_kind:     global_buffer
      - .actual_access:  read_only
        .address_space:  global
        .offset:         72
        .size:           8
        .value_kind:     global_buffer
      - .offset:         80
        .size:           8
        .value_kind:     by_value
      - .address_space:  global
        .offset:         88
        .size:           8
        .value_kind:     global_buffer
      - .offset:         96
        .size:           4
        .value_kind:     by_value
      - .offset:         100
        .size:           1
        .value_kind:     by_value
    .group_segment_fixed_size: 0
    .kernarg_segment_align: 8
    .kernarg_segment_size: 104
    .language:       OpenCL C
    .language_version:
      - 2
      - 0
    .max_flat_workgroup_size: 128
    .name:           _ZN9rocsparseL18bsrxmvn_4x4_kernelILj128ELj32EillaaiEEvT3_20rocsparse_direction_NS_24const_host_device_scalarIT1_EES1_PKS1_PKT2_SA_S7_PKT4_PKT5_S5_PT6_21rocsparse_index_base_b
    .private_segment_fixed_size: 0
    .sgpr_count:     40
    .sgpr_spill_count: 0
    .symbol:         _ZN9rocsparseL18bsrxmvn_4x4_kernelILj128ELj32EillaaiEEvT3_20rocsparse_direction_NS_24const_host_device_scalarIT1_EES1_PKS1_PKT2_SA_S7_PKT4_PKT5_S5_PT6_21rocsparse_index_base_b.kd
    .uniform_work_group_size: 1
    .uses_dynamic_stack: false
    .vgpr_count:     68
    .vgpr_spill_count: 0
    .wavefront_size: 64
  - .agpr_count:     0
    .args:
      - .offset:         0
        .size:           8
        .value_kind:     by_value
      - .offset:         8
        .size:           4
        .value_kind:     by_value
      - .offset:         16
        .size:           8
        .value_kind:     by_value
      - .offset:         24
        .size:           8
        .value_kind:     by_value
      - .actual_access:  read_only
        .address_space:  global
        .offset:         32
        .size:           8
        .value_kind:     global_buffer
      - .actual_access:  read_only
        .address_space:  global
        .offset:         40
        .size:           8
        .value_kind:     global_buffer
      - .actual_access:  read_only
        .address_space:  global
        .offset:         48
        .size:           8
        .value_kind:     global_buffer
      - .actual_access:  read_only
        .address_space:  global
        .offset:         56
        .size:           8
        .value_kind:     global_buffer
      - .actual_access:  read_only
        .address_space:  global
        .offset:         64
        .size:           8
        .value_kind:     global_buffer
      - .actual_access:  read_only
        .address_space:  global
        .offset:         72
        .size:           8
        .value_kind:     global_buffer
      - .offset:         80
        .size:           8
        .value_kind:     by_value
      - .address_space:  global
        .offset:         88
        .size:           8
        .value_kind:     global_buffer
      - .offset:         96
        .size:           4
        .value_kind:     by_value
      - .offset:         100
        .size:           1
        .value_kind:     by_value
    .group_segment_fixed_size: 0
    .kernarg_segment_align: 8
    .kernarg_segment_size: 104
    .language:       OpenCL C
    .language_version:
      - 2
      - 0
    .max_flat_workgroup_size: 128
    .name:           _ZN9rocsparseL18bsrxmvn_4x4_kernelILj128ELj64EillaaiEEvT3_20rocsparse_direction_NS_24const_host_device_scalarIT1_EES1_PKS1_PKT2_SA_S7_PKT4_PKT5_S5_PT6_21rocsparse_index_base_b
    .private_segment_fixed_size: 0
    .sgpr_count:     46
    .sgpr_spill_count: 0
    .symbol:         _ZN9rocsparseL18bsrxmvn_4x4_kernelILj128ELj64EillaaiEEvT3_20rocsparse_direction_NS_24const_host_device_scalarIT1_EES1_PKS1_PKT2_SA_S7_PKT4_PKT5_S5_PT6_21rocsparse_index_base_b.kd
    .uniform_work_group_size: 1
    .uses_dynamic_stack: false
    .vgpr_count:     59
    .vgpr_spill_count: 0
    .wavefront_size: 64
  - .agpr_count:     0
    .args:
      - .offset:         0
        .size:           4
        .value_kind:     by_value
      - .offset:         4
        .size:           4
        .value_kind:     by_value
      - .offset:         8
        .size:           8
        .value_kind:     by_value
      - .offset:         16
        .size:           4
        .value_kind:     by_value
      - .actual_access:  read_only
        .address_space:  global
        .offset:         24
        .size:           8
        .value_kind:     global_buffer
      - .actual_access:  read_only
        .address_space:  global
        .offset:         32
        .size:           8
        .value_kind:     global_buffer
      - .actual_access:  read_only
        .address_space:  global
        .offset:         40
        .size:           8
        .value_kind:     global_buffer
      - .actual_access:  read_only
        .address_space:  global
        .offset:         48
        .size:           8
        .value_kind:     global_buffer
      - .actual_access:  read_only
        .address_space:  global
        .offset:         56
        .size:           8
        .value_kind:     global_buffer
      - .actual_access:  read_only
        .address_space:  global
        .offset:         64
        .size:           8
        .value_kind:     global_buffer
      - .offset:         72
        .size:           8
        .value_kind:     by_value
      - .address_space:  global
        .offset:         80
        .size:           8
        .value_kind:     global_buffer
      - .offset:         88
        .size:           4
        .value_kind:     by_value
      - .offset:         92
        .size:           1
        .value_kind:     by_value
    .group_segment_fixed_size: 0
    .kernarg_segment_align: 8
    .kernarg_segment_size: 96
    .language:       OpenCL C
    .language_version:
      - 2
      - 0
    .max_flat_workgroup_size: 128
    .name:           _ZN9rocsparseL18bsrxmvn_4x4_kernelILj128ELj4EfiiaafEEvT3_20rocsparse_direction_NS_24const_host_device_scalarIT1_EES1_PKS1_PKT2_SA_S7_PKT4_PKT5_S5_PT6_21rocsparse_index_base_b
    .private_segment_fixed_size: 0
    .sgpr_count:     28
    .sgpr_spill_count: 0
    .symbol:         _ZN9rocsparseL18bsrxmvn_4x4_kernelILj128ELj4EfiiaafEEvT3_20rocsparse_direction_NS_24const_host_device_scalarIT1_EES1_PKS1_PKT2_SA_S7_PKT4_PKT5_S5_PT6_21rocsparse_index_base_b.kd
    .uniform_work_group_size: 1
    .uses_dynamic_stack: false
    .vgpr_count:     100
    .vgpr_spill_count: 0
    .wavefront_size: 64
  - .agpr_count:     0
    .args:
      - .offset:         0
        .size:           4
        .value_kind:     by_value
      - .offset:         4
        .size:           4
        .value_kind:     by_value
      - .offset:         8
        .size:           8
        .value_kind:     by_value
      - .offset:         16
        .size:           4
        .value_kind:     by_value
      - .actual_access:  read_only
        .address_space:  global
        .offset:         24
        .size:           8
        .value_kind:     global_buffer
      - .actual_access:  read_only
        .address_space:  global
        .offset:         32
        .size:           8
        .value_kind:     global_buffer
      - .actual_access:  read_only
        .address_space:  global
        .offset:         40
        .size:           8
        .value_kind:     global_buffer
      - .actual_access:  read_only
        .address_space:  global
        .offset:         48
        .size:           8
        .value_kind:     global_buffer
      - .actual_access:  read_only
        .address_space:  global
        .offset:         56
        .size:           8
        .value_kind:     global_buffer
      - .actual_access:  read_only
        .address_space:  global
        .offset:         64
        .size:           8
        .value_kind:     global_buffer
      - .offset:         72
        .size:           8
        .value_kind:     by_value
      - .address_space:  global
        .offset:         80
        .size:           8
        .value_kind:     global_buffer
      - .offset:         88
        .size:           4
        .value_kind:     by_value
      - .offset:         92
        .size:           1
        .value_kind:     by_value
    .group_segment_fixed_size: 0
    .kernarg_segment_align: 8
    .kernarg_segment_size: 96
    .language:       OpenCL C
    .language_version:
      - 2
      - 0
    .max_flat_workgroup_size: 128
    .name:           _ZN9rocsparseL18bsrxmvn_4x4_kernelILj128ELj8EfiiaafEEvT3_20rocsparse_direction_NS_24const_host_device_scalarIT1_EES1_PKS1_PKT2_SA_S7_PKT4_PKT5_S5_PT6_21rocsparse_index_base_b
    .private_segment_fixed_size: 0
    .sgpr_count:     28
    .sgpr_spill_count: 0
    .symbol:         _ZN9rocsparseL18bsrxmvn_4x4_kernelILj128ELj8EfiiaafEEvT3_20rocsparse_direction_NS_24const_host_device_scalarIT1_EES1_PKS1_PKT2_SA_S7_PKT4_PKT5_S5_PT6_21rocsparse_index_base_b.kd
    .uniform_work_group_size: 1
    .uses_dynamic_stack: false
    .vgpr_count:     100
    .vgpr_spill_count: 0
    .wavefront_size: 64
  - .agpr_count:     0
    .args:
      - .offset:         0
        .size:           4
        .value_kind:     by_value
      - .offset:         4
        .size:           4
        .value_kind:     by_value
      - .offset:         8
        .size:           8
        .value_kind:     by_value
      - .offset:         16
        .size:           4
        .value_kind:     by_value
      - .actual_access:  read_only
        .address_space:  global
        .offset:         24
        .size:           8
        .value_kind:     global_buffer
      - .actual_access:  read_only
        .address_space:  global
        .offset:         32
        .size:           8
        .value_kind:     global_buffer
      - .actual_access:  read_only
        .address_space:  global
        .offset:         40
        .size:           8
        .value_kind:     global_buffer
      - .actual_access:  read_only
        .address_space:  global
        .offset:         48
        .size:           8
        .value_kind:     global_buffer
      - .actual_access:  read_only
        .address_space:  global
        .offset:         56
        .size:           8
        .value_kind:     global_buffer
      - .actual_access:  read_only
        .address_space:  global
        .offset:         64
        .size:           8
        .value_kind:     global_buffer
      - .offset:         72
        .size:           8
        .value_kind:     by_value
      - .address_space:  global
        .offset:         80
        .size:           8
        .value_kind:     global_buffer
      - .offset:         88
        .size:           4
        .value_kind:     by_value
      - .offset:         92
        .size:           1
        .value_kind:     by_value
    .group_segment_fixed_size: 0
    .kernarg_segment_align: 8
    .kernarg_segment_size: 96
    .language:       OpenCL C
    .language_version:
      - 2
      - 0
    .max_flat_workgroup_size: 128
    .name:           _ZN9rocsparseL18bsrxmvn_4x4_kernelILj128ELj16EfiiaafEEvT3_20rocsparse_direction_NS_24const_host_device_scalarIT1_EES1_PKS1_PKT2_SA_S7_PKT4_PKT5_S5_PT6_21rocsparse_index_base_b
    .private_segment_fixed_size: 0
    .sgpr_count:     28
    .sgpr_spill_count: 0
    .symbol:         _ZN9rocsparseL18bsrxmvn_4x4_kernelILj128ELj16EfiiaafEEvT3_20rocsparse_direction_NS_24const_host_device_scalarIT1_EES1_PKS1_PKT2_SA_S7_PKT4_PKT5_S5_PT6_21rocsparse_index_base_b.kd
    .uniform_work_group_size: 1
    .uses_dynamic_stack: false
    .vgpr_count:     100
    .vgpr_spill_count: 0
    .wavefront_size: 64
  - .agpr_count:     0
    .args:
      - .offset:         0
        .size:           4
        .value_kind:     by_value
      - .offset:         4
        .size:           4
        .value_kind:     by_value
      - .offset:         8
        .size:           8
        .value_kind:     by_value
      - .offset:         16
        .size:           4
        .value_kind:     by_value
      - .actual_access:  read_only
        .address_space:  global
        .offset:         24
        .size:           8
        .value_kind:     global_buffer
      - .actual_access:  read_only
        .address_space:  global
        .offset:         32
        .size:           8
        .value_kind:     global_buffer
      - .actual_access:  read_only
        .address_space:  global
        .offset:         40
        .size:           8
        .value_kind:     global_buffer
      - .actual_access:  read_only
        .address_space:  global
        .offset:         48
        .size:           8
        .value_kind:     global_buffer
      - .actual_access:  read_only
        .address_space:  global
        .offset:         56
        .size:           8
        .value_kind:     global_buffer
      - .actual_access:  read_only
        .address_space:  global
        .offset:         64
        .size:           8
        .value_kind:     global_buffer
      - .offset:         72
        .size:           8
        .value_kind:     by_value
      - .address_space:  global
        .offset:         80
        .size:           8
        .value_kind:     global_buffer
      - .offset:         88
        .size:           4
        .value_kind:     by_value
      - .offset:         92
        .size:           1
        .value_kind:     by_value
    .group_segment_fixed_size: 0
    .kernarg_segment_align: 8
    .kernarg_segment_size: 96
    .language:       OpenCL C
    .language_version:
      - 2
      - 0
    .max_flat_workgroup_size: 128
    .name:           _ZN9rocsparseL18bsrxmvn_4x4_kernelILj128ELj32EfiiaafEEvT3_20rocsparse_direction_NS_24const_host_device_scalarIT1_EES1_PKS1_PKT2_SA_S7_PKT4_PKT5_S5_PT6_21rocsparse_index_base_b
    .private_segment_fixed_size: 0
    .sgpr_count:     28
    .sgpr_spill_count: 0
    .symbol:         _ZN9rocsparseL18bsrxmvn_4x4_kernelILj128ELj32EfiiaafEEvT3_20rocsparse_direction_NS_24const_host_device_scalarIT1_EES1_PKS1_PKT2_SA_S7_PKT4_PKT5_S5_PT6_21rocsparse_index_base_b.kd
    .uniform_work_group_size: 1
    .uses_dynamic_stack: false
    .vgpr_count:     91
    .vgpr_spill_count: 0
    .wavefront_size: 64
  - .agpr_count:     0
    .args:
      - .offset:         0
        .size:           4
        .value_kind:     by_value
      - .offset:         4
        .size:           4
        .value_kind:     by_value
      - .offset:         8
        .size:           8
        .value_kind:     by_value
      - .offset:         16
        .size:           4
        .value_kind:     by_value
      - .actual_access:  read_only
        .address_space:  global
        .offset:         24
        .size:           8
        .value_kind:     global_buffer
      - .actual_access:  read_only
        .address_space:  global
        .offset:         32
        .size:           8
        .value_kind:     global_buffer
      - .actual_access:  read_only
        .address_space:  global
        .offset:         40
        .size:           8
        .value_kind:     global_buffer
      - .actual_access:  read_only
        .address_space:  global
        .offset:         48
        .size:           8
        .value_kind:     global_buffer
      - .actual_access:  read_only
        .address_space:  global
        .offset:         56
        .size:           8
        .value_kind:     global_buffer
      - .actual_access:  read_only
        .address_space:  global
        .offset:         64
        .size:           8
        .value_kind:     global_buffer
      - .offset:         72
        .size:           8
        .value_kind:     by_value
      - .address_space:  global
        .offset:         80
        .size:           8
        .value_kind:     global_buffer
      - .offset:         88
        .size:           4
        .value_kind:     by_value
      - .offset:         92
        .size:           1
        .value_kind:     by_value
    .group_segment_fixed_size: 0
    .kernarg_segment_align: 8
    .kernarg_segment_size: 96
    .language:       OpenCL C
    .language_version:
      - 2
      - 0
    .max_flat_workgroup_size: 128
    .name:           _ZN9rocsparseL18bsrxmvn_4x4_kernelILj128ELj64EfiiaafEEvT3_20rocsparse_direction_NS_24const_host_device_scalarIT1_EES1_PKS1_PKT2_SA_S7_PKT4_PKT5_S5_PT6_21rocsparse_index_base_b
    .private_segment_fixed_size: 0
    .sgpr_count:     28
    .sgpr_spill_count: 0
    .symbol:         _ZN9rocsparseL18bsrxmvn_4x4_kernelILj128ELj64EfiiaafEEvT3_20rocsparse_direction_NS_24const_host_device_scalarIT1_EES1_PKS1_PKT2_SA_S7_PKT4_PKT5_S5_PT6_21rocsparse_index_base_b.kd
    .uniform_work_group_size: 1
    .uses_dynamic_stack: false
    .vgpr_count:     96
    .vgpr_spill_count: 0
    .wavefront_size: 64
  - .agpr_count:     0
    .args:
      - .offset:         0
        .size:           4
        .value_kind:     by_value
      - .offset:         4
        .size:           4
        .value_kind:     by_value
      - .offset:         8
        .size:           8
        .value_kind:     by_value
      - .offset:         16
        .size:           4
        .value_kind:     by_value
      - .actual_access:  read_only
        .address_space:  global
        .offset:         24
        .size:           8
        .value_kind:     global_buffer
      - .actual_access:  read_only
        .address_space:  global
        .offset:         32
        .size:           8
        .value_kind:     global_buffer
      - .actual_access:  read_only
        .address_space:  global
        .offset:         40
        .size:           8
        .value_kind:     global_buffer
      - .actual_access:  read_only
        .address_space:  global
        .offset:         48
        .size:           8
        .value_kind:     global_buffer
      - .actual_access:  read_only
        .address_space:  global
        .offset:         56
        .size:           8
        .value_kind:     global_buffer
      - .actual_access:  read_only
        .address_space:  global
        .offset:         64
        .size:           8
        .value_kind:     global_buffer
      - .offset:         72
        .size:           8
        .value_kind:     by_value
      - .address_space:  global
        .offset:         80
        .size:           8
        .value_kind:     global_buffer
      - .offset:         88
        .size:           4
        .value_kind:     by_value
      - .offset:         92
        .size:           1
        .value_kind:     by_value
    .group_segment_fixed_size: 0
    .kernarg_segment_align: 8
    .kernarg_segment_size: 96
    .language:       OpenCL C
    .language_version:
      - 2
      - 0
    .max_flat_workgroup_size: 128
    .name:           _ZN9rocsparseL18bsrxmvn_4x4_kernelILj128ELj4EfliaafEEvT3_20rocsparse_direction_NS_24const_host_device_scalarIT1_EES1_PKS1_PKT2_SA_S7_PKT4_PKT5_S5_PT6_21rocsparse_index_base_b
    .private_segment_fixed_size: 0
    .sgpr_count:     28
    .sgpr_spill_count: 0
    .symbol:         _ZN9rocsparseL18bsrxmvn_4x4_kernelILj128ELj4EfliaafEEvT3_20rocsparse_direction_NS_24const_host_device_scalarIT1_EES1_PKS1_PKT2_SA_S7_PKT4_PKT5_S5_PT6_21rocsparse_index_base_b.kd
    .uniform_work_group_size: 1
    .uses_dynamic_stack: false
    .vgpr_count:     100
    .vgpr_spill_count: 0
    .wavefront_size: 64
  - .agpr_count:     0
    .args:
      - .offset:         0
        .size:           4
        .value_kind:     by_value
      - .offset:         4
        .size:           4
        .value_kind:     by_value
      - .offset:         8
        .size:           8
        .value_kind:     by_value
      - .offset:         16
        .size:           4
        .value_kind:     by_value
      - .actual_access:  read_only
        .address_space:  global
        .offset:         24
        .size:           8
        .value_kind:     global_buffer
      - .actual_access:  read_only
        .address_space:  global
        .offset:         32
        .size:           8
        .value_kind:     global_buffer
      - .actual_access:  read_only
        .address_space:  global
        .offset:         40
        .size:           8
        .value_kind:     global_buffer
      - .actual_access:  read_only
        .address_space:  global
        .offset:         48
        .size:           8
        .value_kind:     global_buffer
      - .actual_access:  read_only
        .address_space:  global
        .offset:         56
        .size:           8
        .value_kind:     global_buffer
      - .actual_access:  read_only
        .address_space:  global
        .offset:         64
        .size:           8
        .value_kind:     global_buffer
      - .offset:         72
        .size:           8
        .value_kind:     by_value
      - .address_space:  global
        .offset:         80
        .size:           8
        .value_kind:     global_buffer
      - .offset:         88
        .size:           4
        .value_kind:     by_value
      - .offset:         92
        .size:           1
        .value_kind:     by_value
    .group_segment_fixed_size: 0
    .kernarg_segment_align: 8
    .kernarg_segment_size: 96
    .language:       OpenCL C
    .language_version:
      - 2
      - 0
    .max_flat_workgroup_size: 128
    .name:           _ZN9rocsparseL18bsrxmvn_4x4_kernelILj128ELj8EfliaafEEvT3_20rocsparse_direction_NS_24const_host_device_scalarIT1_EES1_PKS1_PKT2_SA_S7_PKT4_PKT5_S5_PT6_21rocsparse_index_base_b
    .private_segment_fixed_size: 0
    .sgpr_count:     30
    .sgpr_spill_count: 0
    .symbol:         _ZN9rocsparseL18bsrxmvn_4x4_kernelILj128ELj8EfliaafEEvT3_20rocsparse_direction_NS_24const_host_device_scalarIT1_EES1_PKS1_PKT2_SA_S7_PKT4_PKT5_S5_PT6_21rocsparse_index_base_b.kd
    .uniform_work_group_size: 1
    .uses_dynamic_stack: false
    .vgpr_count:     100
    .vgpr_spill_count: 0
    .wavefront_size: 64
  - .agpr_count:     0
    .args:
      - .offset:         0
        .size:           4
        .value_kind:     by_value
      - .offset:         4
        .size:           4
        .value_kind:     by_value
      - .offset:         8
        .size:           8
        .value_kind:     by_value
      - .offset:         16
        .size:           4
        .value_kind:     by_value
      - .actual_access:  read_only
        .address_space:  global
        .offset:         24
        .size:           8
        .value_kind:     global_buffer
      - .actual_access:  read_only
        .address_space:  global
        .offset:         32
        .size:           8
        .value_kind:     global_buffer
      - .actual_access:  read_only
        .address_space:  global
        .offset:         40
        .size:           8
        .value_kind:     global_buffer
      - .actual_access:  read_only
        .address_space:  global
        .offset:         48
        .size:           8
        .value_kind:     global_buffer
      - .actual_access:  read_only
        .address_space:  global
        .offset:         56
        .size:           8
        .value_kind:     global_buffer
      - .actual_access:  read_only
        .address_space:  global
        .offset:         64
        .size:           8
        .value_kind:     global_buffer
      - .offset:         72
        .size:           8
        .value_kind:     by_value
      - .address_space:  global
        .offset:         80
        .size:           8
        .value_kind:     global_buffer
      - .offset:         88
        .size:           4
        .value_kind:     by_value
      - .offset:         92
        .size:           1
        .value_kind:     by_value
    .group_segment_fixed_size: 0
    .kernarg_segment_align: 8
    .kernarg_segment_size: 96
    .language:       OpenCL C
    .language_version:
      - 2
      - 0
    .max_flat_workgroup_size: 128
    .name:           _ZN9rocsparseL18bsrxmvn_4x4_kernelILj128ELj16EfliaafEEvT3_20rocsparse_direction_NS_24const_host_device_scalarIT1_EES1_PKS1_PKT2_SA_S7_PKT4_PKT5_S5_PT6_21rocsparse_index_base_b
    .private_segment_fixed_size: 0
    .sgpr_count:     30
    .sgpr_spill_count: 0
    .symbol:         _ZN9rocsparseL18bsrxmvn_4x4_kernelILj128ELj16EfliaafEEvT3_20rocsparse_direction_NS_24const_host_device_scalarIT1_EES1_PKS1_PKT2_SA_S7_PKT4_PKT5_S5_PT6_21rocsparse_index_base_b.kd
    .uniform_work_group_size: 1
    .uses_dynamic_stack: false
    .vgpr_count:     100
    .vgpr_spill_count: 0
    .wavefront_size: 64
  - .agpr_count:     0
    .args:
      - .offset:         0
        .size:           4
        .value_kind:     by_value
      - .offset:         4
        .size:           4
        .value_kind:     by_value
      - .offset:         8
        .size:           8
        .value_kind:     by_value
      - .offset:         16
        .size:           4
        .value_kind:     by_value
      - .actual_access:  read_only
        .address_space:  global
        .offset:         24
        .size:           8
        .value_kind:     global_buffer
      - .actual_access:  read_only
        .address_space:  global
        .offset:         32
        .size:           8
        .value_kind:     global_buffer
      - .actual_access:  read_only
        .address_space:  global
        .offset:         40
        .size:           8
        .value_kind:     global_buffer
      - .actual_access:  read_only
        .address_space:  global
        .offset:         48
        .size:           8
        .value_kind:     global_buffer
      - .actual_access:  read_only
        .address_space:  global
        .offset:         56
        .size:           8
        .value_kind:     global_buffer
      - .actual_access:  read_only
        .address_space:  global
        .offset:         64
        .size:           8
        .value_kind:     global_buffer
      - .offset:         72
        .size:           8
        .value_kind:     by_value
      - .address_space:  global
        .offset:         80
        .size:           8
        .value_kind:     global_buffer
      - .offset:         88
        .size:           4
        .value_kind:     by_value
      - .offset:         92
        .size:           1
        .value_kind:     by_value
    .group_segment_fixed_size: 0
    .kernarg_segment_align: 8
    .kernarg_segment_size: 96
    .language:       OpenCL C
    .language_version:
      - 2
      - 0
    .max_flat_workgroup_size: 128
    .name:           _ZN9rocsparseL18bsrxmvn_4x4_kernelILj128ELj32EfliaafEEvT3_20rocsparse_direction_NS_24const_host_device_scalarIT1_EES1_PKS1_PKT2_SA_S7_PKT4_PKT5_S5_PT6_21rocsparse_index_base_b
    .private_segment_fixed_size: 0
    .sgpr_count:     32
    .sgpr_spill_count: 0
    .symbol:         _ZN9rocsparseL18bsrxmvn_4x4_kernelILj128ELj32EfliaafEEvT3_20rocsparse_direction_NS_24const_host_device_scalarIT1_EES1_PKS1_PKT2_SA_S7_PKT4_PKT5_S5_PT6_21rocsparse_index_base_b.kd
    .uniform_work_group_size: 1
    .uses_dynamic_stack: false
    .vgpr_count:     100
    .vgpr_spill_count: 0
    .wavefront_size: 64
  - .agpr_count:     0
    .args:
      - .offset:         0
        .size:           4
        .value_kind:     by_value
      - .offset:         4
        .size:           4
        .value_kind:     by_value
      - .offset:         8
        .size:           8
        .value_kind:     by_value
      - .offset:         16
        .size:           4
        .value_kind:     by_value
      - .actual_access:  read_only
        .address_space:  global
        .offset:         24
        .size:           8
        .value_kind:     global_buffer
      - .actual_access:  read_only
        .address_space:  global
        .offset:         32
        .size:           8
        .value_kind:     global_buffer
      - .actual_access:  read_only
        .address_space:  global
        .offset:         40
        .size:           8
        .value_kind:     global_buffer
      - .actual_access:  read_only
        .address_space:  global
        .offset:         48
        .size:           8
        .value_kind:     global_buffer
      - .actual_access:  read_only
        .address_space:  global
        .offset:         56
        .size:           8
        .value_kind:     global_buffer
      - .actual_access:  read_only
        .address_space:  global
        .offset:         64
        .size:           8
        .value_kind:     global_buffer
      - .offset:         72
        .size:           8
        .value_kind:     by_value
      - .address_space:  global
        .offset:         80
        .size:           8
        .value_kind:     global_buffer
      - .offset:         88
        .size:           4
        .value_kind:     by_value
      - .offset:         92
        .size:           1
        .value_kind:     by_value
    .group_segment_fixed_size: 0
    .kernarg_segment_align: 8
    .kernarg_segment_size: 96
    .language:       OpenCL C
    .language_version:
      - 2
      - 0
    .max_flat_workgroup_size: 128
    .name:           _ZN9rocsparseL18bsrxmvn_4x4_kernelILj128ELj64EfliaafEEvT3_20rocsparse_direction_NS_24const_host_device_scalarIT1_EES1_PKS1_PKT2_SA_S7_PKT4_PKT5_S5_PT6_21rocsparse_index_base_b
    .private_segment_fixed_size: 0
    .sgpr_count:     32
    .sgpr_spill_count: 0
    .symbol:         _ZN9rocsparseL18bsrxmvn_4x4_kernelILj128ELj64EfliaafEEvT3_20rocsparse_direction_NS_24const_host_device_scalarIT1_EES1_PKS1_PKT2_SA_S7_PKT4_PKT5_S5_PT6_21rocsparse_index_base_b.kd
    .uniform_work_group_size: 1
    .uses_dynamic_stack: false
    .vgpr_count:     100
    .vgpr_spill_count: 0
    .wavefront_size: 64
  - .agpr_count:     0
    .args:
      - .offset:         0
        .size:           8
        .value_kind:     by_value
      - .offset:         8
        .size:           4
        .value_kind:     by_value
      - .offset:         16
        .size:           8
        .value_kind:     by_value
      - .offset:         24
        .size:           8
        .value_kind:     by_value
      - .actual_access:  read_only
        .address_space:  global
        .offset:         32
        .size:           8
        .value_kind:     global_buffer
      - .actual_access:  read_only
        .address_space:  global
        .offset:         40
        .size:           8
        .value_kind:     global_buffer
      - .actual_access:  read_only
        .address_space:  global
        .offset:         48
        .size:           8
        .value_kind:     global_buffer
      - .actual_access:  read_only
        .address_space:  global
        .offset:         56
        .size:           8
        .value_kind:     global_buffer
      - .actual_access:  read_only
        .address_space:  global
        .offset:         64
        .size:           8
        .value_kind:     global_buffer
      - .actual_access:  read_only
        .address_space:  global
        .offset:         72
        .size:           8
        .value_kind:     global_buffer
      - .offset:         80
        .size:           8
        .value_kind:     by_value
      - .address_space:  global
        .offset:         88
        .size:           8
        .value_kind:     global_buffer
      - .offset:         96
        .size:           4
        .value_kind:     by_value
      - .offset:         100
        .size:           1
        .value_kind:     by_value
    .group_segment_fixed_size: 0
    .kernarg_segment_align: 8
    .kernarg_segment_size: 104
    .language:       OpenCL C
    .language_version:
      - 2
      - 0
    .max_flat_workgroup_size: 128
    .name:           _ZN9rocsparseL18bsrxmvn_4x4_kernelILj128ELj4EfllaafEEvT3_20rocsparse_direction_NS_24const_host_device_scalarIT1_EES1_PKS1_PKT2_SA_S7_PKT4_PKT5_S5_PT6_21rocsparse_index_base_b
    .private_segment_fixed_size: 0
    .sgpr_count:     28
    .sgpr_spill_count: 0
    .symbol:         _ZN9rocsparseL18bsrxmvn_4x4_kernelILj128ELj4EfllaafEEvT3_20rocsparse_direction_NS_24const_host_device_scalarIT1_EES1_PKS1_PKT2_SA_S7_PKT4_PKT5_S5_PT6_21rocsparse_index_base_b.kd
    .uniform_work_group_size: 1
    .uses_dynamic_stack: false
    .vgpr_count:     120
    .vgpr_spill_count: 0
    .wavefront_size: 64
  - .agpr_count:     0
    .args:
      - .offset:         0
        .size:           8
        .value_kind:     by_value
      - .offset:         8
        .size:           4
        .value_kind:     by_value
      - .offset:         16
        .size:           8
        .value_kind:     by_value
      - .offset:         24
        .size:           8
        .value_kind:     by_value
      - .actual_access:  read_only
        .address_space:  global
        .offset:         32
        .size:           8
        .value_kind:     global_buffer
      - .actual_access:  read_only
        .address_space:  global
        .offset:         40
        .size:           8
        .value_kind:     global_buffer
      - .actual_access:  read_only
        .address_space:  global
        .offset:         48
        .size:           8
        .value_kind:     global_buffer
      - .actual_access:  read_only
        .address_space:  global
        .offset:         56
        .size:           8
        .value_kind:     global_buffer
      - .actual_access:  read_only
        .address_space:  global
        .offset:         64
        .size:           8
        .value_kind:     global_buffer
      - .actual_access:  read_only
        .address_space:  global
        .offset:         72
        .size:           8
        .value_kind:     global_buffer
      - .offset:         80
        .size:           8
        .value_kind:     by_value
      - .address_space:  global
        .offset:         88
        .size:           8
        .value_kind:     global_buffer
      - .offset:         96
        .size:           4
        .value_kind:     by_value
      - .offset:         100
        .size:           1
        .value_kind:     by_value
    .group_segment_fixed_size: 0
    .kernarg_segment_align: 8
    .kernarg_segment_size: 104
    .language:       OpenCL C
    .language_version:
      - 2
      - 0
    .max_flat_workgroup_size: 128
    .name:           _ZN9rocsparseL18bsrxmvn_4x4_kernelILj128ELj8EfllaafEEvT3_20rocsparse_direction_NS_24const_host_device_scalarIT1_EES1_PKS1_PKT2_SA_S7_PKT4_PKT5_S5_PT6_21rocsparse_index_base_b
    .private_segment_fixed_size: 0
    .sgpr_count:     28
    .sgpr_spill_count: 0
    .symbol:         _ZN9rocsparseL18bsrxmvn_4x4_kernelILj128ELj8EfllaafEEvT3_20rocsparse_direction_NS_24const_host_device_scalarIT1_EES1_PKS1_PKT2_SA_S7_PKT4_PKT5_S5_PT6_21rocsparse_index_base_b.kd
    .uniform_work_group_size: 1
    .uses_dynamic_stack: false
    .vgpr_count:     120
    .vgpr_spill_count: 0
    .wavefront_size: 64
  - .agpr_count:     0
    .args:
      - .offset:         0
        .size:           8
        .value_kind:     by_value
      - .offset:         8
        .size:           4
        .value_kind:     by_value
      - .offset:         16
        .size:           8
        .value_kind:     by_value
      - .offset:         24
        .size:           8
        .value_kind:     by_value
      - .actual_access:  read_only
        .address_space:  global
        .offset:         32
        .size:           8
        .value_kind:     global_buffer
      - .actual_access:  read_only
        .address_space:  global
        .offset:         40
        .size:           8
        .value_kind:     global_buffer
      - .actual_access:  read_only
        .address_space:  global
        .offset:         48
        .size:           8
        .value_kind:     global_buffer
      - .actual_access:  read_only
        .address_space:  global
        .offset:         56
        .size:           8
        .value_kind:     global_buffer
      - .actual_access:  read_only
        .address_space:  global
        .offset:         64
        .size:           8
        .value_kind:     global_buffer
      - .actual_access:  read_only
        .address_space:  global
        .offset:         72
        .size:           8
        .value_kind:     global_buffer
      - .offset:         80
        .size:           8
        .value_kind:     by_value
      - .address_space:  global
        .offset:         88
        .size:           8
        .value_kind:     global_buffer
      - .offset:         96
        .size:           4
        .value_kind:     by_value
      - .offset:         100
        .size:           1
        .value_kind:     by_value
    .group_segment_fixed_size: 0
    .kernarg_segment_align: 8
    .kernarg_segment_size: 104
    .language:       OpenCL C
    .language_version:
      - 2
      - 0
    .max_flat_workgroup_size: 128
    .name:           _ZN9rocsparseL18bsrxmvn_4x4_kernelILj128ELj16EfllaafEEvT3_20rocsparse_direction_NS_24const_host_device_scalarIT1_EES1_PKS1_PKT2_SA_S7_PKT4_PKT5_S5_PT6_21rocsparse_index_base_b
    .private_segment_fixed_size: 0
    .sgpr_count:     28
    .sgpr_spill_count: 0
    .symbol:         _ZN9rocsparseL18bsrxmvn_4x4_kernelILj128ELj16EfllaafEEvT3_20rocsparse_direction_NS_24const_host_device_scalarIT1_EES1_PKS1_PKT2_SA_S7_PKT4_PKT5_S5_PT6_21rocsparse_index_base_b.kd
    .uniform_work_group_size: 1
    .uses_dynamic_stack: false
    .vgpr_count:     102
    .vgpr_spill_count: 0
    .wavefront_size: 64
  - .agpr_count:     0
    .args:
      - .offset:         0
        .size:           8
        .value_kind:     by_value
      - .offset:         8
        .size:           4
        .value_kind:     by_value
      - .offset:         16
        .size:           8
        .value_kind:     by_value
      - .offset:         24
        .size:           8
        .value_kind:     by_value
      - .actual_access:  read_only
        .address_space:  global
        .offset:         32
        .size:           8
        .value_kind:     global_buffer
      - .actual_access:  read_only
        .address_space:  global
        .offset:         40
        .size:           8
        .value_kind:     global_buffer
      - .actual_access:  read_only
        .address_space:  global
        .offset:         48
        .size:           8
        .value_kind:     global_buffer
      - .actual_access:  read_only
        .address_space:  global
        .offset:         56
        .size:           8
        .value_kind:     global_buffer
      - .actual_access:  read_only
        .address_space:  global
        .offset:         64
        .size:           8
        .value_kind:     global_buffer
      - .actual_access:  read_only
        .address_space:  global
        .offset:         72
        .size:           8
        .value_kind:     global_buffer
      - .offset:         80
        .size:           8
        .value_kind:     by_value
      - .address_space:  global
        .offset:         88
        .size:           8
        .value_kind:     global_buffer
      - .offset:         96
        .size:           4
        .value_kind:     by_value
      - .offset:         100
        .size:           1
        .value_kind:     by_value
    .group_segment_fixed_size: 0
    .kernarg_segment_align: 8
    .kernarg_segment_size: 104
    .language:       OpenCL C
    .language_version:
      - 2
      - 0
    .max_flat_workgroup_size: 128
    .name:           _ZN9rocsparseL18bsrxmvn_4x4_kernelILj128ELj32EfllaafEEvT3_20rocsparse_direction_NS_24const_host_device_scalarIT1_EES1_PKS1_PKT2_SA_S7_PKT4_PKT5_S5_PT6_21rocsparse_index_base_b
    .private_segment_fixed_size: 0
    .sgpr_count:     30
    .sgpr_spill_count: 0
    .symbol:         _ZN9rocsparseL18bsrxmvn_4x4_kernelILj128ELj32EfllaafEEvT3_20rocsparse_direction_NS_24const_host_device_scalarIT1_EES1_PKS1_PKT2_SA_S7_PKT4_PKT5_S5_PT6_21rocsparse_index_base_b.kd
    .uniform_work_group_size: 1
    .uses_dynamic_stack: false
    .vgpr_count:     102
    .vgpr_spill_count: 0
    .wavefront_size: 64
  - .agpr_count:     0
    .args:
      - .offset:         0
        .size:           8
        .value_kind:     by_value
      - .offset:         8
        .size:           4
        .value_kind:     by_value
      - .offset:         16
        .size:           8
        .value_kind:     by_value
      - .offset:         24
        .size:           8
        .value_kind:     by_value
      - .actual_access:  read_only
        .address_space:  global
        .offset:         32
        .size:           8
        .value_kind:     global_buffer
      - .actual_access:  read_only
        .address_space:  global
        .offset:         40
        .size:           8
        .value_kind:     global_buffer
      - .actual_access:  read_only
        .address_space:  global
        .offset:         48
        .size:           8
        .value_kind:     global_buffer
      - .actual_access:  read_only
        .address_space:  global
        .offset:         56
        .size:           8
        .value_kind:     global_buffer
      - .actual_access:  read_only
        .address_space:  global
        .offset:         64
        .size:           8
        .value_kind:     global_buffer
      - .actual_access:  read_only
        .address_space:  global
        .offset:         72
        .size:           8
        .value_kind:     global_buffer
      - .offset:         80
        .size:           8
        .value_kind:     by_value
      - .address_space:  global
        .offset:         88
        .size:           8
        .value_kind:     global_buffer
      - .offset:         96
        .size:           4
        .value_kind:     by_value
      - .offset:         100
        .size:           1
        .value_kind:     by_value
    .group_segment_fixed_size: 0
    .kernarg_segment_align: 8
    .kernarg_segment_size: 104
    .language:       OpenCL C
    .language_version:
      - 2
      - 0
    .max_flat_workgroup_size: 128
    .name:           _ZN9rocsparseL18bsrxmvn_4x4_kernelILj128ELj64EfllaafEEvT3_20rocsparse_direction_NS_24const_host_device_scalarIT1_EES1_PKS1_PKT2_SA_S7_PKT4_PKT5_S5_PT6_21rocsparse_index_base_b
    .private_segment_fixed_size: 0
    .sgpr_count:     30
    .sgpr_spill_count: 0
    .symbol:         _ZN9rocsparseL18bsrxmvn_4x4_kernelILj128ELj64EfllaafEEvT3_20rocsparse_direction_NS_24const_host_device_scalarIT1_EES1_PKS1_PKT2_SA_S7_PKT4_PKT5_S5_PT6_21rocsparse_index_base_b.kd
    .uniform_work_group_size: 1
    .uses_dynamic_stack: false
    .vgpr_count:     102
    .vgpr_spill_count: 0
    .wavefront_size: 64
  - .agpr_count:     0
    .args:
      - .offset:         0
        .size:           4
        .value_kind:     by_value
      - .offset:         4
        .size:           4
        .value_kind:     by_value
      - .offset:         8
        .size:           8
        .value_kind:     by_value
      - .offset:         16
        .size:           4
        .value_kind:     by_value
      - .actual_access:  read_only
        .address_space:  global
        .offset:         24
        .size:           8
        .value_kind:     global_buffer
      - .actual_access:  read_only
        .address_space:  global
        .offset:         32
        .size:           8
        .value_kind:     global_buffer
      - .actual_access:  read_only
        .address_space:  global
        .offset:         40
        .size:           8
        .value_kind:     global_buffer
      - .actual_access:  read_only
        .address_space:  global
        .offset:         48
        .size:           8
        .value_kind:     global_buffer
      - .actual_access:  read_only
        .address_space:  global
        .offset:         56
        .size:           8
        .value_kind:     global_buffer
      - .actual_access:  read_only
        .address_space:  global
        .offset:         64
        .size:           8
        .value_kind:     global_buffer
      - .offset:         72
        .size:           8
        .value_kind:     by_value
      - .address_space:  global
        .offset:         80
        .size:           8
        .value_kind:     global_buffer
      - .offset:         88
        .size:           4
        .value_kind:     by_value
      - .offset:         92
        .size:           1
        .value_kind:     by_value
    .group_segment_fixed_size: 0
    .kernarg_segment_align: 8
    .kernarg_segment_size: 96
    .language:       OpenCL C
    .language_version:
      - 2
      - 0
    .max_flat_workgroup_size: 128
    .name:           _ZN9rocsparseL18bsrxmvn_4x4_kernelILj128ELj4EfiiDF16_DF16_fEEvT3_20rocsparse_direction_NS_24const_host_device_scalarIT1_EES1_PKS1_PKT2_SA_S7_PKT4_PKT5_S5_PT6_21rocsparse_index_base_b
    .private_segment_fixed_size: 0
    .sgpr_count:     28
    .sgpr_spill_count: 0
    .symbol:         _ZN9rocsparseL18bsrxmvn_4x4_kernelILj128ELj4EfiiDF16_DF16_fEEvT3_20rocsparse_direction_NS_24const_host_device_scalarIT1_EES1_PKS1_PKT2_SA_S7_PKT4_PKT5_S5_PT6_21rocsparse_index_base_b.kd
    .uniform_work_group_size: 1
    .uses_dynamic_stack: false
    .vgpr_count:     100
    .vgpr_spill_count: 0
    .wavefront_size: 64
  - .agpr_count:     0
    .args:
      - .offset:         0
        .size:           4
        .value_kind:     by_value
      - .offset:         4
        .size:           4
        .value_kind:     by_value
      - .offset:         8
        .size:           8
        .value_kind:     by_value
      - .offset:         16
        .size:           4
        .value_kind:     by_value
      - .actual_access:  read_only
        .address_space:  global
        .offset:         24
        .size:           8
        .value_kind:     global_buffer
      - .actual_access:  read_only
        .address_space:  global
        .offset:         32
        .size:           8
        .value_kind:     global_buffer
      - .actual_access:  read_only
        .address_space:  global
        .offset:         40
        .size:           8
        .value_kind:     global_buffer
      - .actual_access:  read_only
        .address_space:  global
        .offset:         48
        .size:           8
        .value_kind:     global_buffer
      - .actual_access:  read_only
        .address_space:  global
        .offset:         56
        .size:           8
        .value_kind:     global_buffer
      - .actual_access:  read_only
        .address_space:  global
        .offset:         64
        .size:           8
        .value_kind:     global_buffer
      - .offset:         72
        .size:           8
        .value_kind:     by_value
      - .address_space:  global
        .offset:         80
        .size:           8
        .value_kind:     global_buffer
      - .offset:         88
        .size:           4
        .value_kind:     by_value
      - .offset:         92
        .size:           1
        .value_kind:     by_value
    .group_segment_fixed_size: 0
    .kernarg_segment_align: 8
    .kernarg_segment_size: 96
    .language:       OpenCL C
    .language_version:
      - 2
      - 0
    .max_flat_workgroup_size: 128
    .name:           _ZN9rocsparseL18bsrxmvn_4x4_kernelILj128ELj8EfiiDF16_DF16_fEEvT3_20rocsparse_direction_NS_24const_host_device_scalarIT1_EES1_PKS1_PKT2_SA_S7_PKT4_PKT5_S5_PT6_21rocsparse_index_base_b
    .private_segment_fixed_size: 0
    .sgpr_count:     28
    .sgpr_spill_count: 0
    .symbol:         _ZN9rocsparseL18bsrxmvn_4x4_kernelILj128ELj8EfiiDF16_DF16_fEEvT3_20rocsparse_direction_NS_24const_host_device_scalarIT1_EES1_PKS1_PKT2_SA_S7_PKT4_PKT5_S5_PT6_21rocsparse_index_base_b.kd
    .uniform_work_group_size: 1
    .uses_dynamic_stack: false
    .vgpr_count:     100
    .vgpr_spill_count: 0
    .wavefront_size: 64
  - .agpr_count:     0
    .args:
      - .offset:         0
        .size:           4
        .value_kind:     by_value
      - .offset:         4
        .size:           4
        .value_kind:     by_value
      - .offset:         8
        .size:           8
        .value_kind:     by_value
      - .offset:         16
        .size:           4
        .value_kind:     by_value
      - .actual_access:  read_only
        .address_space:  global
        .offset:         24
        .size:           8
        .value_kind:     global_buffer
      - .actual_access:  read_only
        .address_space:  global
        .offset:         32
        .size:           8
        .value_kind:     global_buffer
      - .actual_access:  read_only
        .address_space:  global
        .offset:         40
        .size:           8
        .value_kind:     global_buffer
      - .actual_access:  read_only
        .address_space:  global
        .offset:         48
        .size:           8
        .value_kind:     global_buffer
      - .actual_access:  read_only
        .address_space:  global
        .offset:         56
        .size:           8
        .value_kind:     global_buffer
      - .actual_access:  read_only
        .address_space:  global
        .offset:         64
        .size:           8
        .value_kind:     global_buffer
      - .offset:         72
        .size:           8
        .value_kind:     by_value
      - .address_space:  global
        .offset:         80
        .size:           8
        .value_kind:     global_buffer
      - .offset:         88
        .size:           4
        .value_kind:     by_value
      - .offset:         92
        .size:           1
        .value_kind:     by_value
    .group_segment_fixed_size: 0
    .kernarg_segment_align: 8
    .kernarg_segment_size: 96
    .language:       OpenCL C
    .language_version:
      - 2
      - 0
    .max_flat_workgroup_size: 128
    .name:           _ZN9rocsparseL18bsrxmvn_4x4_kernelILj128ELj16EfiiDF16_DF16_fEEvT3_20rocsparse_direction_NS_24const_host_device_scalarIT1_EES1_PKS1_PKT2_SA_S7_PKT4_PKT5_S5_PT6_21rocsparse_index_base_b
    .private_segment_fixed_size: 0
    .sgpr_count:     28
    .sgpr_spill_count: 0
    .symbol:         _ZN9rocsparseL18bsrxmvn_4x4_kernelILj128ELj16EfiiDF16_DF16_fEEvT3_20rocsparse_direction_NS_24const_host_device_scalarIT1_EES1_PKS1_PKT2_SA_S7_PKT4_PKT5_S5_PT6_21rocsparse_index_base_b.kd
    .uniform_work_group_size: 1
    .uses_dynamic_stack: false
    .vgpr_count:     100
    .vgpr_spill_count: 0
    .wavefront_size: 64
  - .agpr_count:     0
    .args:
      - .offset:         0
        .size:           4
        .value_kind:     by_value
      - .offset:         4
        .size:           4
        .value_kind:     by_value
      - .offset:         8
        .size:           8
        .value_kind:     by_value
      - .offset:         16
        .size:           4
        .value_kind:     by_value
      - .actual_access:  read_only
        .address_space:  global
        .offset:         24
        .size:           8
        .value_kind:     global_buffer
      - .actual_access:  read_only
        .address_space:  global
        .offset:         32
        .size:           8
        .value_kind:     global_buffer
      - .actual_access:  read_only
        .address_space:  global
        .offset:         40
        .size:           8
        .value_kind:     global_buffer
      - .actual_access:  read_only
        .address_space:  global
        .offset:         48
        .size:           8
        .value_kind:     global_buffer
      - .actual_access:  read_only
        .address_space:  global
        .offset:         56
        .size:           8
        .value_kind:     global_buffer
      - .actual_access:  read_only
        .address_space:  global
        .offset:         64
        .size:           8
        .value_kind:     global_buffer
      - .offset:         72
        .size:           8
        .value_kind:     by_value
      - .address_space:  global
        .offset:         80
        .size:           8
        .value_kind:     global_buffer
      - .offset:         88
        .size:           4
        .value_kind:     by_value
      - .offset:         92
        .size:           1
        .value_kind:     by_value
    .group_segment_fixed_size: 0
    .kernarg_segment_align: 8
    .kernarg_segment_size: 96
    .language:       OpenCL C
    .language_version:
      - 2
      - 0
    .max_flat_workgroup_size: 128
    .name:           _ZN9rocsparseL18bsrxmvn_4x4_kernelILj128ELj32EfiiDF16_DF16_fEEvT3_20rocsparse_direction_NS_24const_host_device_scalarIT1_EES1_PKS1_PKT2_SA_S7_PKT4_PKT5_S5_PT6_21rocsparse_index_base_b
    .private_segment_fixed_size: 0
    .sgpr_count:     28
    .sgpr_spill_count: 0
    .symbol:         _ZN9rocsparseL18bsrxmvn_4x4_kernelILj128ELj32EfiiDF16_DF16_fEEvT3_20rocsparse_direction_NS_24const_host_device_scalarIT1_EES1_PKS1_PKT2_SA_S7_PKT4_PKT5_S5_PT6_21rocsparse_index_base_b.kd
    .uniform_work_group_size: 1
    .uses_dynamic_stack: false
    .vgpr_count:     100
    .vgpr_spill_count: 0
    .wavefront_size: 64
  - .agpr_count:     0
    .args:
      - .offset:         0
        .size:           4
        .value_kind:     by_value
      - .offset:         4
        .size:           4
        .value_kind:     by_value
      - .offset:         8
        .size:           8
        .value_kind:     by_value
      - .offset:         16
        .size:           4
        .value_kind:     by_value
      - .actual_access:  read_only
        .address_space:  global
        .offset:         24
        .size:           8
        .value_kind:     global_buffer
      - .actual_access:  read_only
        .address_space:  global
        .offset:         32
        .size:           8
        .value_kind:     global_buffer
      - .actual_access:  read_only
        .address_space:  global
        .offset:         40
        .size:           8
        .value_kind:     global_buffer
      - .actual_access:  read_only
        .address_space:  global
        .offset:         48
        .size:           8
        .value_kind:     global_buffer
      - .actual_access:  read_only
        .address_space:  global
        .offset:         56
        .size:           8
        .value_kind:     global_buffer
      - .actual_access:  read_only
        .address_space:  global
        .offset:         64
        .size:           8
        .value_kind:     global_buffer
      - .offset:         72
        .size:           8
        .value_kind:     by_value
      - .address_space:  global
        .offset:         80
        .size:           8
        .value_kind:     global_buffer
      - .offset:         88
        .size:           4
        .value_kind:     by_value
      - .offset:         92
        .size:           1
        .value_kind:     by_value
    .group_segment_fixed_size: 0
    .kernarg_segment_align: 8
    .kernarg_segment_size: 96
    .language:       OpenCL C
    .language_version:
      - 2
      - 0
    .max_flat_workgroup_size: 128
    .name:           _ZN9rocsparseL18bsrxmvn_4x4_kernelILj128ELj64EfiiDF16_DF16_fEEvT3_20rocsparse_direction_NS_24const_host_device_scalarIT1_EES1_PKS1_PKT2_SA_S7_PKT4_PKT5_S5_PT6_21rocsparse_index_base_b
    .private_segment_fixed_size: 0
    .sgpr_count:     28
    .sgpr_spill_count: 0
    .symbol:         _ZN9rocsparseL18bsrxmvn_4x4_kernelILj128ELj64EfiiDF16_DF16_fEEvT3_20rocsparse_direction_NS_24const_host_device_scalarIT1_EES1_PKS1_PKT2_SA_S7_PKT4_PKT5_S5_PT6_21rocsparse_index_base_b.kd
    .uniform_work_group_size: 1
    .uses_dynamic_stack: false
    .vgpr_count:     100
    .vgpr_spill_count: 0
    .wavefront_size: 64
  - .agpr_count:     0
    .args:
      - .offset:         0
        .size:           4
        .value_kind:     by_value
      - .offset:         4
        .size:           4
        .value_kind:     by_value
      - .offset:         8
        .size:           8
        .value_kind:     by_value
      - .offset:         16
        .size:           4
        .value_kind:     by_value
      - .actual_access:  read_only
        .address_space:  global
        .offset:         24
        .size:           8
        .value_kind:     global_buffer
      - .actual_access:  read_only
        .address_space:  global
        .offset:         32
        .size:           8
        .value_kind:     global_buffer
      - .actual_access:  read_only
        .address_space:  global
        .offset:         40
        .size:           8
        .value_kind:     global_buffer
      - .actual_access:  read_only
        .address_space:  global
        .offset:         48
        .size:           8
        .value_kind:     global_buffer
      - .actual_access:  read_only
        .address_space:  global
        .offset:         56
        .size:           8
        .value_kind:     global_buffer
      - .actual_access:  read_only
        .address_space:  global
        .offset:         64
        .size:           8
        .value_kind:     global_buffer
      - .offset:         72
        .size:           8
        .value_kind:     by_value
      - .address_space:  global
        .offset:         80
        .size:           8
        .value_kind:     global_buffer
      - .offset:         88
        .size:           4
        .value_kind:     by_value
      - .offset:         92
        .size:           1
        .value_kind:     by_value
    .group_segment_fixed_size: 0
    .kernarg_segment_align: 8
    .kernarg_segment_size: 96
    .language:       OpenCL C
    .language_version:
      - 2
      - 0
    .max_flat_workgroup_size: 128
    .name:           _ZN9rocsparseL18bsrxmvn_4x4_kernelILj128ELj4EfliDF16_DF16_fEEvT3_20rocsparse_direction_NS_24const_host_device_scalarIT1_EES1_PKS1_PKT2_SA_S7_PKT4_PKT5_S5_PT6_21rocsparse_index_base_b
    .private_segment_fixed_size: 0
    .sgpr_count:     28
    .sgpr_spill_count: 0
    .symbol:         _ZN9rocsparseL18bsrxmvn_4x4_kernelILj128ELj4EfliDF16_DF16_fEEvT3_20rocsparse_direction_NS_24const_host_device_scalarIT1_EES1_PKS1_PKT2_SA_S7_PKT4_PKT5_S5_PT6_21rocsparse_index_base_b.kd
    .uniform_work_group_size: 1
    .uses_dynamic_stack: false
    .vgpr_count:     102
    .vgpr_spill_count: 0
    .wavefront_size: 64
  - .agpr_count:     0
    .args:
      - .offset:         0
        .size:           4
        .value_kind:     by_value
      - .offset:         4
        .size:           4
        .value_kind:     by_value
      - .offset:         8
        .size:           8
        .value_kind:     by_value
      - .offset:         16
        .size:           4
        .value_kind:     by_value
      - .actual_access:  read_only
        .address_space:  global
        .offset:         24
        .size:           8
        .value_kind:     global_buffer
      - .actual_access:  read_only
        .address_space:  global
        .offset:         32
        .size:           8
        .value_kind:     global_buffer
      - .actual_access:  read_only
        .address_space:  global
        .offset:         40
        .size:           8
        .value_kind:     global_buffer
      - .actual_access:  read_only
        .address_space:  global
        .offset:         48
        .size:           8
        .value_kind:     global_buffer
      - .actual_access:  read_only
        .address_space:  global
        .offset:         56
        .size:           8
        .value_kind:     global_buffer
      - .actual_access:  read_only
        .address_space:  global
        .offset:         64
        .size:           8
        .value_kind:     global_buffer
      - .offset:         72
        .size:           8
        .value_kind:     by_value
      - .address_space:  global
        .offset:         80
        .size:           8
        .value_kind:     global_buffer
      - .offset:         88
        .size:           4
        .value_kind:     by_value
      - .offset:         92
        .size:           1
        .value_kind:     by_value
    .group_segment_fixed_size: 0
    .kernarg_segment_align: 8
    .kernarg_segment_size: 96
    .language:       OpenCL C
    .language_version:
      - 2
      - 0
    .max_flat_workgroup_size: 128
    .name:           _ZN9rocsparseL18bsrxmvn_4x4_kernelILj128ELj8EfliDF16_DF16_fEEvT3_20rocsparse_direction_NS_24const_host_device_scalarIT1_EES1_PKS1_PKT2_SA_S7_PKT4_PKT5_S5_PT6_21rocsparse_index_base_b
    .private_segment_fixed_size: 0
    .sgpr_count:     30
    .sgpr_spill_count: 0
    .symbol:         _ZN9rocsparseL18bsrxmvn_4x4_kernelILj128ELj8EfliDF16_DF16_fEEvT3_20rocsparse_direction_NS_24const_host_device_scalarIT1_EES1_PKS1_PKT2_SA_S7_PKT4_PKT5_S5_PT6_21rocsparse_index_base_b.kd
    .uniform_work_group_size: 1
    .uses_dynamic_stack: false
    .vgpr_count:     102
    .vgpr_spill_count: 0
    .wavefront_size: 64
  - .agpr_count:     0
    .args:
      - .offset:         0
        .size:           4
        .value_kind:     by_value
      - .offset:         4
        .size:           4
        .value_kind:     by_value
      - .offset:         8
        .size:           8
        .value_kind:     by_value
      - .offset:         16
        .size:           4
        .value_kind:     by_value
      - .actual_access:  read_only
        .address_space:  global
        .offset:         24
        .size:           8
        .value_kind:     global_buffer
      - .actual_access:  read_only
        .address_space:  global
        .offset:         32
        .size:           8
        .value_kind:     global_buffer
      - .actual_access:  read_only
        .address_space:  global
        .offset:         40
        .size:           8
        .value_kind:     global_buffer
      - .actual_access:  read_only
        .address_space:  global
        .offset:         48
        .size:           8
        .value_kind:     global_buffer
      - .actual_access:  read_only
        .address_space:  global
        .offset:         56
        .size:           8
        .value_kind:     global_buffer
      - .actual_access:  read_only
        .address_space:  global
        .offset:         64
        .size:           8
        .value_kind:     global_buffer
      - .offset:         72
        .size:           8
        .value_kind:     by_value
      - .address_space:  global
        .offset:         80
        .size:           8
        .value_kind:     global_buffer
      - .offset:         88
        .size:           4
        .value_kind:     by_value
      - .offset:         92
        .size:           1
        .value_kind:     by_value
    .group_segment_fixed_size: 0
    .kernarg_segment_align: 8
    .kernarg_segment_size: 96
    .language:       OpenCL C
    .language_version:
      - 2
      - 0
    .max_flat_workgroup_size: 128
    .name:           _ZN9rocsparseL18bsrxmvn_4x4_kernelILj128ELj16EfliDF16_DF16_fEEvT3_20rocsparse_direction_NS_24const_host_device_scalarIT1_EES1_PKS1_PKT2_SA_S7_PKT4_PKT5_S5_PT6_21rocsparse_index_base_b
    .private_segment_fixed_size: 0
    .sgpr_count:     30
    .sgpr_spill_count: 0
    .symbol:         _ZN9rocsparseL18bsrxmvn_4x4_kernelILj128ELj16EfliDF16_DF16_fEEvT3_20rocsparse_direction_NS_24const_host_device_scalarIT1_EES1_PKS1_PKT2_SA_S7_PKT4_PKT5_S5_PT6_21rocsparse_index_base_b.kd
    .uniform_work_group_size: 1
    .uses_dynamic_stack: false
    .vgpr_count:     102
    .vgpr_spill_count: 0
    .wavefront_size: 64
  - .agpr_count:     0
    .args:
      - .offset:         0
        .size:           4
        .value_kind:     by_value
      - .offset:         4
        .size:           4
        .value_kind:     by_value
      - .offset:         8
        .size:           8
        .value_kind:     by_value
      - .offset:         16
        .size:           4
        .value_kind:     by_value
      - .actual_access:  read_only
        .address_space:  global
        .offset:         24
        .size:           8
        .value_kind:     global_buffer
      - .actual_access:  read_only
        .address_space:  global
        .offset:         32
        .size:           8
        .value_kind:     global_buffer
      - .actual_access:  read_only
        .address_space:  global
        .offset:         40
        .size:           8
        .value_kind:     global_buffer
      - .actual_access:  read_only
        .address_space:  global
        .offset:         48
        .size:           8
        .value_kind:     global_buffer
      - .actual_access:  read_only
        .address_space:  global
        .offset:         56
        .size:           8
        .value_kind:     global_buffer
      - .actual_access:  read_only
        .address_space:  global
        .offset:         64
        .size:           8
        .value_kind:     global_buffer
      - .offset:         72
        .size:           8
        .value_kind:     by_value
      - .address_space:  global
        .offset:         80
        .size:           8
        .value_kind:     global_buffer
      - .offset:         88
        .size:           4
        .value_kind:     by_value
      - .offset:         92
        .size:           1
        .value_kind:     by_value
    .group_segment_fixed_size: 0
    .kernarg_segment_align: 8
    .kernarg_segment_size: 96
    .language:       OpenCL C
    .language_version:
      - 2
      - 0
    .max_flat_workgroup_size: 128
    .name:           _ZN9rocsparseL18bsrxmvn_4x4_kernelILj128ELj32EfliDF16_DF16_fEEvT3_20rocsparse_direction_NS_24const_host_device_scalarIT1_EES1_PKS1_PKT2_SA_S7_PKT4_PKT5_S5_PT6_21rocsparse_index_base_b
    .private_segment_fixed_size: 0
    .sgpr_count:     32
    .sgpr_spill_count: 0
    .symbol:         _ZN9rocsparseL18bsrxmvn_4x4_kernelILj128ELj32EfliDF16_DF16_fEEvT3_20rocsparse_direction_NS_24const_host_device_scalarIT1_EES1_PKS1_PKT2_SA_S7_PKT4_PKT5_S5_PT6_21rocsparse_index_base_b.kd
    .uniform_work_group_size: 1
    .uses_dynamic_stack: false
    .vgpr_count:     102
    .vgpr_spill_count: 0
    .wavefront_size: 64
  - .agpr_count:     0
    .args:
      - .offset:         0
        .size:           4
        .value_kind:     by_value
      - .offset:         4
        .size:           4
        .value_kind:     by_value
      - .offset:         8
        .size:           8
        .value_kind:     by_value
      - .offset:         16
        .size:           4
        .value_kind:     by_value
      - .actual_access:  read_only
        .address_space:  global
        .offset:         24
        .size:           8
        .value_kind:     global_buffer
      - .actual_access:  read_only
        .address_space:  global
        .offset:         32
        .size:           8
        .value_kind:     global_buffer
      - .actual_access:  read_only
        .address_space:  global
        .offset:         40
        .size:           8
        .value_kind:     global_buffer
      - .actual_access:  read_only
        .address_space:  global
        .offset:         48
        .size:           8
        .value_kind:     global_buffer
      - .actual_access:  read_only
        .address_space:  global
        .offset:         56
        .size:           8
        .value_kind:     global_buffer
      - .actual_access:  read_only
        .address_space:  global
        .offset:         64
        .size:           8
        .value_kind:     global_buffer
      - .offset:         72
        .size:           8
        .value_kind:     by_value
      - .address_space:  global
        .offset:         80
        .size:           8
        .value_kind:     global_buffer
      - .offset:         88
        .size:           4
        .value_kind:     by_value
      - .offset:         92
        .size:           1
        .value_kind:     by_value
    .group_segment_fixed_size: 0
    .kernarg_segment_align: 8
    .kernarg_segment_size: 96
    .language:       OpenCL C
    .language_version:
      - 2
      - 0
    .max_flat_workgroup_size: 128
    .name:           _ZN9rocsparseL18bsrxmvn_4x4_kernelILj128ELj64EfliDF16_DF16_fEEvT3_20rocsparse_direction_NS_24const_host_device_scalarIT1_EES1_PKS1_PKT2_SA_S7_PKT4_PKT5_S5_PT6_21rocsparse_index_base_b
    .private_segment_fixed_size: 0
    .sgpr_count:     32
    .sgpr_spill_count: 0
    .symbol:         _ZN9rocsparseL18bsrxmvn_4x4_kernelILj128ELj64EfliDF16_DF16_fEEvT3_20rocsparse_direction_NS_24const_host_device_scalarIT1_EES1_PKS1_PKT2_SA_S7_PKT4_PKT5_S5_PT6_21rocsparse_index_base_b.kd
    .uniform_work_group_size: 1
    .uses_dynamic_stack: false
    .vgpr_count:     102
    .vgpr_spill_count: 0
    .wavefront_size: 64
  - .agpr_count:     0
    .args:
      - .offset:         0
        .size:           8
        .value_kind:     by_value
      - .offset:         8
        .size:           4
        .value_kind:     by_value
      - .offset:         16
        .size:           8
        .value_kind:     by_value
      - .offset:         24
        .size:           8
        .value_kind:     by_value
      - .actual_access:  read_only
        .address_space:  global
        .offset:         32
        .size:           8
        .value_kind:     global_buffer
      - .actual_access:  read_only
        .address_space:  global
        .offset:         40
        .size:           8
        .value_kind:     global_buffer
      - .actual_access:  read_only
        .address_space:  global
        .offset:         48
        .size:           8
        .value_kind:     global_buffer
      - .actual_access:  read_only
        .address_space:  global
        .offset:         56
        .size:           8
        .value_kind:     global_buffer
      - .actual_access:  read_only
        .address_space:  global
        .offset:         64
        .size:           8
        .value_kind:     global_buffer
      - .actual_access:  read_only
        .address_space:  global
        .offset:         72
        .size:           8
        .value_kind:     global_buffer
      - .offset:         80
        .size:           8
        .value_kind:     by_value
      - .address_space:  global
        .offset:         88
        .size:           8
        .value_kind:     global_buffer
      - .offset:         96
        .size:           4
        .value_kind:     by_value
      - .offset:         100
        .size:           1
        .value_kind:     by_value
    .group_segment_fixed_size: 0
    .kernarg_segment_align: 8
    .kernarg_segment_size: 104
    .language:       OpenCL C
    .language_version:
      - 2
      - 0
    .max_flat_workgroup_size: 128
    .name:           _ZN9rocsparseL18bsrxmvn_4x4_kernelILj128ELj4EfllDF16_DF16_fEEvT3_20rocsparse_direction_NS_24const_host_device_scalarIT1_EES1_PKS1_PKT2_SA_S7_PKT4_PKT5_S5_PT6_21rocsparse_index_base_b
    .private_segment_fixed_size: 0
    .sgpr_count:     28
    .sgpr_spill_count: 0
    .symbol:         _ZN9rocsparseL18bsrxmvn_4x4_kernelILj128ELj4EfllDF16_DF16_fEEvT3_20rocsparse_direction_NS_24const_host_device_scalarIT1_EES1_PKS1_PKT2_SA_S7_PKT4_PKT5_S5_PT6_21rocsparse_index_base_b.kd
    .uniform_work_group_size: 1
    .uses_dynamic_stack: false
    .vgpr_count:     102
    .vgpr_spill_count: 0
    .wavefront_size: 64
  - .agpr_count:     0
    .args:
      - .offset:         0
        .size:           8
        .value_kind:     by_value
      - .offset:         8
        .size:           4
        .value_kind:     by_value
      - .offset:         16
        .size:           8
        .value_kind:     by_value
      - .offset:         24
        .size:           8
        .value_kind:     by_value
      - .actual_access:  read_only
        .address_space:  global
        .offset:         32
        .size:           8
        .value_kind:     global_buffer
      - .actual_access:  read_only
        .address_space:  global
        .offset:         40
        .size:           8
        .value_kind:     global_buffer
      - .actual_access:  read_only
        .address_space:  global
        .offset:         48
        .size:           8
        .value_kind:     global_buffer
      - .actual_access:  read_only
        .address_space:  global
        .offset:         56
        .size:           8
        .value_kind:     global_buffer
      - .actual_access:  read_only
        .address_space:  global
        .offset:         64
        .size:           8
        .value_kind:     global_buffer
      - .actual_access:  read_only
        .address_space:  global
        .offset:         72
        .size:           8
        .value_kind:     global_buffer
      - .offset:         80
        .size:           8
        .value_kind:     by_value
      - .address_space:  global
        .offset:         88
        .size:           8
        .value_kind:     global_buffer
      - .offset:         96
        .size:           4
        .value_kind:     by_value
      - .offset:         100
        .size:           1
        .value_kind:     by_value
    .group_segment_fixed_size: 0
    .kernarg_segment_align: 8
    .kernarg_segment_size: 104
    .language:       OpenCL C
    .language_version:
      - 2
      - 0
    .max_flat_workgroup_size: 128
    .name:           _ZN9rocsparseL18bsrxmvn_4x4_kernelILj128ELj8EfllDF16_DF16_fEEvT3_20rocsparse_direction_NS_24const_host_device_scalarIT1_EES1_PKS1_PKT2_SA_S7_PKT4_PKT5_S5_PT6_21rocsparse_index_base_b
    .private_segment_fixed_size: 0
    .sgpr_count:     28
    .sgpr_spill_count: 0
    .symbol:         _ZN9rocsparseL18bsrxmvn_4x4_kernelILj128ELj8EfllDF16_DF16_fEEvT3_20rocsparse_direction_NS_24const_host_device_scalarIT1_EES1_PKS1_PKT2_SA_S7_PKT4_PKT5_S5_PT6_21rocsparse_index_base_b.kd
    .uniform_work_group_size: 1
    .uses_dynamic_stack: false
    .vgpr_count:     102
    .vgpr_spill_count: 0
    .wavefront_size: 64
  - .agpr_count:     0
    .args:
      - .offset:         0
        .size:           8
        .value_kind:     by_value
      - .offset:         8
        .size:           4
        .value_kind:     by_value
      - .offset:         16
        .size:           8
        .value_kind:     by_value
      - .offset:         24
        .size:           8
        .value_kind:     by_value
      - .actual_access:  read_only
        .address_space:  global
        .offset:         32
        .size:           8
        .value_kind:     global_buffer
      - .actual_access:  read_only
        .address_space:  global
        .offset:         40
        .size:           8
        .value_kind:     global_buffer
      - .actual_access:  read_only
        .address_space:  global
        .offset:         48
        .size:           8
        .value_kind:     global_buffer
      - .actual_access:  read_only
        .address_space:  global
        .offset:         56
        .size:           8
        .value_kind:     global_buffer
      - .actual_access:  read_only
        .address_space:  global
        .offset:         64
        .size:           8
        .value_kind:     global_buffer
      - .actual_access:  read_only
        .address_space:  global
        .offset:         72
        .size:           8
        .value_kind:     global_buffer
      - .offset:         80
        .size:           8
        .value_kind:     by_value
      - .address_space:  global
        .offset:         88
        .size:           8
        .value_kind:     global_buffer
      - .offset:         96
        .size:           4
        .value_kind:     by_value
      - .offset:         100
        .size:           1
        .value_kind:     by_value
    .group_segment_fixed_size: 0
    .kernarg_segment_align: 8
    .kernarg_segment_size: 104
    .language:       OpenCL C
    .language_version:
      - 2
      - 0
    .max_flat_workgroup_size: 128
    .name:           _ZN9rocsparseL18bsrxmvn_4x4_kernelILj128ELj16EfllDF16_DF16_fEEvT3_20rocsparse_direction_NS_24const_host_device_scalarIT1_EES1_PKS1_PKT2_SA_S7_PKT4_PKT5_S5_PT6_21rocsparse_index_base_b
    .private_segment_fixed_size: 0
    .sgpr_count:     28
    .sgpr_spill_count: 0
    .symbol:         _ZN9rocsparseL18bsrxmvn_4x4_kernelILj128ELj16EfllDF16_DF16_fEEvT3_20rocsparse_direction_NS_24const_host_device_scalarIT1_EES1_PKS1_PKT2_SA_S7_PKT4_PKT5_S5_PT6_21rocsparse_index_base_b.kd
    .uniform_work_group_size: 1
    .uses_dynamic_stack: false
    .vgpr_count:     102
    .vgpr_spill_count: 0
    .wavefront_size: 64
  - .agpr_count:     0
    .args:
      - .offset:         0
        .size:           8
        .value_kind:     by_value
      - .offset:         8
        .size:           4
        .value_kind:     by_value
      - .offset:         16
        .size:           8
        .value_kind:     by_value
      - .offset:         24
        .size:           8
        .value_kind:     by_value
      - .actual_access:  read_only
        .address_space:  global
        .offset:         32
        .size:           8
        .value_kind:     global_buffer
      - .actual_access:  read_only
        .address_space:  global
        .offset:         40
        .size:           8
        .value_kind:     global_buffer
      - .actual_access:  read_only
        .address_space:  global
        .offset:         48
        .size:           8
        .value_kind:     global_buffer
      - .actual_access:  read_only
        .address_space:  global
        .offset:         56
        .size:           8
        .value_kind:     global_buffer
      - .actual_access:  read_only
        .address_space:  global
        .offset:         64
        .size:           8
        .value_kind:     global_buffer
      - .actual_access:  read_only
        .address_space:  global
        .offset:         72
        .size:           8
        .value_kind:     global_buffer
      - .offset:         80
        .size:           8
        .value_kind:     by_value
      - .address_space:  global
        .offset:         88
        .size:           8
        .value_kind:     global_buffer
      - .offset:         96
        .size:           4
        .value_kind:     by_value
      - .offset:         100
        .size:           1
        .value_kind:     by_value
    .group_segment_fixed_size: 0
    .kernarg_segment_align: 8
    .kernarg_segment_size: 104
    .language:       OpenCL C
    .language_version:
      - 2
      - 0
    .max_flat_workgroup_size: 128
    .name:           _ZN9rocsparseL18bsrxmvn_4x4_kernelILj128ELj32EfllDF16_DF16_fEEvT3_20rocsparse_direction_NS_24const_host_device_scalarIT1_EES1_PKS1_PKT2_SA_S7_PKT4_PKT5_S5_PT6_21rocsparse_index_base_b
    .private_segment_fixed_size: 0
    .sgpr_count:     30
    .sgpr_spill_count: 0
    .symbol:         _ZN9rocsparseL18bsrxmvn_4x4_kernelILj128ELj32EfllDF16_DF16_fEEvT3_20rocsparse_direction_NS_24const_host_device_scalarIT1_EES1_PKS1_PKT2_SA_S7_PKT4_PKT5_S5_PT6_21rocsparse_index_base_b.kd
    .uniform_work_group_size: 1
    .uses_dynamic_stack: false
    .vgpr_count:     102
    .vgpr_spill_count: 0
    .wavefront_size: 64
  - .agpr_count:     0
    .args:
      - .offset:         0
        .size:           8
        .value_kind:     by_value
      - .offset:         8
        .size:           4
        .value_kind:     by_value
      - .offset:         16
        .size:           8
        .value_kind:     by_value
      - .offset:         24
        .size:           8
        .value_kind:     by_value
      - .actual_access:  read_only
        .address_space:  global
        .offset:         32
        .size:           8
        .value_kind:     global_buffer
      - .actual_access:  read_only
        .address_space:  global
        .offset:         40
        .size:           8
        .value_kind:     global_buffer
      - .actual_access:  read_only
        .address_space:  global
        .offset:         48
        .size:           8
        .value_kind:     global_buffer
      - .actual_access:  read_only
        .address_space:  global
        .offset:         56
        .size:           8
        .value_kind:     global_buffer
      - .actual_access:  read_only
        .address_space:  global
        .offset:         64
        .size:           8
        .value_kind:     global_buffer
      - .actual_access:  read_only
        .address_space:  global
        .offset:         72
        .size:           8
        .value_kind:     global_buffer
      - .offset:         80
        .size:           8
        .value_kind:     by_value
      - .address_space:  global
        .offset:         88
        .size:           8
        .value_kind:     global_buffer
      - .offset:         96
        .size:           4
        .value_kind:     by_value
      - .offset:         100
        .size:           1
        .value_kind:     by_value
    .group_segment_fixed_size: 0
    .kernarg_segment_align: 8
    .kernarg_segment_size: 104
    .language:       OpenCL C
    .language_version:
      - 2
      - 0
    .max_flat_workgroup_size: 128
    .name:           _ZN9rocsparseL18bsrxmvn_4x4_kernelILj128ELj64EfllDF16_DF16_fEEvT3_20rocsparse_direction_NS_24const_host_device_scalarIT1_EES1_PKS1_PKT2_SA_S7_PKT4_PKT5_S5_PT6_21rocsparse_index_base_b
    .private_segment_fixed_size: 0
    .sgpr_count:     30
    .sgpr_spill_count: 0
    .symbol:         _ZN9rocsparseL18bsrxmvn_4x4_kernelILj128ELj64EfllDF16_DF16_fEEvT3_20rocsparse_direction_NS_24const_host_device_scalarIT1_EES1_PKS1_PKT2_SA_S7_PKT4_PKT5_S5_PT6_21rocsparse_index_base_b.kd
    .uniform_work_group_size: 1
    .uses_dynamic_stack: false
    .vgpr_count:     102
    .vgpr_spill_count: 0
    .wavefront_size: 64
  - .agpr_count:     0
    .args:
      - .offset:         0
        .size:           4
        .value_kind:     by_value
      - .offset:         4
        .size:           4
        .value_kind:     by_value
      - .offset:         8
        .size:           8
        .value_kind:     by_value
      - .offset:         16
        .size:           4
        .value_kind:     by_value
      - .actual_access:  read_only
        .address_space:  global
        .offset:         24
        .size:           8
        .value_kind:     global_buffer
      - .actual_access:  read_only
        .address_space:  global
        .offset:         32
        .size:           8
        .value_kind:     global_buffer
      - .actual_access:  read_only
        .address_space:  global
        .offset:         40
        .size:           8
        .value_kind:     global_buffer
      - .actual_access:  read_only
        .address_space:  global
        .offset:         48
        .size:           8
        .value_kind:     global_buffer
      - .actual_access:  read_only
        .address_space:  global
        .offset:         56
        .size:           8
        .value_kind:     global_buffer
      - .actual_access:  read_only
        .address_space:  global
        .offset:         64
        .size:           8
        .value_kind:     global_buffer
      - .offset:         72
        .size:           8
        .value_kind:     by_value
      - .address_space:  global
        .offset:         80
        .size:           8
        .value_kind:     global_buffer
      - .offset:         88
        .size:           4
        .value_kind:     by_value
      - .offset:         92
        .size:           1
        .value_kind:     by_value
    .group_segment_fixed_size: 0
    .kernarg_segment_align: 8
    .kernarg_segment_size: 96
    .language:       OpenCL C
    .language_version:
      - 2
      - 0
    .max_flat_workgroup_size: 128
    .name:           _ZN9rocsparseL18bsrxmvn_4x4_kernelILj128ELj4Efii18rocsparse_bfloat16S1_fEEvT3_20rocsparse_direction_NS_24const_host_device_scalarIT1_EES2_PKS2_PKT2_SB_S8_PKT4_PKT5_S6_PT6_21rocsparse_index_base_b
    .private_segment_fixed_size: 0
    .sgpr_count:     28
    .sgpr_spill_count: 0
    .symbol:         _ZN9rocsparseL18bsrxmvn_4x4_kernelILj128ELj4Efii18rocsparse_bfloat16S1_fEEvT3_20rocsparse_direction_NS_24const_host_device_scalarIT1_EES2_PKS2_PKT2_SB_S8_PKT4_PKT5_S6_PT6_21rocsparse_index_base_b.kd
    .uniform_work_group_size: 1
    .uses_dynamic_stack: false
    .vgpr_count:     100
    .vgpr_spill_count: 0
    .wavefront_size: 64
  - .agpr_count:     0
    .args:
      - .offset:         0
        .size:           4
        .value_kind:     by_value
      - .offset:         4
        .size:           4
        .value_kind:     by_value
      - .offset:         8
        .size:           8
        .value_kind:     by_value
      - .offset:         16
        .size:           4
        .value_kind:     by_value
      - .actual_access:  read_only
        .address_space:  global
        .offset:         24
        .size:           8
        .value_kind:     global_buffer
      - .actual_access:  read_only
        .address_space:  global
        .offset:         32
        .size:           8
        .value_kind:     global_buffer
      - .actual_access:  read_only
        .address_space:  global
        .offset:         40
        .size:           8
        .value_kind:     global_buffer
      - .actual_access:  read_only
        .address_space:  global
        .offset:         48
        .size:           8
        .value_kind:     global_buffer
      - .actual_access:  read_only
        .address_space:  global
        .offset:         56
        .size:           8
        .value_kind:     global_buffer
      - .actual_access:  read_only
        .address_space:  global
        .offset:         64
        .size:           8
        .value_kind:     global_buffer
      - .offset:         72
        .size:           8
        .value_kind:     by_value
      - .address_space:  global
        .offset:         80
        .size:           8
        .value_kind:     global_buffer
      - .offset:         88
        .size:           4
        .value_kind:     by_value
      - .offset:         92
        .size:           1
        .value_kind:     by_value
    .group_segment_fixed_size: 0
    .kernarg_segment_align: 8
    .kernarg_segment_size: 96
    .language:       OpenCL C
    .language_version:
      - 2
      - 0
    .max_flat_workgroup_size: 128
    .name:           _ZN9rocsparseL18bsrxmvn_4x4_kernelILj128ELj8Efii18rocsparse_bfloat16S1_fEEvT3_20rocsparse_direction_NS_24const_host_device_scalarIT1_EES2_PKS2_PKT2_SB_S8_PKT4_PKT5_S6_PT6_21rocsparse_index_base_b
    .private_segment_fixed_size: 0
    .sgpr_count:     28
    .sgpr_spill_count: 0
    .symbol:         _ZN9rocsparseL18bsrxmvn_4x4_kernelILj128ELj8Efii18rocsparse_bfloat16S1_fEEvT3_20rocsparse_direction_NS_24const_host_device_scalarIT1_EES2_PKS2_PKT2_SB_S8_PKT4_PKT5_S6_PT6_21rocsparse_index_base_b.kd
    .uniform_work_group_size: 1
    .uses_dynamic_stack: false
    .vgpr_count:     100
    .vgpr_spill_count: 0
    .wavefront_size: 64
  - .agpr_count:     0
    .args:
      - .offset:         0
        .size:           4
        .value_kind:     by_value
      - .offset:         4
        .size:           4
        .value_kind:     by_value
      - .offset:         8
        .size:           8
        .value_kind:     by_value
      - .offset:         16
        .size:           4
        .value_kind:     by_value
      - .actual_access:  read_only
        .address_space:  global
        .offset:         24
        .size:           8
        .value_kind:     global_buffer
      - .actual_access:  read_only
        .address_space:  global
        .offset:         32
        .size:           8
        .value_kind:     global_buffer
      - .actual_access:  read_only
        .address_space:  global
        .offset:         40
        .size:           8
        .value_kind:     global_buffer
      - .actual_access:  read_only
        .address_space:  global
        .offset:         48
        .size:           8
        .value_kind:     global_buffer
      - .actual_access:  read_only
        .address_space:  global
        .offset:         56
        .size:           8
        .value_kind:     global_buffer
      - .actual_access:  read_only
        .address_space:  global
        .offset:         64
        .size:           8
        .value_kind:     global_buffer
      - .offset:         72
        .size:           8
        .value_kind:     by_value
      - .address_space:  global
        .offset:         80
        .size:           8
        .value_kind:     global_buffer
      - .offset:         88
        .size:           4
        .value_kind:     by_value
      - .offset:         92
        .size:           1
        .value_kind:     by_value
    .group_segment_fixed_size: 0
    .kernarg_segment_align: 8
    .kernarg_segment_size: 96
    .language:       OpenCL C
    .language_version:
      - 2
      - 0
    .max_flat_workgroup_size: 128
    .name:           _ZN9rocsparseL18bsrxmvn_4x4_kernelILj128ELj16Efii18rocsparse_bfloat16S1_fEEvT3_20rocsparse_direction_NS_24const_host_device_scalarIT1_EES2_PKS2_PKT2_SB_S8_PKT4_PKT5_S6_PT6_21rocsparse_index_base_b
    .private_segment_fixed_size: 0
    .sgpr_count:     28
    .sgpr_spill_count: 0
    .symbol:         _ZN9rocsparseL18bsrxmvn_4x4_kernelILj128ELj16Efii18rocsparse_bfloat16S1_fEEvT3_20rocsparse_direction_NS_24const_host_device_scalarIT1_EES2_PKS2_PKT2_SB_S8_PKT4_PKT5_S6_PT6_21rocsparse_index_base_b.kd
    .uniform_work_group_size: 1
    .uses_dynamic_stack: false
    .vgpr_count:     100
    .vgpr_spill_count: 0
    .wavefront_size: 64
  - .agpr_count:     0
    .args:
      - .offset:         0
        .size:           4
        .value_kind:     by_value
      - .offset:         4
        .size:           4
        .value_kind:     by_value
      - .offset:         8
        .size:           8
        .value_kind:     by_value
      - .offset:         16
        .size:           4
        .value_kind:     by_value
      - .actual_access:  read_only
        .address_space:  global
        .offset:         24
        .size:           8
        .value_kind:     global_buffer
      - .actual_access:  read_only
        .address_space:  global
        .offset:         32
        .size:           8
        .value_kind:     global_buffer
      - .actual_access:  read_only
        .address_space:  global
        .offset:         40
        .size:           8
        .value_kind:     global_buffer
      - .actual_access:  read_only
        .address_space:  global
        .offset:         48
        .size:           8
        .value_kind:     global_buffer
      - .actual_access:  read_only
        .address_space:  global
        .offset:         56
        .size:           8
        .value_kind:     global_buffer
      - .actual_access:  read_only
        .address_space:  global
        .offset:         64
        .size:           8
        .value_kind:     global_buffer
      - .offset:         72
        .size:           8
        .value_kind:     by_value
      - .address_space:  global
        .offset:         80
        .size:           8
        .value_kind:     global_buffer
      - .offset:         88
        .size:           4
        .value_kind:     by_value
      - .offset:         92
        .size:           1
        .value_kind:     by_value
    .group_segment_fixed_size: 0
    .kernarg_segment_align: 8
    .kernarg_segment_size: 96
    .language:       OpenCL C
    .language_version:
      - 2
      - 0
    .max_flat_workgroup_size: 128
    .name:           _ZN9rocsparseL18bsrxmvn_4x4_kernelILj128ELj32Efii18rocsparse_bfloat16S1_fEEvT3_20rocsparse_direction_NS_24const_host_device_scalarIT1_EES2_PKS2_PKT2_SB_S8_PKT4_PKT5_S6_PT6_21rocsparse_index_base_b
    .private_segment_fixed_size: 0
    .sgpr_count:     28
    .sgpr_spill_count: 0
    .symbol:         _ZN9rocsparseL18bsrxmvn_4x4_kernelILj128ELj32Efii18rocsparse_bfloat16S1_fEEvT3_20rocsparse_direction_NS_24const_host_device_scalarIT1_EES2_PKS2_PKT2_SB_S8_PKT4_PKT5_S6_PT6_21rocsparse_index_base_b.kd
    .uniform_work_group_size: 1
    .uses_dynamic_stack: false
    .vgpr_count:     100
    .vgpr_spill_count: 0
    .wavefront_size: 64
  - .agpr_count:     0
    .args:
      - .offset:         0
        .size:           4
        .value_kind:     by_value
      - .offset:         4
        .size:           4
        .value_kind:     by_value
      - .offset:         8
        .size:           8
        .value_kind:     by_value
      - .offset:         16
        .size:           4
        .value_kind:     by_value
      - .actual_access:  read_only
        .address_space:  global
        .offset:         24
        .size:           8
        .value_kind:     global_buffer
      - .actual_access:  read_only
        .address_space:  global
        .offset:         32
        .size:           8
        .value_kind:     global_buffer
      - .actual_access:  read_only
        .address_space:  global
        .offset:         40
        .size:           8
        .value_kind:     global_buffer
      - .actual_access:  read_only
        .address_space:  global
        .offset:         48
        .size:           8
        .value_kind:     global_buffer
      - .actual_access:  read_only
        .address_space:  global
        .offset:         56
        .size:           8
        .value_kind:     global_buffer
      - .actual_access:  read_only
        .address_space:  global
        .offset:         64
        .size:           8
        .value_kind:     global_buffer
      - .offset:         72
        .size:           8
        .value_kind:     by_value
      - .address_space:  global
        .offset:         80
        .size:           8
        .value_kind:     global_buffer
      - .offset:         88
        .size:           4
        .value_kind:     by_value
      - .offset:         92
        .size:           1
        .value_kind:     by_value
    .group_segment_fixed_size: 0
    .kernarg_segment_align: 8
    .kernarg_segment_size: 96
    .language:       OpenCL C
    .language_version:
      - 2
      - 0
    .max_flat_workgroup_size: 128
    .name:           _ZN9rocsparseL18bsrxmvn_4x4_kernelILj128ELj64Efii18rocsparse_bfloat16S1_fEEvT3_20rocsparse_direction_NS_24const_host_device_scalarIT1_EES2_PKS2_PKT2_SB_S8_PKT4_PKT5_S6_PT6_21rocsparse_index_base_b
    .private_segment_fixed_size: 0
    .sgpr_count:     28
    .sgpr_spill_count: 0
    .symbol:         _ZN9rocsparseL18bsrxmvn_4x4_kernelILj128ELj64Efii18rocsparse_bfloat16S1_fEEvT3_20rocsparse_direction_NS_24const_host_device_scalarIT1_EES2_PKS2_PKT2_SB_S8_PKT4_PKT5_S6_PT6_21rocsparse_index_base_b.kd
    .uniform_work_group_size: 1
    .uses_dynamic_stack: false
    .vgpr_count:     100
    .vgpr_spill_count: 0
    .wavefront_size: 64
  - .agpr_count:     0
    .args:
      - .offset:         0
        .size:           4
        .value_kind:     by_value
      - .offset:         4
        .size:           4
        .value_kind:     by_value
      - .offset:         8
        .size:           8
        .value_kind:     by_value
      - .offset:         16
        .size:           4
        .value_kind:     by_value
      - .actual_access:  read_only
        .address_space:  global
        .offset:         24
        .size:           8
        .value_kind:     global_buffer
      - .actual_access:  read_only
        .address_space:  global
        .offset:         32
        .size:           8
        .value_kind:     global_buffer
      - .actual_access:  read_only
        .address_space:  global
        .offset:         40
        .size:           8
        .value_kind:     global_buffer
      - .actual_access:  read_only
        .address_space:  global
        .offset:         48
        .size:           8
        .value_kind:     global_buffer
      - .actual_access:  read_only
        .address_space:  global
        .offset:         56
        .size:           8
        .value_kind:     global_buffer
      - .actual_access:  read_only
        .address_space:  global
        .offset:         64
        .size:           8
        .value_kind:     global_buffer
      - .offset:         72
        .size:           8
        .value_kind:     by_value
      - .address_space:  global
        .offset:         80
        .size:           8
        .value_kind:     global_buffer
      - .offset:         88
        .size:           4
        .value_kind:     by_value
      - .offset:         92
        .size:           1
        .value_kind:     by_value
    .group_segment_fixed_size: 0
    .kernarg_segment_align: 8
    .kernarg_segment_size: 96
    .language:       OpenCL C
    .language_version:
      - 2
      - 0
    .max_flat_workgroup_size: 128
    .name:           _ZN9rocsparseL18bsrxmvn_4x4_kernelILj128ELj4Efli18rocsparse_bfloat16S1_fEEvT3_20rocsparse_direction_NS_24const_host_device_scalarIT1_EES2_PKS2_PKT2_SB_S8_PKT4_PKT5_S6_PT6_21rocsparse_index_base_b
    .private_segment_fixed_size: 0
    .sgpr_count:     28
    .sgpr_spill_count: 0
    .symbol:         _ZN9rocsparseL18bsrxmvn_4x4_kernelILj128ELj4Efli18rocsparse_bfloat16S1_fEEvT3_20rocsparse_direction_NS_24const_host_device_scalarIT1_EES2_PKS2_PKT2_SB_S8_PKT4_PKT5_S6_PT6_21rocsparse_index_base_b.kd
    .uniform_work_group_size: 1
    .uses_dynamic_stack: false
    .vgpr_count:     102
    .vgpr_spill_count: 0
    .wavefront_size: 64
  - .agpr_count:     0
    .args:
      - .offset:         0
        .size:           4
        .value_kind:     by_value
      - .offset:         4
        .size:           4
        .value_kind:     by_value
      - .offset:         8
        .size:           8
        .value_kind:     by_value
      - .offset:         16
        .size:           4
        .value_kind:     by_value
      - .actual_access:  read_only
        .address_space:  global
        .offset:         24
        .size:           8
        .value_kind:     global_buffer
      - .actual_access:  read_only
        .address_space:  global
        .offset:         32
        .size:           8
        .value_kind:     global_buffer
      - .actual_access:  read_only
        .address_space:  global
        .offset:         40
        .size:           8
        .value_kind:     global_buffer
      - .actual_access:  read_only
        .address_space:  global
        .offset:         48
        .size:           8
        .value_kind:     global_buffer
      - .actual_access:  read_only
        .address_space:  global
        .offset:         56
        .size:           8
        .value_kind:     global_buffer
      - .actual_access:  read_only
        .address_space:  global
        .offset:         64
        .size:           8
        .value_kind:     global_buffer
      - .offset:         72
        .size:           8
        .value_kind:     by_value
      - .address_space:  global
        .offset:         80
        .size:           8
        .value_kind:     global_buffer
      - .offset:         88
        .size:           4
        .value_kind:     by_value
      - .offset:         92
        .size:           1
        .value_kind:     by_value
    .group_segment_fixed_size: 0
    .kernarg_segment_align: 8
    .kernarg_segment_size: 96
    .language:       OpenCL C
    .language_version:
      - 2
      - 0
    .max_flat_workgroup_size: 128
    .name:           _ZN9rocsparseL18bsrxmvn_4x4_kernelILj128ELj8Efli18rocsparse_bfloat16S1_fEEvT3_20rocsparse_direction_NS_24const_host_device_scalarIT1_EES2_PKS2_PKT2_SB_S8_PKT4_PKT5_S6_PT6_21rocsparse_index_base_b
    .private_segment_fixed_size: 0
    .sgpr_count:     30
    .sgpr_spill_count: 0
    .symbol:         _ZN9rocsparseL18bsrxmvn_4x4_kernelILj128ELj8Efli18rocsparse_bfloat16S1_fEEvT3_20rocsparse_direction_NS_24const_host_device_scalarIT1_EES2_PKS2_PKT2_SB_S8_PKT4_PKT5_S6_PT6_21rocsparse_index_base_b.kd
    .uniform_work_group_size: 1
    .uses_dynamic_stack: false
    .vgpr_count:     102
    .vgpr_spill_count: 0
    .wavefront_size: 64
  - .agpr_count:     0
    .args:
      - .offset:         0
        .size:           4
        .value_kind:     by_value
      - .offset:         4
        .size:           4
        .value_kind:     by_value
      - .offset:         8
        .size:           8
        .value_kind:     by_value
      - .offset:         16
        .size:           4
        .value_kind:     by_value
      - .actual_access:  read_only
        .address_space:  global
        .offset:         24
        .size:           8
        .value_kind:     global_buffer
      - .actual_access:  read_only
        .address_space:  global
        .offset:         32
        .size:           8
        .value_kind:     global_buffer
      - .actual_access:  read_only
        .address_space:  global
        .offset:         40
        .size:           8
        .value_kind:     global_buffer
      - .actual_access:  read_only
        .address_space:  global
        .offset:         48
        .size:           8
        .value_kind:     global_buffer
      - .actual_access:  read_only
        .address_space:  global
        .offset:         56
        .size:           8
        .value_kind:     global_buffer
      - .actual_access:  read_only
        .address_space:  global
        .offset:         64
        .size:           8
        .value_kind:     global_buffer
      - .offset:         72
        .size:           8
        .value_kind:     by_value
      - .address_space:  global
        .offset:         80
        .size:           8
        .value_kind:     global_buffer
      - .offset:         88
        .size:           4
        .value_kind:     by_value
      - .offset:         92
        .size:           1
        .value_kind:     by_value
    .group_segment_fixed_size: 0
    .kernarg_segment_align: 8
    .kernarg_segment_size: 96
    .language:       OpenCL C
    .language_version:
      - 2
      - 0
    .max_flat_workgroup_size: 128
    .name:           _ZN9rocsparseL18bsrxmvn_4x4_kernelILj128ELj16Efli18rocsparse_bfloat16S1_fEEvT3_20rocsparse_direction_NS_24const_host_device_scalarIT1_EES2_PKS2_PKT2_SB_S8_PKT4_PKT5_S6_PT6_21rocsparse_index_base_b
    .private_segment_fixed_size: 0
    .sgpr_count:     30
    .sgpr_spill_count: 0
    .symbol:         _ZN9rocsparseL18bsrxmvn_4x4_kernelILj128ELj16Efli18rocsparse_bfloat16S1_fEEvT3_20rocsparse_direction_NS_24const_host_device_scalarIT1_EES2_PKS2_PKT2_SB_S8_PKT4_PKT5_S6_PT6_21rocsparse_index_base_b.kd
    .uniform_work_group_size: 1
    .uses_dynamic_stack: false
    .vgpr_count:     102
    .vgpr_spill_count: 0
    .wavefront_size: 64
  - .agpr_count:     0
    .args:
      - .offset:         0
        .size:           4
        .value_kind:     by_value
      - .offset:         4
        .size:           4
        .value_kind:     by_value
      - .offset:         8
        .size:           8
        .value_kind:     by_value
      - .offset:         16
        .size:           4
        .value_kind:     by_value
      - .actual_access:  read_only
        .address_space:  global
        .offset:         24
        .size:           8
        .value_kind:     global_buffer
      - .actual_access:  read_only
        .address_space:  global
        .offset:         32
        .size:           8
        .value_kind:     global_buffer
      - .actual_access:  read_only
        .address_space:  global
        .offset:         40
        .size:           8
        .value_kind:     global_buffer
      - .actual_access:  read_only
        .address_space:  global
        .offset:         48
        .size:           8
        .value_kind:     global_buffer
      - .actual_access:  read_only
        .address_space:  global
        .offset:         56
        .size:           8
        .value_kind:     global_buffer
      - .actual_access:  read_only
        .address_space:  global
        .offset:         64
        .size:           8
        .value_kind:     global_buffer
      - .offset:         72
        .size:           8
        .value_kind:     by_value
      - .address_space:  global
        .offset:         80
        .size:           8
        .value_kind:     global_buffer
      - .offset:         88
        .size:           4
        .value_kind:     by_value
      - .offset:         92
        .size:           1
        .value_kind:     by_value
    .group_segment_fixed_size: 0
    .kernarg_segment_align: 8
    .kernarg_segment_size: 96
    .language:       OpenCL C
    .language_version:
      - 2
      - 0
    .max_flat_workgroup_size: 128
    .name:           _ZN9rocsparseL18bsrxmvn_4x4_kernelILj128ELj32Efli18rocsparse_bfloat16S1_fEEvT3_20rocsparse_direction_NS_24const_host_device_scalarIT1_EES2_PKS2_PKT2_SB_S8_PKT4_PKT5_S6_PT6_21rocsparse_index_base_b
    .private_segment_fixed_size: 0
    .sgpr_count:     32
    .sgpr_spill_count: 0
    .symbol:         _ZN9rocsparseL18bsrxmvn_4x4_kernelILj128ELj32Efli18rocsparse_bfloat16S1_fEEvT3_20rocsparse_direction_NS_24const_host_device_scalarIT1_EES2_PKS2_PKT2_SB_S8_PKT4_PKT5_S6_PT6_21rocsparse_index_base_b.kd
    .uniform_work_group_size: 1
    .uses_dynamic_stack: false
    .vgpr_count:     102
    .vgpr_spill_count: 0
    .wavefront_size: 64
  - .agpr_count:     0
    .args:
      - .offset:         0
        .size:           4
        .value_kind:     by_value
      - .offset:         4
        .size:           4
        .value_kind:     by_value
      - .offset:         8
        .size:           8
        .value_kind:     by_value
      - .offset:         16
        .size:           4
        .value_kind:     by_value
      - .actual_access:  read_only
        .address_space:  global
        .offset:         24
        .size:           8
        .value_kind:     global_buffer
      - .actual_access:  read_only
        .address_space:  global
        .offset:         32
        .size:           8
        .value_kind:     global_buffer
      - .actual_access:  read_only
        .address_space:  global
        .offset:         40
        .size:           8
        .value_kind:     global_buffer
      - .actual_access:  read_only
        .address_space:  global
        .offset:         48
        .size:           8
        .value_kind:     global_buffer
      - .actual_access:  read_only
        .address_space:  global
        .offset:         56
        .size:           8
        .value_kind:     global_buffer
      - .actual_access:  read_only
        .address_space:  global
        .offset:         64
        .size:           8
        .value_kind:     global_buffer
      - .offset:         72
        .size:           8
        .value_kind:     by_value
      - .address_space:  global
        .offset:         80
        .size:           8
        .value_kind:     global_buffer
      - .offset:         88
        .size:           4
        .value_kind:     by_value
      - .offset:         92
        .size:           1
        .value_kind:     by_value
    .group_segment_fixed_size: 0
    .kernarg_segment_align: 8
    .kernarg_segment_size: 96
    .language:       OpenCL C
    .language_version:
      - 2
      - 0
    .max_flat_workgroup_size: 128
    .name:           _ZN9rocsparseL18bsrxmvn_4x4_kernelILj128ELj64Efli18rocsparse_bfloat16S1_fEEvT3_20rocsparse_direction_NS_24const_host_device_scalarIT1_EES2_PKS2_PKT2_SB_S8_PKT4_PKT5_S6_PT6_21rocsparse_index_base_b
    .private_segment_fixed_size: 0
    .sgpr_count:     32
    .sgpr_spill_count: 0
    .symbol:         _ZN9rocsparseL18bsrxmvn_4x4_kernelILj128ELj64Efli18rocsparse_bfloat16S1_fEEvT3_20rocsparse_direction_NS_24const_host_device_scalarIT1_EES2_PKS2_PKT2_SB_S8_PKT4_PKT5_S6_PT6_21rocsparse_index_base_b.kd
    .uniform_work_group_size: 1
    .uses_dynamic_stack: false
    .vgpr_count:     102
    .vgpr_spill_count: 0
    .wavefront_size: 64
  - .agpr_count:     0
    .args:
      - .offset:         0
        .size:           8
        .value_kind:     by_value
      - .offset:         8
        .size:           4
        .value_kind:     by_value
      - .offset:         16
        .size:           8
        .value_kind:     by_value
      - .offset:         24
        .size:           8
        .value_kind:     by_value
      - .actual_access:  read_only
        .address_space:  global
        .offset:         32
        .size:           8
        .value_kind:     global_buffer
      - .actual_access:  read_only
        .address_space:  global
        .offset:         40
        .size:           8
        .value_kind:     global_buffer
      - .actual_access:  read_only
        .address_space:  global
        .offset:         48
        .size:           8
        .value_kind:     global_buffer
      - .actual_access:  read_only
        .address_space:  global
        .offset:         56
        .size:           8
        .value_kind:     global_buffer
      - .actual_access:  read_only
        .address_space:  global
        .offset:         64
        .size:           8
        .value_kind:     global_buffer
      - .actual_access:  read_only
        .address_space:  global
        .offset:         72
        .size:           8
        .value_kind:     global_buffer
      - .offset:         80
        .size:           8
        .value_kind:     by_value
      - .address_space:  global
        .offset:         88
        .size:           8
        .value_kind:     global_buffer
      - .offset:         96
        .size:           4
        .value_kind:     by_value
      - .offset:         100
        .size:           1
        .value_kind:     by_value
    .group_segment_fixed_size: 0
    .kernarg_segment_align: 8
    .kernarg_segment_size: 104
    .language:       OpenCL C
    .language_version:
      - 2
      - 0
    .max_flat_workgroup_size: 128
    .name:           _ZN9rocsparseL18bsrxmvn_4x4_kernelILj128ELj4Efll18rocsparse_bfloat16S1_fEEvT3_20rocsparse_direction_NS_24const_host_device_scalarIT1_EES2_PKS2_PKT2_SB_S8_PKT4_PKT5_S6_PT6_21rocsparse_index_base_b
    .private_segment_fixed_size: 0
    .sgpr_count:     28
    .sgpr_spill_count: 0
    .symbol:         _ZN9rocsparseL18bsrxmvn_4x4_kernelILj128ELj4Efll18rocsparse_bfloat16S1_fEEvT3_20rocsparse_direction_NS_24const_host_device_scalarIT1_EES2_PKS2_PKT2_SB_S8_PKT4_PKT5_S6_PT6_21rocsparse_index_base_b.kd
    .uniform_work_group_size: 1
    .uses_dynamic_stack: false
    .vgpr_count:     102
    .vgpr_spill_count: 0
    .wavefront_size: 64
  - .agpr_count:     0
    .args:
      - .offset:         0
        .size:           8
        .value_kind:     by_value
      - .offset:         8
        .size:           4
        .value_kind:     by_value
      - .offset:         16
        .size:           8
        .value_kind:     by_value
      - .offset:         24
        .size:           8
        .value_kind:     by_value
      - .actual_access:  read_only
        .address_space:  global
        .offset:         32
        .size:           8
        .value_kind:     global_buffer
      - .actual_access:  read_only
        .address_space:  global
        .offset:         40
        .size:           8
        .value_kind:     global_buffer
      - .actual_access:  read_only
        .address_space:  global
        .offset:         48
        .size:           8
        .value_kind:     global_buffer
      - .actual_access:  read_only
        .address_space:  global
        .offset:         56
        .size:           8
        .value_kind:     global_buffer
      - .actual_access:  read_only
        .address_space:  global
        .offset:         64
        .size:           8
        .value_kind:     global_buffer
      - .actual_access:  read_only
        .address_space:  global
        .offset:         72
        .size:           8
        .value_kind:     global_buffer
      - .offset:         80
        .size:           8
        .value_kind:     by_value
      - .address_space:  global
        .offset:         88
        .size:           8
        .value_kind:     global_buffer
      - .offset:         96
        .size:           4
        .value_kind:     by_value
      - .offset:         100
        .size:           1
        .value_kind:     by_value
    .group_segment_fixed_size: 0
    .kernarg_segment_align: 8
    .kernarg_segment_size: 104
    .language:       OpenCL C
    .language_version:
      - 2
      - 0
    .max_flat_workgroup_size: 128
    .name:           _ZN9rocsparseL18bsrxmvn_4x4_kernelILj128ELj8Efll18rocsparse_bfloat16S1_fEEvT3_20rocsparse_direction_NS_24const_host_device_scalarIT1_EES2_PKS2_PKT2_SB_S8_PKT4_PKT5_S6_PT6_21rocsparse_index_base_b
    .private_segment_fixed_size: 0
    .sgpr_count:     28
    .sgpr_spill_count: 0
    .symbol:         _ZN9rocsparseL18bsrxmvn_4x4_kernelILj128ELj8Efll18rocsparse_bfloat16S1_fEEvT3_20rocsparse_direction_NS_24const_host_device_scalarIT1_EES2_PKS2_PKT2_SB_S8_PKT4_PKT5_S6_PT6_21rocsparse_index_base_b.kd
    .uniform_work_group_size: 1
    .uses_dynamic_stack: false
    .vgpr_count:     102
    .vgpr_spill_count: 0
    .wavefront_size: 64
  - .agpr_count:     0
    .args:
      - .offset:         0
        .size:           8
        .value_kind:     by_value
      - .offset:         8
        .size:           4
        .value_kind:     by_value
      - .offset:         16
        .size:           8
        .value_kind:     by_value
      - .offset:         24
        .size:           8
        .value_kind:     by_value
      - .actual_access:  read_only
        .address_space:  global
        .offset:         32
        .size:           8
        .value_kind:     global_buffer
      - .actual_access:  read_only
        .address_space:  global
        .offset:         40
        .size:           8
        .value_kind:     global_buffer
      - .actual_access:  read_only
        .address_space:  global
        .offset:         48
        .size:           8
        .value_kind:     global_buffer
      - .actual_access:  read_only
        .address_space:  global
        .offset:         56
        .size:           8
        .value_kind:     global_buffer
      - .actual_access:  read_only
        .address_space:  global
        .offset:         64
        .size:           8
        .value_kind:     global_buffer
      - .actual_access:  read_only
        .address_space:  global
        .offset:         72
        .size:           8
        .value_kind:     global_buffer
      - .offset:         80
        .size:           8
        .value_kind:     by_value
      - .address_space:  global
        .offset:         88
        .size:           8
        .value_kind:     global_buffer
      - .offset:         96
        .size:           4
        .value_kind:     by_value
      - .offset:         100
        .size:           1
        .value_kind:     by_value
    .group_segment_fixed_size: 0
    .kernarg_segment_align: 8
    .kernarg_segment_size: 104
    .language:       OpenCL C
    .language_version:
      - 2
      - 0
    .max_flat_workgroup_size: 128
    .name:           _ZN9rocsparseL18bsrxmvn_4x4_kernelILj128ELj16Efll18rocsparse_bfloat16S1_fEEvT3_20rocsparse_direction_NS_24const_host_device_scalarIT1_EES2_PKS2_PKT2_SB_S8_PKT4_PKT5_S6_PT6_21rocsparse_index_base_b
    .private_segment_fixed_size: 0
    .sgpr_count:     28
    .sgpr_spill_count: 0
    .symbol:         _ZN9rocsparseL18bsrxmvn_4x4_kernelILj128ELj16Efll18rocsparse_bfloat16S1_fEEvT3_20rocsparse_direction_NS_24const_host_device_scalarIT1_EES2_PKS2_PKT2_SB_S8_PKT4_PKT5_S6_PT6_21rocsparse_index_base_b.kd
    .uniform_work_group_size: 1
    .uses_dynamic_stack: false
    .vgpr_count:     102
    .vgpr_spill_count: 0
    .wavefront_size: 64
  - .agpr_count:     0
    .args:
      - .offset:         0
        .size:           8
        .value_kind:     by_value
      - .offset:         8
        .size:           4
        .value_kind:     by_value
      - .offset:         16
        .size:           8
        .value_kind:     by_value
      - .offset:         24
        .size:           8
        .value_kind:     by_value
      - .actual_access:  read_only
        .address_space:  global
        .offset:         32
        .size:           8
        .value_kind:     global_buffer
      - .actual_access:  read_only
        .address_space:  global
        .offset:         40
        .size:           8
        .value_kind:     global_buffer
      - .actual_access:  read_only
        .address_space:  global
        .offset:         48
        .size:           8
        .value_kind:     global_buffer
      - .actual_access:  read_only
        .address_space:  global
        .offset:         56
        .size:           8
        .value_kind:     global_buffer
      - .actual_access:  read_only
        .address_space:  global
        .offset:         64
        .size:           8
        .value_kind:     global_buffer
      - .actual_access:  read_only
        .address_space:  global
        .offset:         72
        .size:           8
        .value_kind:     global_buffer
      - .offset:         80
        .size:           8
        .value_kind:     by_value
      - .address_space:  global
        .offset:         88
        .size:           8
        .value_kind:     global_buffer
      - .offset:         96
        .size:           4
        .value_kind:     by_value
      - .offset:         100
        .size:           1
        .value_kind:     by_value
    .group_segment_fixed_size: 0
    .kernarg_segment_align: 8
    .kernarg_segment_size: 104
    .language:       OpenCL C
    .language_version:
      - 2
      - 0
    .max_flat_workgroup_size: 128
    .name:           _ZN9rocsparseL18bsrxmvn_4x4_kernelILj128ELj32Efll18rocsparse_bfloat16S1_fEEvT3_20rocsparse_direction_NS_24const_host_device_scalarIT1_EES2_PKS2_PKT2_SB_S8_PKT4_PKT5_S6_PT6_21rocsparse_index_base_b
    .private_segment_fixed_size: 0
    .sgpr_count:     30
    .sgpr_spill_count: 0
    .symbol:         _ZN9rocsparseL18bsrxmvn_4x4_kernelILj128ELj32Efll18rocsparse_bfloat16S1_fEEvT3_20rocsparse_direction_NS_24const_host_device_scalarIT1_EES2_PKS2_PKT2_SB_S8_PKT4_PKT5_S6_PT6_21rocsparse_index_base_b.kd
    .uniform_work_group_size: 1
    .uses_dynamic_stack: false
    .vgpr_count:     102
    .vgpr_spill_count: 0
    .wavefront_size: 64
  - .agpr_count:     0
    .args:
      - .offset:         0
        .size:           8
        .value_kind:     by_value
      - .offset:         8
        .size:           4
        .value_kind:     by_value
      - .offset:         16
        .size:           8
        .value_kind:     by_value
      - .offset:         24
        .size:           8
        .value_kind:     by_value
      - .actual_access:  read_only
        .address_space:  global
        .offset:         32
        .size:           8
        .value_kind:     global_buffer
      - .actual_access:  read_only
        .address_space:  global
        .offset:         40
        .size:           8
        .value_kind:     global_buffer
      - .actual_access:  read_only
        .address_space:  global
        .offset:         48
        .size:           8
        .value_kind:     global_buffer
      - .actual_access:  read_only
        .address_space:  global
        .offset:         56
        .size:           8
        .value_kind:     global_buffer
      - .actual_access:  read_only
        .address_space:  global
        .offset:         64
        .size:           8
        .value_kind:     global_buffer
      - .actual_access:  read_only
        .address_space:  global
        .offset:         72
        .size:           8
        .value_kind:     global_buffer
      - .offset:         80
        .size:           8
        .value_kind:     by_value
      - .address_space:  global
        .offset:         88
        .size:           8
        .value_kind:     global_buffer
      - .offset:         96
        .size:           4
        .value_kind:     by_value
      - .offset:         100
        .size:           1
        .value_kind:     by_value
    .group_segment_fixed_size: 0
    .kernarg_segment_align: 8
    .kernarg_segment_size: 104
    .language:       OpenCL C
    .language_version:
      - 2
      - 0
    .max_flat_workgroup_size: 128
    .name:           _ZN9rocsparseL18bsrxmvn_4x4_kernelILj128ELj64Efll18rocsparse_bfloat16S1_fEEvT3_20rocsparse_direction_NS_24const_host_device_scalarIT1_EES2_PKS2_PKT2_SB_S8_PKT4_PKT5_S6_PT6_21rocsparse_index_base_b
    .private_segment_fixed_size: 0
    .sgpr_count:     30
    .sgpr_spill_count: 0
    .symbol:         _ZN9rocsparseL18bsrxmvn_4x4_kernelILj128ELj64Efll18rocsparse_bfloat16S1_fEEvT3_20rocsparse_direction_NS_24const_host_device_scalarIT1_EES2_PKS2_PKT2_SB_S8_PKT4_PKT5_S6_PT6_21rocsparse_index_base_b.kd
    .uniform_work_group_size: 1
    .uses_dynamic_stack: false
    .vgpr_count:     102
    .vgpr_spill_count: 0
    .wavefront_size: 64
  - .agpr_count:     0
    .args:
      - .offset:         0
        .size:           4
        .value_kind:     by_value
      - .offset:         4
        .size:           4
        .value_kind:     by_value
      - .offset:         8
        .size:           8
        .value_kind:     by_value
      - .offset:         16
        .size:           4
        .value_kind:     by_value
      - .actual_access:  read_only
        .address_space:  global
        .offset:         24
        .size:           8
        .value_kind:     global_buffer
      - .actual_access:  read_only
        .address_space:  global
        .offset:         32
        .size:           8
        .value_kind:     global_buffer
      - .actual_access:  read_only
        .address_space:  global
        .offset:         40
        .size:           8
        .value_kind:     global_buffer
      - .actual_access:  read_only
        .address_space:  global
        .offset:         48
        .size:           8
        .value_kind:     global_buffer
      - .actual_access:  read_only
        .address_space:  global
        .offset:         56
        .size:           8
        .value_kind:     global_buffer
      - .actual_access:  read_only
        .address_space:  global
        .offset:         64
        .size:           8
        .value_kind:     global_buffer
      - .offset:         72
        .size:           8
        .value_kind:     by_value
      - .address_space:  global
        .offset:         80
        .size:           8
        .value_kind:     global_buffer
      - .offset:         88
        .size:           4
        .value_kind:     by_value
      - .offset:         92
        .size:           1
        .value_kind:     by_value
    .group_segment_fixed_size: 0
    .kernarg_segment_align: 8
    .kernarg_segment_size: 96
    .language:       OpenCL C
    .language_version:
      - 2
      - 0
    .max_flat_workgroup_size: 128
    .name:           _ZN9rocsparseL18bsrxmvn_4x4_kernelILj128ELj4E21rocsparse_complex_numIfEiifS2_S2_EEvT3_20rocsparse_direction_NS_24const_host_device_scalarIT1_EES3_PKS3_PKT2_SC_S9_PKT4_PKT5_S7_PT6_21rocsparse_index_base_b
    .private_segment_fixed_size: 0
    .sgpr_count:     26
    .sgpr_spill_count: 0
    .symbol:         _ZN9rocsparseL18bsrxmvn_4x4_kernelILj128ELj4E21rocsparse_complex_numIfEiifS2_S2_EEvT3_20rocsparse_direction_NS_24const_host_device_scalarIT1_EES3_PKS3_PKT2_SC_S9_PKT4_PKT5_S7_PT6_21rocsparse_index_base_b.kd
    .uniform_work_group_size: 1
    .uses_dynamic_stack: false
    .vgpr_count:     134
    .vgpr_spill_count: 0
    .wavefront_size: 64
  - .agpr_count:     0
    .args:
      - .offset:         0
        .size:           4
        .value_kind:     by_value
      - .offset:         4
        .size:           4
        .value_kind:     by_value
      - .offset:         8
        .size:           8
        .value_kind:     by_value
      - .offset:         16
        .size:           4
        .value_kind:     by_value
      - .actual_access:  read_only
        .address_space:  global
        .offset:         24
        .size:           8
        .value_kind:     global_buffer
      - .actual_access:  read_only
        .address_space:  global
        .offset:         32
        .size:           8
        .value_kind:     global_buffer
      - .actual_access:  read_only
        .address_space:  global
        .offset:         40
        .size:           8
        .value_kind:     global_buffer
      - .actual_access:  read_only
        .address_space:  global
        .offset:         48
        .size:           8
        .value_kind:     global_buffer
      - .actual_access:  read_only
        .address_space:  global
        .offset:         56
        .size:           8
        .value_kind:     global_buffer
      - .actual_access:  read_only
        .address_space:  global
        .offset:         64
        .size:           8
        .value_kind:     global_buffer
      - .offset:         72
        .size:           8
        .value_kind:     by_value
      - .address_space:  global
        .offset:         80
        .size:           8
        .value_kind:     global_buffer
      - .offset:         88
        .size:           4
        .value_kind:     by_value
      - .offset:         92
        .size:           1
        .value_kind:     by_value
    .group_segment_fixed_size: 0
    .kernarg_segment_align: 8
    .kernarg_segment_size: 96
    .language:       OpenCL C
    .language_version:
      - 2
      - 0
    .max_flat_workgroup_size: 128
    .name:           _ZN9rocsparseL18bsrxmvn_4x4_kernelILj128ELj8E21rocsparse_complex_numIfEiifS2_S2_EEvT3_20rocsparse_direction_NS_24const_host_device_scalarIT1_EES3_PKS3_PKT2_SC_S9_PKT4_PKT5_S7_PT6_21rocsparse_index_base_b
    .private_segment_fixed_size: 0
    .sgpr_count:     26
    .sgpr_spill_count: 0
    .symbol:         _ZN9rocsparseL18bsrxmvn_4x4_kernelILj128ELj8E21rocsparse_complex_numIfEiifS2_S2_EEvT3_20rocsparse_direction_NS_24const_host_device_scalarIT1_EES3_PKS3_PKT2_SC_S9_PKT4_PKT5_S7_PT6_21rocsparse_index_base_b.kd
    .uniform_work_group_size: 1
    .uses_dynamic_stack: false
    .vgpr_count:     134
    .vgpr_spill_count: 0
    .wavefront_size: 64
  - .agpr_count:     0
    .args:
      - .offset:         0
        .size:           4
        .value_kind:     by_value
      - .offset:         4
        .size:           4
        .value_kind:     by_value
      - .offset:         8
        .size:           8
        .value_kind:     by_value
      - .offset:         16
        .size:           4
        .value_kind:     by_value
      - .actual_access:  read_only
        .address_space:  global
        .offset:         24
        .size:           8
        .value_kind:     global_buffer
      - .actual_access:  read_only
        .address_space:  global
        .offset:         32
        .size:           8
        .value_kind:     global_buffer
      - .actual_access:  read_only
        .address_space:  global
        .offset:         40
        .size:           8
        .value_kind:     global_buffer
      - .actual_access:  read_only
        .address_space:  global
        .offset:         48
        .size:           8
        .value_kind:     global_buffer
      - .actual_access:  read_only
        .address_space:  global
        .offset:         56
        .size:           8
        .value_kind:     global_buffer
      - .actual_access:  read_only
        .address_space:  global
        .offset:         64
        .size:           8
        .value_kind:     global_buffer
      - .offset:         72
        .size:           8
        .value_kind:     by_value
      - .address_space:  global
        .offset:         80
        .size:           8
        .value_kind:     global_buffer
      - .offset:         88
        .size:           4
        .value_kind:     by_value
      - .offset:         92
        .size:           1
        .value_kind:     by_value
    .group_segment_fixed_size: 0
    .kernarg_segment_align: 8
    .kernarg_segment_size: 96
    .language:       OpenCL C
    .language_version:
      - 2
      - 0
    .max_flat_workgroup_size: 128
    .name:           _ZN9rocsparseL18bsrxmvn_4x4_kernelILj128ELj16E21rocsparse_complex_numIfEiifS2_S2_EEvT3_20rocsparse_direction_NS_24const_host_device_scalarIT1_EES3_PKS3_PKT2_SC_S9_PKT4_PKT5_S7_PT6_21rocsparse_index_base_b
    .private_segment_fixed_size: 0
    .sgpr_count:     26
    .sgpr_spill_count: 0
    .symbol:         _ZN9rocsparseL18bsrxmvn_4x4_kernelILj128ELj16E21rocsparse_complex_numIfEiifS2_S2_EEvT3_20rocsparse_direction_NS_24const_host_device_scalarIT1_EES3_PKS3_PKT2_SC_S9_PKT4_PKT5_S7_PT6_21rocsparse_index_base_b.kd
    .uniform_work_group_size: 1
    .uses_dynamic_stack: false
    .vgpr_count:     134
    .vgpr_spill_count: 0
    .wavefront_size: 64
  - .agpr_count:     0
    .args:
      - .offset:         0
        .size:           4
        .value_kind:     by_value
      - .offset:         4
        .size:           4
        .value_kind:     by_value
      - .offset:         8
        .size:           8
        .value_kind:     by_value
      - .offset:         16
        .size:           4
        .value_kind:     by_value
      - .actual_access:  read_only
        .address_space:  global
        .offset:         24
        .size:           8
        .value_kind:     global_buffer
      - .actual_access:  read_only
        .address_space:  global
        .offset:         32
        .size:           8
        .value_kind:     global_buffer
      - .actual_access:  read_only
        .address_space:  global
        .offset:         40
        .size:           8
        .value_kind:     global_buffer
      - .actual_access:  read_only
        .address_space:  global
        .offset:         48
        .size:           8
        .value_kind:     global_buffer
      - .actual_access:  read_only
        .address_space:  global
        .offset:         56
        .size:           8
        .value_kind:     global_buffer
      - .actual_access:  read_only
        .address_space:  global
        .offset:         64
        .size:           8
        .value_kind:     global_buffer
      - .offset:         72
        .size:           8
        .value_kind:     by_value
      - .address_space:  global
        .offset:         80
        .size:           8
        .value_kind:     global_buffer
      - .offset:         88
        .size:           4
        .value_kind:     by_value
      - .offset:         92
        .size:           1
        .value_kind:     by_value
    .group_segment_fixed_size: 0
    .kernarg_segment_align: 8
    .kernarg_segment_size: 96
    .language:       OpenCL C
    .language_version:
      - 2
      - 0
    .max_flat_workgroup_size: 128
    .name:           _ZN9rocsparseL18bsrxmvn_4x4_kernelILj128ELj32E21rocsparse_complex_numIfEiifS2_S2_EEvT3_20rocsparse_direction_NS_24const_host_device_scalarIT1_EES3_PKS3_PKT2_SC_S9_PKT4_PKT5_S7_PT6_21rocsparse_index_base_b
    .private_segment_fixed_size: 0
    .sgpr_count:     28
    .sgpr_spill_count: 0
    .symbol:         _ZN9rocsparseL18bsrxmvn_4x4_kernelILj128ELj32E21rocsparse_complex_numIfEiifS2_S2_EEvT3_20rocsparse_direction_NS_24const_host_device_scalarIT1_EES3_PKS3_PKT2_SC_S9_PKT4_PKT5_S7_PT6_21rocsparse_index_base_b.kd
    .uniform_work_group_size: 1
    .uses_dynamic_stack: false
    .vgpr_count:     134
    .vgpr_spill_count: 0
    .wavefront_size: 64
  - .agpr_count:     0
    .args:
      - .offset:         0
        .size:           4
        .value_kind:     by_value
      - .offset:         4
        .size:           4
        .value_kind:     by_value
      - .offset:         8
        .size:           8
        .value_kind:     by_value
      - .offset:         16
        .size:           4
        .value_kind:     by_value
      - .actual_access:  read_only
        .address_space:  global
        .offset:         24
        .size:           8
        .value_kind:     global_buffer
      - .actual_access:  read_only
        .address_space:  global
        .offset:         32
        .size:           8
        .value_kind:     global_buffer
      - .actual_access:  read_only
        .address_space:  global
        .offset:         40
        .size:           8
        .value_kind:     global_buffer
      - .actual_access:  read_only
        .address_space:  global
        .offset:         48
        .size:           8
        .value_kind:     global_buffer
      - .actual_access:  read_only
        .address_space:  global
        .offset:         56
        .size:           8
        .value_kind:     global_buffer
      - .actual_access:  read_only
        .address_space:  global
        .offset:         64
        .size:           8
        .value_kind:     global_buffer
      - .offset:         72
        .size:           8
        .value_kind:     by_value
      - .address_space:  global
        .offset:         80
        .size:           8
        .value_kind:     global_buffer
      - .offset:         88
        .size:           4
        .value_kind:     by_value
      - .offset:         92
        .size:           1
        .value_kind:     by_value
    .group_segment_fixed_size: 0
    .kernarg_segment_align: 8
    .kernarg_segment_size: 96
    .language:       OpenCL C
    .language_version:
      - 2
      - 0
    .max_flat_workgroup_size: 128
    .name:           _ZN9rocsparseL18bsrxmvn_4x4_kernelILj128ELj64E21rocsparse_complex_numIfEiifS2_S2_EEvT3_20rocsparse_direction_NS_24const_host_device_scalarIT1_EES3_PKS3_PKT2_SC_S9_PKT4_PKT5_S7_PT6_21rocsparse_index_base_b
    .private_segment_fixed_size: 0
    .sgpr_count:     33
    .sgpr_spill_count: 0
    .symbol:         _ZN9rocsparseL18bsrxmvn_4x4_kernelILj128ELj64E21rocsparse_complex_numIfEiifS2_S2_EEvT3_20rocsparse_direction_NS_24const_host_device_scalarIT1_EES3_PKS3_PKT2_SC_S9_PKT4_PKT5_S7_PT6_21rocsparse_index_base_b.kd
    .uniform_work_group_size: 1
    .uses_dynamic_stack: false
    .vgpr_count:     134
    .vgpr_spill_count: 0
    .wavefront_size: 64
  - .agpr_count:     0
    .args:
      - .offset:         0
        .size:           4
        .value_kind:     by_value
      - .offset:         4
        .size:           4
        .value_kind:     by_value
      - .offset:         8
        .size:           8
        .value_kind:     by_value
      - .offset:         16
        .size:           4
        .value_kind:     by_value
      - .actual_access:  read_only
        .address_space:  global
        .offset:         24
        .size:           8
        .value_kind:     global_buffer
      - .actual_access:  read_only
        .address_space:  global
        .offset:         32
        .size:           8
        .value_kind:     global_buffer
      - .actual_access:  read_only
        .address_space:  global
        .offset:         40
        .size:           8
        .value_kind:     global_buffer
      - .actual_access:  read_only
        .address_space:  global
        .offset:         48
        .size:           8
        .value_kind:     global_buffer
      - .actual_access:  read_only
        .address_space:  global
        .offset:         56
        .size:           8
        .value_kind:     global_buffer
      - .actual_access:  read_only
        .address_space:  global
        .offset:         64
        .size:           8
        .value_kind:     global_buffer
      - .offset:         72
        .size:           8
        .value_kind:     by_value
      - .address_space:  global
        .offset:         80
        .size:           8
        .value_kind:     global_buffer
      - .offset:         88
        .size:           4
        .value_kind:     by_value
      - .offset:         92
        .size:           1
        .value_kind:     by_value
    .group_segment_fixed_size: 0
    .kernarg_segment_align: 8
    .kernarg_segment_size: 96
    .language:       OpenCL C
    .language_version:
      - 2
      - 0
    .max_flat_workgroup_size: 128
    .name:           _ZN9rocsparseL18bsrxmvn_4x4_kernelILj128ELj4E21rocsparse_complex_numIfElifS2_S2_EEvT3_20rocsparse_direction_NS_24const_host_device_scalarIT1_EES3_PKS3_PKT2_SC_S9_PKT4_PKT5_S7_PT6_21rocsparse_index_base_b
    .private_segment_fixed_size: 0
    .sgpr_count:     26
    .sgpr_spill_count: 0
    .symbol:         _ZN9rocsparseL18bsrxmvn_4x4_kernelILj128ELj4E21rocsparse_complex_numIfElifS2_S2_EEvT3_20rocsparse_direction_NS_24const_host_device_scalarIT1_EES3_PKS3_PKT2_SC_S9_PKT4_PKT5_S7_PT6_21rocsparse_index_base_b.kd
    .uniform_work_group_size: 1
    .uses_dynamic_stack: false
    .vgpr_count:     134
    .vgpr_spill_count: 0
    .wavefront_size: 64
  - .agpr_count:     0
    .args:
      - .offset:         0
        .size:           4
        .value_kind:     by_value
      - .offset:         4
        .size:           4
        .value_kind:     by_value
      - .offset:         8
        .size:           8
        .value_kind:     by_value
      - .offset:         16
        .size:           4
        .value_kind:     by_value
      - .actual_access:  read_only
        .address_space:  global
        .offset:         24
        .size:           8
        .value_kind:     global_buffer
      - .actual_access:  read_only
        .address_space:  global
        .offset:         32
        .size:           8
        .value_kind:     global_buffer
      - .actual_access:  read_only
        .address_space:  global
        .offset:         40
        .size:           8
        .value_kind:     global_buffer
      - .actual_access:  read_only
        .address_space:  global
        .offset:         48
        .size:           8
        .value_kind:     global_buffer
      - .actual_access:  read_only
        .address_space:  global
        .offset:         56
        .size:           8
        .value_kind:     global_buffer
      - .actual_access:  read_only
        .address_space:  global
        .offset:         64
        .size:           8
        .value_kind:     global_buffer
      - .offset:         72
        .size:           8
        .value_kind:     by_value
      - .address_space:  global
        .offset:         80
        .size:           8
        .value_kind:     global_buffer
      - .offset:         88
        .size:           4
        .value_kind:     by_value
      - .offset:         92
        .size:           1
        .value_kind:     by_value
    .group_segment_fixed_size: 0
    .kernarg_segment_align: 8
    .kernarg_segment_size: 96
    .language:       OpenCL C
    .language_version:
      - 2
      - 0
    .max_flat_workgroup_size: 128
    .name:           _ZN9rocsparseL18bsrxmvn_4x4_kernelILj128ELj8E21rocsparse_complex_numIfElifS2_S2_EEvT3_20rocsparse_direction_NS_24const_host_device_scalarIT1_EES3_PKS3_PKT2_SC_S9_PKT4_PKT5_S7_PT6_21rocsparse_index_base_b
    .private_segment_fixed_size: 0
    .sgpr_count:     28
    .sgpr_spill_count: 0
    .symbol:         _ZN9rocsparseL18bsrxmvn_4x4_kernelILj128ELj8E21rocsparse_complex_numIfElifS2_S2_EEvT3_20rocsparse_direction_NS_24const_host_device_scalarIT1_EES3_PKS3_PKT2_SC_S9_PKT4_PKT5_S7_PT6_21rocsparse_index_base_b.kd
    .uniform_work_group_size: 1
    .uses_dynamic_stack: false
    .vgpr_count:     134
    .vgpr_spill_count: 0
    .wavefront_size: 64
  - .agpr_count:     0
    .args:
      - .offset:         0
        .size:           4
        .value_kind:     by_value
      - .offset:         4
        .size:           4
        .value_kind:     by_value
      - .offset:         8
        .size:           8
        .value_kind:     by_value
      - .offset:         16
        .size:           4
        .value_kind:     by_value
      - .actual_access:  read_only
        .address_space:  global
        .offset:         24
        .size:           8
        .value_kind:     global_buffer
      - .actual_access:  read_only
        .address_space:  global
        .offset:         32
        .size:           8
        .value_kind:     global_buffer
      - .actual_access:  read_only
        .address_space:  global
        .offset:         40
        .size:           8
        .value_kind:     global_buffer
      - .actual_access:  read_only
        .address_space:  global
        .offset:         48
        .size:           8
        .value_kind:     global_buffer
      - .actual_access:  read_only
        .address_space:  global
        .offset:         56
        .size:           8
        .value_kind:     global_buffer
      - .actual_access:  read_only
        .address_space:  global
        .offset:         64
        .size:           8
        .value_kind:     global_buffer
      - .offset:         72
        .size:           8
        .value_kind:     by_value
      - .address_space:  global
        .offset:         80
        .size:           8
        .value_kind:     global_buffer
      - .offset:         88
        .size:           4
        .value_kind:     by_value
      - .offset:         92
        .size:           1
        .value_kind:     by_value
    .group_segment_fixed_size: 0
    .kernarg_segment_align: 8
    .kernarg_segment_size: 96
    .language:       OpenCL C
    .language_version:
      - 2
      - 0
    .max_flat_workgroup_size: 128
    .name:           _ZN9rocsparseL18bsrxmvn_4x4_kernelILj128ELj16E21rocsparse_complex_numIfElifS2_S2_EEvT3_20rocsparse_direction_NS_24const_host_device_scalarIT1_EES3_PKS3_PKT2_SC_S9_PKT4_PKT5_S7_PT6_21rocsparse_index_base_b
    .private_segment_fixed_size: 0
    .sgpr_count:     28
    .sgpr_spill_count: 0
    .symbol:         _ZN9rocsparseL18bsrxmvn_4x4_kernelILj128ELj16E21rocsparse_complex_numIfElifS2_S2_EEvT3_20rocsparse_direction_NS_24const_host_device_scalarIT1_EES3_PKS3_PKT2_SC_S9_PKT4_PKT5_S7_PT6_21rocsparse_index_base_b.kd
    .uniform_work_group_size: 1
    .uses_dynamic_stack: false
    .vgpr_count:     134
    .vgpr_spill_count: 0
    .wavefront_size: 64
  - .agpr_count:     0
    .args:
      - .offset:         0
        .size:           4
        .value_kind:     by_value
      - .offset:         4
        .size:           4
        .value_kind:     by_value
      - .offset:         8
        .size:           8
        .value_kind:     by_value
      - .offset:         16
        .size:           4
        .value_kind:     by_value
      - .actual_access:  read_only
        .address_space:  global
        .offset:         24
        .size:           8
        .value_kind:     global_buffer
      - .actual_access:  read_only
        .address_space:  global
        .offset:         32
        .size:           8
        .value_kind:     global_buffer
      - .actual_access:  read_only
        .address_space:  global
        .offset:         40
        .size:           8
        .value_kind:     global_buffer
      - .actual_access:  read_only
        .address_space:  global
        .offset:         48
        .size:           8
        .value_kind:     global_buffer
      - .actual_access:  read_only
        .address_space:  global
        .offset:         56
        .size:           8
        .value_kind:     global_buffer
      - .actual_access:  read_only
        .address_space:  global
        .offset:         64
        .size:           8
        .value_kind:     global_buffer
      - .offset:         72
        .size:           8
        .value_kind:     by_value
      - .address_space:  global
        .offset:         80
        .size:           8
        .value_kind:     global_buffer
      - .offset:         88
        .size:           4
        .value_kind:     by_value
      - .offset:         92
        .size:           1
        .value_kind:     by_value
    .group_segment_fixed_size: 0
    .kernarg_segment_align: 8
    .kernarg_segment_size: 96
    .language:       OpenCL C
    .language_version:
      - 2
      - 0
    .max_flat_workgroup_size: 128
    .name:           _ZN9rocsparseL18bsrxmvn_4x4_kernelILj128ELj32E21rocsparse_complex_numIfElifS2_S2_EEvT3_20rocsparse_direction_NS_24const_host_device_scalarIT1_EES3_PKS3_PKT2_SC_S9_PKT4_PKT5_S7_PT6_21rocsparse_index_base_b
    .private_segment_fixed_size: 0
    .sgpr_count:     30
    .sgpr_spill_count: 0
    .symbol:         _ZN9rocsparseL18bsrxmvn_4x4_kernelILj128ELj32E21rocsparse_complex_numIfElifS2_S2_EEvT3_20rocsparse_direction_NS_24const_host_device_scalarIT1_EES3_PKS3_PKT2_SC_S9_PKT4_PKT5_S7_PT6_21rocsparse_index_base_b.kd
    .uniform_work_group_size: 1
    .uses_dynamic_stack: false
    .vgpr_count:     134
    .vgpr_spill_count: 0
    .wavefront_size: 64
  - .agpr_count:     0
    .args:
      - .offset:         0
        .size:           4
        .value_kind:     by_value
      - .offset:         4
        .size:           4
        .value_kind:     by_value
      - .offset:         8
        .size:           8
        .value_kind:     by_value
      - .offset:         16
        .size:           4
        .value_kind:     by_value
      - .actual_access:  read_only
        .address_space:  global
        .offset:         24
        .size:           8
        .value_kind:     global_buffer
      - .actual_access:  read_only
        .address_space:  global
        .offset:         32
        .size:           8
        .value_kind:     global_buffer
      - .actual_access:  read_only
        .address_space:  global
        .offset:         40
        .size:           8
        .value_kind:     global_buffer
      - .actual_access:  read_only
        .address_space:  global
        .offset:         48
        .size:           8
        .value_kind:     global_buffer
      - .actual_access:  read_only
        .address_space:  global
        .offset:         56
        .size:           8
        .value_kind:     global_buffer
      - .actual_access:  read_only
        .address_space:  global
        .offset:         64
        .size:           8
        .value_kind:     global_buffer
      - .offset:         72
        .size:           8
        .value_kind:     by_value
      - .address_space:  global
        .offset:         80
        .size:           8
        .value_kind:     global_buffer
      - .offset:         88
        .size:           4
        .value_kind:     by_value
      - .offset:         92
        .size:           1
        .value_kind:     by_value
    .group_segment_fixed_size: 0
    .kernarg_segment_align: 8
    .kernarg_segment_size: 96
    .language:       OpenCL C
    .language_version:
      - 2
      - 0
    .max_flat_workgroup_size: 128
    .name:           _ZN9rocsparseL18bsrxmvn_4x4_kernelILj128ELj64E21rocsparse_complex_numIfElifS2_S2_EEvT3_20rocsparse_direction_NS_24const_host_device_scalarIT1_EES3_PKS3_PKT2_SC_S9_PKT4_PKT5_S7_PT6_21rocsparse_index_base_b
    .private_segment_fixed_size: 0
    .sgpr_count:     37
    .sgpr_spill_count: 0
    .symbol:         _ZN9rocsparseL18bsrxmvn_4x4_kernelILj128ELj64E21rocsparse_complex_numIfElifS2_S2_EEvT3_20rocsparse_direction_NS_24const_host_device_scalarIT1_EES3_PKS3_PKT2_SC_S9_PKT4_PKT5_S7_PT6_21rocsparse_index_base_b.kd
    .uniform_work_group_size: 1
    .uses_dynamic_stack: false
    .vgpr_count:     134
    .vgpr_spill_count: 0
    .wavefront_size: 64
  - .agpr_count:     0
    .args:
      - .offset:         0
        .size:           8
        .value_kind:     by_value
      - .offset:         8
        .size:           4
        .value_kind:     by_value
      - .offset:         16
        .size:           8
        .value_kind:     by_value
      - .offset:         24
        .size:           8
        .value_kind:     by_value
      - .actual_access:  read_only
        .address_space:  global
        .offset:         32
        .size:           8
        .value_kind:     global_buffer
      - .actual_access:  read_only
        .address_space:  global
        .offset:         40
        .size:           8
        .value_kind:     global_buffer
      - .actual_access:  read_only
        .address_space:  global
        .offset:         48
        .size:           8
        .value_kind:     global_buffer
      - .actual_access:  read_only
        .address_space:  global
        .offset:         56
        .size:           8
        .value_kind:     global_buffer
      - .actual_access:  read_only
        .address_space:  global
        .offset:         64
        .size:           8
        .value_kind:     global_buffer
      - .actual_access:  read_only
        .address_space:  global
        .offset:         72
        .size:           8
        .value_kind:     global_buffer
      - .offset:         80
        .size:           8
        .value_kind:     by_value
      - .address_space:  global
        .offset:         88
        .size:           8
        .value_kind:     global_buffer
      - .offset:         96
        .size:           4
        .value_kind:     by_value
      - .offset:         100
        .size:           1
        .value_kind:     by_value
    .group_segment_fixed_size: 0
    .kernarg_segment_align: 8
    .kernarg_segment_size: 104
    .language:       OpenCL C
    .language_version:
      - 2
      - 0
    .max_flat_workgroup_size: 128
    .name:           _ZN9rocsparseL18bsrxmvn_4x4_kernelILj128ELj4E21rocsparse_complex_numIfEllfS2_S2_EEvT3_20rocsparse_direction_NS_24const_host_device_scalarIT1_EES3_PKS3_PKT2_SC_S9_PKT4_PKT5_S7_PT6_21rocsparse_index_base_b
    .private_segment_fixed_size: 0
    .sgpr_count:     26
    .sgpr_spill_count: 0
    .symbol:         _ZN9rocsparseL18bsrxmvn_4x4_kernelILj128ELj4E21rocsparse_complex_numIfEllfS2_S2_EEvT3_20rocsparse_direction_NS_24const_host_device_scalarIT1_EES3_PKS3_PKT2_SC_S9_PKT4_PKT5_S7_PT6_21rocsparse_index_base_b.kd
    .uniform_work_group_size: 1
    .uses_dynamic_stack: false
    .vgpr_count:     104
    .vgpr_spill_count: 0
    .wavefront_size: 64
  - .agpr_count:     0
    .args:
      - .offset:         0
        .size:           8
        .value_kind:     by_value
      - .offset:         8
        .size:           4
        .value_kind:     by_value
      - .offset:         16
        .size:           8
        .value_kind:     by_value
      - .offset:         24
        .size:           8
        .value_kind:     by_value
      - .actual_access:  read_only
        .address_space:  global
        .offset:         32
        .size:           8
        .value_kind:     global_buffer
      - .actual_access:  read_only
        .address_space:  global
        .offset:         40
        .size:           8
        .value_kind:     global_buffer
      - .actual_access:  read_only
        .address_space:  global
        .offset:         48
        .size:           8
        .value_kind:     global_buffer
      - .actual_access:  read_only
        .address_space:  global
        .offset:         56
        .size:           8
        .value_kind:     global_buffer
      - .actual_access:  read_only
        .address_space:  global
        .offset:         64
        .size:           8
        .value_kind:     global_buffer
      - .actual_access:  read_only
        .address_space:  global
        .offset:         72
        .size:           8
        .value_kind:     global_buffer
      - .offset:         80
        .size:           8
        .value_kind:     by_value
      - .address_space:  global
        .offset:         88
        .size:           8
        .value_kind:     global_buffer
      - .offset:         96
        .size:           4
        .value_kind:     by_value
      - .offset:         100
        .size:           1
        .value_kind:     by_value
    .group_segment_fixed_size: 0
    .kernarg_segment_align: 8
    .kernarg_segment_size: 104
    .language:       OpenCL C
    .language_version:
      - 2
      - 0
    .max_flat_workgroup_size: 128
    .name:           _ZN9rocsparseL18bsrxmvn_4x4_kernelILj128ELj8E21rocsparse_complex_numIfEllfS2_S2_EEvT3_20rocsparse_direction_NS_24const_host_device_scalarIT1_EES3_PKS3_PKT2_SC_S9_PKT4_PKT5_S7_PT6_21rocsparse_index_base_b
    .private_segment_fixed_size: 0
    .sgpr_count:     26
    .sgpr_spill_count: 0
    .symbol:         _ZN9rocsparseL18bsrxmvn_4x4_kernelILj128ELj8E21rocsparse_complex_numIfEllfS2_S2_EEvT3_20rocsparse_direction_NS_24const_host_device_scalarIT1_EES3_PKS3_PKT2_SC_S9_PKT4_PKT5_S7_PT6_21rocsparse_index_base_b.kd
    .uniform_work_group_size: 1
    .uses_dynamic_stack: false
    .vgpr_count:     104
    .vgpr_spill_count: 0
    .wavefront_size: 64
  - .agpr_count:     0
    .args:
      - .offset:         0
        .size:           8
        .value_kind:     by_value
      - .offset:         8
        .size:           4
        .value_kind:     by_value
      - .offset:         16
        .size:           8
        .value_kind:     by_value
      - .offset:         24
        .size:           8
        .value_kind:     by_value
      - .actual_access:  read_only
        .address_space:  global
        .offset:         32
        .size:           8
        .value_kind:     global_buffer
      - .actual_access:  read_only
        .address_space:  global
        .offset:         40
        .size:           8
        .value_kind:     global_buffer
      - .actual_access:  read_only
        .address_space:  global
        .offset:         48
        .size:           8
        .value_kind:     global_buffer
      - .actual_access:  read_only
        .address_space:  global
        .offset:         56
        .size:           8
        .value_kind:     global_buffer
      - .actual_access:  read_only
        .address_space:  global
        .offset:         64
        .size:           8
        .value_kind:     global_buffer
      - .actual_access:  read_only
        .address_space:  global
        .offset:         72
        .size:           8
        .value_kind:     global_buffer
      - .offset:         80
        .size:           8
        .value_kind:     by_value
      - .address_space:  global
        .offset:         88
        .size:           8
        .value_kind:     global_buffer
      - .offset:         96
        .size:           4
        .value_kind:     by_value
      - .offset:         100
        .size:           1
        .value_kind:     by_value
    .group_segment_fixed_size: 0
    .kernarg_segment_align: 8
    .kernarg_segment_size: 104
    .language:       OpenCL C
    .language_version:
      - 2
      - 0
    .max_flat_workgroup_size: 128
    .name:           _ZN9rocsparseL18bsrxmvn_4x4_kernelILj128ELj16E21rocsparse_complex_numIfEllfS2_S2_EEvT3_20rocsparse_direction_NS_24const_host_device_scalarIT1_EES3_PKS3_PKT2_SC_S9_PKT4_PKT5_S7_PT6_21rocsparse_index_base_b
    .private_segment_fixed_size: 0
    .sgpr_count:     26
    .sgpr_spill_count: 0
    .symbol:         _ZN9rocsparseL18bsrxmvn_4x4_kernelILj128ELj16E21rocsparse_complex_numIfEllfS2_S2_EEvT3_20rocsparse_direction_NS_24const_host_device_scalarIT1_EES3_PKS3_PKT2_SC_S9_PKT4_PKT5_S7_PT6_21rocsparse_index_base_b.kd
    .uniform_work_group_size: 1
    .uses_dynamic_stack: false
    .vgpr_count:     104
    .vgpr_spill_count: 0
    .wavefront_size: 64
  - .agpr_count:     0
    .args:
      - .offset:         0
        .size:           8
        .value_kind:     by_value
      - .offset:         8
        .size:           4
        .value_kind:     by_value
      - .offset:         16
        .size:           8
        .value_kind:     by_value
      - .offset:         24
        .size:           8
        .value_kind:     by_value
      - .actual_access:  read_only
        .address_space:  global
        .offset:         32
        .size:           8
        .value_kind:     global_buffer
      - .actual_access:  read_only
        .address_space:  global
        .offset:         40
        .size:           8
        .value_kind:     global_buffer
      - .actual_access:  read_only
        .address_space:  global
        .offset:         48
        .size:           8
        .value_kind:     global_buffer
      - .actual_access:  read_only
        .address_space:  global
        .offset:         56
        .size:           8
        .value_kind:     global_buffer
      - .actual_access:  read_only
        .address_space:  global
        .offset:         64
        .size:           8
        .value_kind:     global_buffer
      - .actual_access:  read_only
        .address_space:  global
        .offset:         72
        .size:           8
        .value_kind:     global_buffer
      - .offset:         80
        .size:           8
        .value_kind:     by_value
      - .address_space:  global
        .offset:         88
        .size:           8
        .value_kind:     global_buffer
      - .offset:         96
        .size:           4
        .value_kind:     by_value
      - .offset:         100
        .size:           1
        .value_kind:     by_value
    .group_segment_fixed_size: 0
    .kernarg_segment_align: 8
    .kernarg_segment_size: 104
    .language:       OpenCL C
    .language_version:
      - 2
      - 0
    .max_flat_workgroup_size: 128
    .name:           _ZN9rocsparseL18bsrxmvn_4x4_kernelILj128ELj32E21rocsparse_complex_numIfEllfS2_S2_EEvT3_20rocsparse_direction_NS_24const_host_device_scalarIT1_EES3_PKS3_PKT2_SC_S9_PKT4_PKT5_S7_PT6_21rocsparse_index_base_b
    .private_segment_fixed_size: 0
    .sgpr_count:     28
    .sgpr_spill_count: 0
    .symbol:         _ZN9rocsparseL18bsrxmvn_4x4_kernelILj128ELj32E21rocsparse_complex_numIfEllfS2_S2_EEvT3_20rocsparse_direction_NS_24const_host_device_scalarIT1_EES3_PKS3_PKT2_SC_S9_PKT4_PKT5_S7_PT6_21rocsparse_index_base_b.kd
    .uniform_work_group_size: 1
    .uses_dynamic_stack: false
    .vgpr_count:     104
    .vgpr_spill_count: 0
    .wavefront_size: 64
  - .agpr_count:     0
    .args:
      - .offset:         0
        .size:           8
        .value_kind:     by_value
      - .offset:         8
        .size:           4
        .value_kind:     by_value
      - .offset:         16
        .size:           8
        .value_kind:     by_value
      - .offset:         24
        .size:           8
        .value_kind:     by_value
      - .actual_access:  read_only
        .address_space:  global
        .offset:         32
        .size:           8
        .value_kind:     global_buffer
      - .actual_access:  read_only
        .address_space:  global
        .offset:         40
        .size:           8
        .value_kind:     global_buffer
      - .actual_access:  read_only
        .address_space:  global
        .offset:         48
        .size:           8
        .value_kind:     global_buffer
      - .actual_access:  read_only
        .address_space:  global
        .offset:         56
        .size:           8
        .value_kind:     global_buffer
      - .actual_access:  read_only
        .address_space:  global
        .offset:         64
        .size:           8
        .value_kind:     global_buffer
      - .actual_access:  read_only
        .address_space:  global
        .offset:         72
        .size:           8
        .value_kind:     global_buffer
      - .offset:         80
        .size:           8
        .value_kind:     by_value
      - .address_space:  global
        .offset:         88
        .size:           8
        .value_kind:     global_buffer
      - .offset:         96
        .size:           4
        .value_kind:     by_value
      - .offset:         100
        .size:           1
        .value_kind:     by_value
    .group_segment_fixed_size: 0
    .kernarg_segment_align: 8
    .kernarg_segment_size: 104
    .language:       OpenCL C
    .language_version:
      - 2
      - 0
    .max_flat_workgroup_size: 128
    .name:           _ZN9rocsparseL18bsrxmvn_4x4_kernelILj128ELj64E21rocsparse_complex_numIfEllfS2_S2_EEvT3_20rocsparse_direction_NS_24const_host_device_scalarIT1_EES3_PKS3_PKT2_SC_S9_PKT4_PKT5_S7_PT6_21rocsparse_index_base_b
    .private_segment_fixed_size: 0
    .sgpr_count:     36
    .sgpr_spill_count: 0
    .symbol:         _ZN9rocsparseL18bsrxmvn_4x4_kernelILj128ELj64E21rocsparse_complex_numIfEllfS2_S2_EEvT3_20rocsparse_direction_NS_24const_host_device_scalarIT1_EES3_PKS3_PKT2_SC_S9_PKT4_PKT5_S7_PT6_21rocsparse_index_base_b.kd
    .uniform_work_group_size: 1
    .uses_dynamic_stack: false
    .vgpr_count:     110
    .vgpr_spill_count: 0
    .wavefront_size: 64
  - .agpr_count:     0
    .args:
      - .offset:         0
        .size:           4
        .value_kind:     by_value
      - .offset:         4
        .size:           4
        .value_kind:     by_value
      - .offset:         8
        .size:           16
        .value_kind:     by_value
      - .offset:         24
        .size:           4
        .value_kind:     by_value
      - .actual_access:  read_only
        .address_space:  global
        .offset:         32
        .size:           8
        .value_kind:     global_buffer
      - .actual_access:  read_only
        .address_space:  global
        .offset:         40
        .size:           8
        .value_kind:     global_buffer
      - .actual_access:  read_only
        .address_space:  global
        .offset:         48
        .size:           8
        .value_kind:     global_buffer
      - .actual_access:  read_only
        .address_space:  global
        .offset:         56
        .size:           8
        .value_kind:     global_buffer
      - .actual_access:  read_only
        .address_space:  global
        .offset:         64
        .size:           8
        .value_kind:     global_buffer
      - .actual_access:  read_only
        .address_space:  global
        .offset:         72
        .size:           8
        .value_kind:     global_buffer
      - .offset:         80
        .size:           16
        .value_kind:     by_value
      - .address_space:  global
        .offset:         96
        .size:           8
        .value_kind:     global_buffer
      - .offset:         104
        .size:           4
        .value_kind:     by_value
      - .offset:         108
        .size:           1
        .value_kind:     by_value
    .group_segment_fixed_size: 0
    .kernarg_segment_align: 8
    .kernarg_segment_size: 112
    .language:       OpenCL C
    .language_version:
      - 2
      - 0
    .max_flat_workgroup_size: 128
    .name:           _ZN9rocsparseL18bsrxmvn_4x4_kernelILj128ELj4E21rocsparse_complex_numIdEiidS2_S2_EEvT3_20rocsparse_direction_NS_24const_host_device_scalarIT1_EES3_PKS3_PKT2_SC_S9_PKT4_PKT5_S7_PT6_21rocsparse_index_base_b
    .private_segment_fixed_size: 0
    .sgpr_count:     24
    .sgpr_spill_count: 0
    .symbol:         _ZN9rocsparseL18bsrxmvn_4x4_kernelILj128ELj4E21rocsparse_complex_numIdEiidS2_S2_EEvT3_20rocsparse_direction_NS_24const_host_device_scalarIT1_EES3_PKS3_PKT2_SC_S9_PKT4_PKT5_S7_PT6_21rocsparse_index_base_b.kd
    .uniform_work_group_size: 1
    .uses_dynamic_stack: false
    .vgpr_count:     112
    .vgpr_spill_count: 0
    .wavefront_size: 64
  - .agpr_count:     0
    .args:
      - .offset:         0
        .size:           4
        .value_kind:     by_value
      - .offset:         4
        .size:           4
        .value_kind:     by_value
      - .offset:         8
        .size:           16
        .value_kind:     by_value
      - .offset:         24
        .size:           4
        .value_kind:     by_value
      - .actual_access:  read_only
        .address_space:  global
        .offset:         32
        .size:           8
        .value_kind:     global_buffer
      - .actual_access:  read_only
        .address_space:  global
        .offset:         40
        .size:           8
        .value_kind:     global_buffer
      - .actual_access:  read_only
        .address_space:  global
        .offset:         48
        .size:           8
        .value_kind:     global_buffer
      - .actual_access:  read_only
        .address_space:  global
        .offset:         56
        .size:           8
        .value_kind:     global_buffer
      - .actual_access:  read_only
        .address_space:  global
        .offset:         64
        .size:           8
        .value_kind:     global_buffer
      - .actual_access:  read_only
        .address_space:  global
        .offset:         72
        .size:           8
        .value_kind:     global_buffer
      - .offset:         80
        .size:           16
        .value_kind:     by_value
      - .address_space:  global
        .offset:         96
        .size:           8
        .value_kind:     global_buffer
      - .offset:         104
        .size:           4
        .value_kind:     by_value
      - .offset:         108
        .size:           1
        .value_kind:     by_value
    .group_segment_fixed_size: 0
    .kernarg_segment_align: 8
    .kernarg_segment_size: 112
    .language:       OpenCL C
    .language_version:
      - 2
      - 0
    .max_flat_workgroup_size: 128
    .name:           _ZN9rocsparseL18bsrxmvn_4x4_kernelILj128ELj8E21rocsparse_complex_numIdEiidS2_S2_EEvT3_20rocsparse_direction_NS_24const_host_device_scalarIT1_EES3_PKS3_PKT2_SC_S9_PKT4_PKT5_S7_PT6_21rocsparse_index_base_b
    .private_segment_fixed_size: 0
    .sgpr_count:     24
    .sgpr_spill_count: 0
    .symbol:         _ZN9rocsparseL18bsrxmvn_4x4_kernelILj128ELj8E21rocsparse_complex_numIdEiidS2_S2_EEvT3_20rocsparse_direction_NS_24const_host_device_scalarIT1_EES3_PKS3_PKT2_SC_S9_PKT4_PKT5_S7_PT6_21rocsparse_index_base_b.kd
    .uniform_work_group_size: 1
    .uses_dynamic_stack: false
    .vgpr_count:     112
    .vgpr_spill_count: 0
    .wavefront_size: 64
  - .agpr_count:     0
    .args:
      - .offset:         0
        .size:           4
        .value_kind:     by_value
      - .offset:         4
        .size:           4
        .value_kind:     by_value
      - .offset:         8
        .size:           16
        .value_kind:     by_value
      - .offset:         24
        .size:           4
        .value_kind:     by_value
      - .actual_access:  read_only
        .address_space:  global
        .offset:         32
        .size:           8
        .value_kind:     global_buffer
      - .actual_access:  read_only
        .address_space:  global
        .offset:         40
        .size:           8
        .value_kind:     global_buffer
      - .actual_access:  read_only
        .address_space:  global
        .offset:         48
        .size:           8
        .value_kind:     global_buffer
      - .actual_access:  read_only
        .address_space:  global
        .offset:         56
        .size:           8
        .value_kind:     global_buffer
      - .actual_access:  read_only
        .address_space:  global
        .offset:         64
        .size:           8
        .value_kind:     global_buffer
      - .actual_access:  read_only
        .address_space:  global
        .offset:         72
        .size:           8
        .value_kind:     global_buffer
      - .offset:         80
        .size:           16
        .value_kind:     by_value
      - .address_space:  global
        .offset:         96
        .size:           8
        .value_kind:     global_buffer
      - .offset:         104
        .size:           4
        .value_kind:     by_value
      - .offset:         108
        .size:           1
        .value_kind:     by_value
    .group_segment_fixed_size: 0
    .kernarg_segment_align: 8
    .kernarg_segment_size: 112
    .language:       OpenCL C
    .language_version:
      - 2
      - 0
    .max_flat_workgroup_size: 128
    .name:           _ZN9rocsparseL18bsrxmvn_4x4_kernelILj128ELj16E21rocsparse_complex_numIdEiidS2_S2_EEvT3_20rocsparse_direction_NS_24const_host_device_scalarIT1_EES3_PKS3_PKT2_SC_S9_PKT4_PKT5_S7_PT6_21rocsparse_index_base_b
    .private_segment_fixed_size: 0
    .sgpr_count:     26
    .sgpr_spill_count: 0
    .symbol:         _ZN9rocsparseL18bsrxmvn_4x4_kernelILj128ELj16E21rocsparse_complex_numIdEiidS2_S2_EEvT3_20rocsparse_direction_NS_24const_host_device_scalarIT1_EES3_PKS3_PKT2_SC_S9_PKT4_PKT5_S7_PT6_21rocsparse_index_base_b.kd
    .uniform_work_group_size: 1
    .uses_dynamic_stack: false
    .vgpr_count:     112
    .vgpr_spill_count: 0
    .wavefront_size: 64
  - .agpr_count:     0
    .args:
      - .offset:         0
        .size:           4
        .value_kind:     by_value
      - .offset:         4
        .size:           4
        .value_kind:     by_value
      - .offset:         8
        .size:           16
        .value_kind:     by_value
      - .offset:         24
        .size:           4
        .value_kind:     by_value
      - .actual_access:  read_only
        .address_space:  global
        .offset:         32
        .size:           8
        .value_kind:     global_buffer
      - .actual_access:  read_only
        .address_space:  global
        .offset:         40
        .size:           8
        .value_kind:     global_buffer
      - .actual_access:  read_only
        .address_space:  global
        .offset:         48
        .size:           8
        .value_kind:     global_buffer
      - .actual_access:  read_only
        .address_space:  global
        .offset:         56
        .size:           8
        .value_kind:     global_buffer
      - .actual_access:  read_only
        .address_space:  global
        .offset:         64
        .size:           8
        .value_kind:     global_buffer
      - .actual_access:  read_only
        .address_space:  global
        .offset:         72
        .size:           8
        .value_kind:     global_buffer
      - .offset:         80
        .size:           16
        .value_kind:     by_value
      - .address_space:  global
        .offset:         96
        .size:           8
        .value_kind:     global_buffer
      - .offset:         104
        .size:           4
        .value_kind:     by_value
      - .offset:         108
        .size:           1
        .value_kind:     by_value
    .group_segment_fixed_size: 0
    .kernarg_segment_align: 8
    .kernarg_segment_size: 112
    .language:       OpenCL C
    .language_version:
      - 2
      - 0
    .max_flat_workgroup_size: 128
    .name:           _ZN9rocsparseL18bsrxmvn_4x4_kernelILj128ELj32E21rocsparse_complex_numIdEiidS2_S2_EEvT3_20rocsparse_direction_NS_24const_host_device_scalarIT1_EES3_PKS3_PKT2_SC_S9_PKT4_PKT5_S7_PT6_21rocsparse_index_base_b
    .private_segment_fixed_size: 0
    .sgpr_count:     33
    .sgpr_spill_count: 0
    .symbol:         _ZN9rocsparseL18bsrxmvn_4x4_kernelILj128ELj32E21rocsparse_complex_numIdEiidS2_S2_EEvT3_20rocsparse_direction_NS_24const_host_device_scalarIT1_EES3_PKS3_PKT2_SC_S9_PKT4_PKT5_S7_PT6_21rocsparse_index_base_b.kd
    .uniform_work_group_size: 1
    .uses_dynamic_stack: false
    .vgpr_count:     112
    .vgpr_spill_count: 0
    .wavefront_size: 64
  - .agpr_count:     0
    .args:
      - .offset:         0
        .size:           4
        .value_kind:     by_value
      - .offset:         4
        .size:           4
        .value_kind:     by_value
      - .offset:         8
        .size:           16
        .value_kind:     by_value
      - .offset:         24
        .size:           4
        .value_kind:     by_value
      - .actual_access:  read_only
        .address_space:  global
        .offset:         32
        .size:           8
        .value_kind:     global_buffer
      - .actual_access:  read_only
        .address_space:  global
        .offset:         40
        .size:           8
        .value_kind:     global_buffer
      - .actual_access:  read_only
        .address_space:  global
        .offset:         48
        .size:           8
        .value_kind:     global_buffer
      - .actual_access:  read_only
        .address_space:  global
        .offset:         56
        .size:           8
        .value_kind:     global_buffer
      - .actual_access:  read_only
        .address_space:  global
        .offset:         64
        .size:           8
        .value_kind:     global_buffer
      - .actual_access:  read_only
        .address_space:  global
        .offset:         72
        .size:           8
        .value_kind:     global_buffer
      - .offset:         80
        .size:           16
        .value_kind:     by_value
      - .address_space:  global
        .offset:         96
        .size:           8
        .value_kind:     global_buffer
      - .offset:         104
        .size:           4
        .value_kind:     by_value
      - .offset:         108
        .size:           1
        .value_kind:     by_value
    .group_segment_fixed_size: 0
    .kernarg_segment_align: 8
    .kernarg_segment_size: 112
    .language:       OpenCL C
    .language_version:
      - 2
      - 0
    .max_flat_workgroup_size: 128
    .name:           _ZN9rocsparseL18bsrxmvn_4x4_kernelILj128ELj64E21rocsparse_complex_numIdEiidS2_S2_EEvT3_20rocsparse_direction_NS_24const_host_device_scalarIT1_EES3_PKS3_PKT2_SC_S9_PKT4_PKT5_S7_PT6_21rocsparse_index_base_b
    .private_segment_fixed_size: 0
    .sgpr_count:     36
    .sgpr_spill_count: 0
    .symbol:         _ZN9rocsparseL18bsrxmvn_4x4_kernelILj128ELj64E21rocsparse_complex_numIdEiidS2_S2_EEvT3_20rocsparse_direction_NS_24const_host_device_scalarIT1_EES3_PKS3_PKT2_SC_S9_PKT4_PKT5_S7_PT6_21rocsparse_index_base_b.kd
    .uniform_work_group_size: 1
    .uses_dynamic_stack: false
    .vgpr_count:     110
    .vgpr_spill_count: 0
    .wavefront_size: 64
  - .agpr_count:     0
    .args:
      - .offset:         0
        .size:           4
        .value_kind:     by_value
      - .offset:         4
        .size:           4
        .value_kind:     by_value
      - .offset:         8
        .size:           16
        .value_kind:     by_value
      - .offset:         24
        .size:           4
        .value_kind:     by_value
      - .actual_access:  read_only
        .address_space:  global
        .offset:         32
        .size:           8
        .value_kind:     global_buffer
      - .actual_access:  read_only
        .address_space:  global
        .offset:         40
        .size:           8
        .value_kind:     global_buffer
      - .actual_access:  read_only
        .address_space:  global
        .offset:         48
        .size:           8
        .value_kind:     global_buffer
      - .actual_access:  read_only
        .address_space:  global
        .offset:         56
        .size:           8
        .value_kind:     global_buffer
      - .actual_access:  read_only
        .address_space:  global
        .offset:         64
        .size:           8
        .value_kind:     global_buffer
      - .actual_access:  read_only
        .address_space:  global
        .offset:         72
        .size:           8
        .value_kind:     global_buffer
      - .offset:         80
        .size:           16
        .value_kind:     by_value
      - .address_space:  global
        .offset:         96
        .size:           8
        .value_kind:     global_buffer
      - .offset:         104
        .size:           4
        .value_kind:     by_value
      - .offset:         108
        .size:           1
        .value_kind:     by_value
    .group_segment_fixed_size: 0
    .kernarg_segment_align: 8
    .kernarg_segment_size: 112
    .language:       OpenCL C
    .language_version:
      - 2
      - 0
    .max_flat_workgroup_size: 128
    .name:           _ZN9rocsparseL18bsrxmvn_4x4_kernelILj128ELj4E21rocsparse_complex_numIdElidS2_S2_EEvT3_20rocsparse_direction_NS_24const_host_device_scalarIT1_EES3_PKS3_PKT2_SC_S9_PKT4_PKT5_S7_PT6_21rocsparse_index_base_b
    .private_segment_fixed_size: 0
    .sgpr_count:     24
    .sgpr_spill_count: 0
    .symbol:         _ZN9rocsparseL18bsrxmvn_4x4_kernelILj128ELj4E21rocsparse_complex_numIdElidS2_S2_EEvT3_20rocsparse_direction_NS_24const_host_device_scalarIT1_EES3_PKS3_PKT2_SC_S9_PKT4_PKT5_S7_PT6_21rocsparse_index_base_b.kd
    .uniform_work_group_size: 1
    .uses_dynamic_stack: false
    .vgpr_count:     111
    .vgpr_spill_count: 0
    .wavefront_size: 64
  - .agpr_count:     0
    .args:
      - .offset:         0
        .size:           4
        .value_kind:     by_value
      - .offset:         4
        .size:           4
        .value_kind:     by_value
      - .offset:         8
        .size:           16
        .value_kind:     by_value
      - .offset:         24
        .size:           4
        .value_kind:     by_value
      - .actual_access:  read_only
        .address_space:  global
        .offset:         32
        .size:           8
        .value_kind:     global_buffer
      - .actual_access:  read_only
        .address_space:  global
        .offset:         40
        .size:           8
        .value_kind:     global_buffer
      - .actual_access:  read_only
        .address_space:  global
        .offset:         48
        .size:           8
        .value_kind:     global_buffer
      - .actual_access:  read_only
        .address_space:  global
        .offset:         56
        .size:           8
        .value_kind:     global_buffer
      - .actual_access:  read_only
        .address_space:  global
        .offset:         64
        .size:           8
        .value_kind:     global_buffer
      - .actual_access:  read_only
        .address_space:  global
        .offset:         72
        .size:           8
        .value_kind:     global_buffer
      - .offset:         80
        .size:           16
        .value_kind:     by_value
      - .address_space:  global
        .offset:         96
        .size:           8
        .value_kind:     global_buffer
      - .offset:         104
        .size:           4
        .value_kind:     by_value
      - .offset:         108
        .size:           1
        .value_kind:     by_value
    .group_segment_fixed_size: 0
    .kernarg_segment_align: 8
    .kernarg_segment_size: 112
    .language:       OpenCL C
    .language_version:
      - 2
      - 0
    .max_flat_workgroup_size: 128
    .name:           _ZN9rocsparseL18bsrxmvn_4x4_kernelILj128ELj8E21rocsparse_complex_numIdElidS2_S2_EEvT3_20rocsparse_direction_NS_24const_host_device_scalarIT1_EES3_PKS3_PKT2_SC_S9_PKT4_PKT5_S7_PT6_21rocsparse_index_base_b
    .private_segment_fixed_size: 0
    .sgpr_count:     26
    .sgpr_spill_count: 0
    .symbol:         _ZN9rocsparseL18bsrxmvn_4x4_kernelILj128ELj8E21rocsparse_complex_numIdElidS2_S2_EEvT3_20rocsparse_direction_NS_24const_host_device_scalarIT1_EES3_PKS3_PKT2_SC_S9_PKT4_PKT5_S7_PT6_21rocsparse_index_base_b.kd
    .uniform_work_group_size: 1
    .uses_dynamic_stack: false
    .vgpr_count:     111
    .vgpr_spill_count: 0
    .wavefront_size: 64
  - .agpr_count:     0
    .args:
      - .offset:         0
        .size:           4
        .value_kind:     by_value
      - .offset:         4
        .size:           4
        .value_kind:     by_value
      - .offset:         8
        .size:           16
        .value_kind:     by_value
      - .offset:         24
        .size:           4
        .value_kind:     by_value
      - .actual_access:  read_only
        .address_space:  global
        .offset:         32
        .size:           8
        .value_kind:     global_buffer
      - .actual_access:  read_only
        .address_space:  global
        .offset:         40
        .size:           8
        .value_kind:     global_buffer
      - .actual_access:  read_only
        .address_space:  global
        .offset:         48
        .size:           8
        .value_kind:     global_buffer
      - .actual_access:  read_only
        .address_space:  global
        .offset:         56
        .size:           8
        .value_kind:     global_buffer
      - .actual_access:  read_only
        .address_space:  global
        .offset:         64
        .size:           8
        .value_kind:     global_buffer
      - .actual_access:  read_only
        .address_space:  global
        .offset:         72
        .size:           8
        .value_kind:     global_buffer
      - .offset:         80
        .size:           16
        .value_kind:     by_value
      - .address_space:  global
        .offset:         96
        .size:           8
        .value_kind:     global_buffer
      - .offset:         104
        .size:           4
        .value_kind:     by_value
      - .offset:         108
        .size:           1
        .value_kind:     by_value
    .group_segment_fixed_size: 0
    .kernarg_segment_align: 8
    .kernarg_segment_size: 112
    .language:       OpenCL C
    .language_version:
      - 2
      - 0
    .max_flat_workgroup_size: 128
    .name:           _ZN9rocsparseL18bsrxmvn_4x4_kernelILj128ELj16E21rocsparse_complex_numIdElidS2_S2_EEvT3_20rocsparse_direction_NS_24const_host_device_scalarIT1_EES3_PKS3_PKT2_SC_S9_PKT4_PKT5_S7_PT6_21rocsparse_index_base_b
    .private_segment_fixed_size: 0
    .sgpr_count:     28
    .sgpr_spill_count: 0
    .symbol:         _ZN9rocsparseL18bsrxmvn_4x4_kernelILj128ELj16E21rocsparse_complex_numIdElidS2_S2_EEvT3_20rocsparse_direction_NS_24const_host_device_scalarIT1_EES3_PKS3_PKT2_SC_S9_PKT4_PKT5_S7_PT6_21rocsparse_index_base_b.kd
    .uniform_work_group_size: 1
    .uses_dynamic_stack: false
    .vgpr_count:     107
    .vgpr_spill_count: 0
    .wavefront_size: 64
  - .agpr_count:     0
    .args:
      - .offset:         0
        .size:           4
        .value_kind:     by_value
      - .offset:         4
        .size:           4
        .value_kind:     by_value
      - .offset:         8
        .size:           16
        .value_kind:     by_value
      - .offset:         24
        .size:           4
        .value_kind:     by_value
      - .actual_access:  read_only
        .address_space:  global
        .offset:         32
        .size:           8
        .value_kind:     global_buffer
      - .actual_access:  read_only
        .address_space:  global
        .offset:         40
        .size:           8
        .value_kind:     global_buffer
      - .actual_access:  read_only
        .address_space:  global
        .offset:         48
        .size:           8
        .value_kind:     global_buffer
      - .actual_access:  read_only
        .address_space:  global
        .offset:         56
        .size:           8
        .value_kind:     global_buffer
      - .actual_access:  read_only
        .address_space:  global
        .offset:         64
        .size:           8
        .value_kind:     global_buffer
      - .actual_access:  read_only
        .address_space:  global
        .offset:         72
        .size:           8
        .value_kind:     global_buffer
      - .offset:         80
        .size:           16
        .value_kind:     by_value
      - .address_space:  global
        .offset:         96
        .size:           8
        .value_kind:     global_buffer
      - .offset:         104
        .size:           4
        .value_kind:     by_value
      - .offset:         108
        .size:           1
        .value_kind:     by_value
    .group_segment_fixed_size: 0
    .kernarg_segment_align: 8
    .kernarg_segment_size: 112
    .language:       OpenCL C
    .language_version:
      - 2
      - 0
    .max_flat_workgroup_size: 128
    .name:           _ZN9rocsparseL18bsrxmvn_4x4_kernelILj128ELj32E21rocsparse_complex_numIdElidS2_S2_EEvT3_20rocsparse_direction_NS_24const_host_device_scalarIT1_EES3_PKS3_PKT2_SC_S9_PKT4_PKT5_S7_PT6_21rocsparse_index_base_b
    .private_segment_fixed_size: 0
    .sgpr_count:     35
    .sgpr_spill_count: 0
    .symbol:         _ZN9rocsparseL18bsrxmvn_4x4_kernelILj128ELj32E21rocsparse_complex_numIdElidS2_S2_EEvT3_20rocsparse_direction_NS_24const_host_device_scalarIT1_EES3_PKS3_PKT2_SC_S9_PKT4_PKT5_S7_PT6_21rocsparse_index_base_b.kd
    .uniform_work_group_size: 1
    .uses_dynamic_stack: false
    .vgpr_count:     110
    .vgpr_spill_count: 0
    .wavefront_size: 64
  - .agpr_count:     0
    .args:
      - .offset:         0
        .size:           4
        .value_kind:     by_value
      - .offset:         4
        .size:           4
        .value_kind:     by_value
      - .offset:         8
        .size:           16
        .value_kind:     by_value
      - .offset:         24
        .size:           4
        .value_kind:     by_value
      - .actual_access:  read_only
        .address_space:  global
        .offset:         32
        .size:           8
        .value_kind:     global_buffer
      - .actual_access:  read_only
        .address_space:  global
        .offset:         40
        .size:           8
        .value_kind:     global_buffer
      - .actual_access:  read_only
        .address_space:  global
        .offset:         48
        .size:           8
        .value_kind:     global_buffer
      - .actual_access:  read_only
        .address_space:  global
        .offset:         56
        .size:           8
        .value_kind:     global_buffer
      - .actual_access:  read_only
        .address_space:  global
        .offset:         64
        .size:           8
        .value_kind:     global_buffer
      - .actual_access:  read_only
        .address_space:  global
        .offset:         72
        .size:           8
        .value_kind:     global_buffer
      - .offset:         80
        .size:           16
        .value_kind:     by_value
      - .address_space:  global
        .offset:         96
        .size:           8
        .value_kind:     global_buffer
      - .offset:         104
        .size:           4
        .value_kind:     by_value
      - .offset:         108
        .size:           1
        .value_kind:     by_value
    .group_segment_fixed_size: 0
    .kernarg_segment_align: 8
    .kernarg_segment_size: 112
    .language:       OpenCL C
    .language_version:
      - 2
      - 0
    .max_flat_workgroup_size: 128
    .name:           _ZN9rocsparseL18bsrxmvn_4x4_kernelILj128ELj64E21rocsparse_complex_numIdElidS2_S2_EEvT3_20rocsparse_direction_NS_24const_host_device_scalarIT1_EES3_PKS3_PKT2_SC_S9_PKT4_PKT5_S7_PT6_21rocsparse_index_base_b
    .private_segment_fixed_size: 0
    .sgpr_count:     36
    .sgpr_spill_count: 0
    .symbol:         _ZN9rocsparseL18bsrxmvn_4x4_kernelILj128ELj64E21rocsparse_complex_numIdElidS2_S2_EEvT3_20rocsparse_direction_NS_24const_host_device_scalarIT1_EES3_PKS3_PKT2_SC_S9_PKT4_PKT5_S7_PT6_21rocsparse_index_base_b.kd
    .uniform_work_group_size: 1
    .uses_dynamic_stack: false
    .vgpr_count:     112
    .vgpr_spill_count: 0
    .wavefront_size: 64
  - .agpr_count:     0
    .args:
      - .offset:         0
        .size:           8
        .value_kind:     by_value
      - .offset:         8
        .size:           4
        .value_kind:     by_value
      - .offset:         16
        .size:           16
        .value_kind:     by_value
      - .offset:         32
        .size:           8
        .value_kind:     by_value
      - .actual_access:  read_only
        .address_space:  global
        .offset:         40
        .size:           8
        .value_kind:     global_buffer
      - .actual_access:  read_only
        .address_space:  global
        .offset:         48
        .size:           8
        .value_kind:     global_buffer
      - .actual_access:  read_only
        .address_space:  global
        .offset:         56
        .size:           8
        .value_kind:     global_buffer
      - .actual_access:  read_only
        .address_space:  global
        .offset:         64
        .size:           8
        .value_kind:     global_buffer
      - .actual_access:  read_only
        .address_space:  global
        .offset:         72
        .size:           8
        .value_kind:     global_buffer
      - .actual_access:  read_only
        .address_space:  global
        .offset:         80
        .size:           8
        .value_kind:     global_buffer
      - .offset:         88
        .size:           16
        .value_kind:     by_value
      - .address_space:  global
        .offset:         104
        .size:           8
        .value_kind:     global_buffer
      - .offset:         112
        .size:           4
        .value_kind:     by_value
      - .offset:         116
        .size:           1
        .value_kind:     by_value
    .group_segment_fixed_size: 0
    .kernarg_segment_align: 8
    .kernarg_segment_size: 120
    .language:       OpenCL C
    .language_version:
      - 2
      - 0
    .max_flat_workgroup_size: 128
    .name:           _ZN9rocsparseL18bsrxmvn_4x4_kernelILj128ELj4E21rocsparse_complex_numIdElldS2_S2_EEvT3_20rocsparse_direction_NS_24const_host_device_scalarIT1_EES3_PKS3_PKT2_SC_S9_PKT4_PKT5_S7_PT6_21rocsparse_index_base_b
    .private_segment_fixed_size: 0
    .sgpr_count:     24
    .sgpr_spill_count: 0
    .symbol:         _ZN9rocsparseL18bsrxmvn_4x4_kernelILj128ELj4E21rocsparse_complex_numIdElldS2_S2_EEvT3_20rocsparse_direction_NS_24const_host_device_scalarIT1_EES3_PKS3_PKT2_SC_S9_PKT4_PKT5_S7_PT6_21rocsparse_index_base_b.kd
    .uniform_work_group_size: 1
    .uses_dynamic_stack: false
    .vgpr_count:     110
    .vgpr_spill_count: 0
    .wavefront_size: 64
  - .agpr_count:     0
    .args:
      - .offset:         0
        .size:           8
        .value_kind:     by_value
      - .offset:         8
        .size:           4
        .value_kind:     by_value
      - .offset:         16
        .size:           16
        .value_kind:     by_value
      - .offset:         32
        .size:           8
        .value_kind:     by_value
      - .actual_access:  read_only
        .address_space:  global
        .offset:         40
        .size:           8
        .value_kind:     global_buffer
      - .actual_access:  read_only
        .address_space:  global
        .offset:         48
        .size:           8
        .value_kind:     global_buffer
      - .actual_access:  read_only
        .address_space:  global
        .offset:         56
        .size:           8
        .value_kind:     global_buffer
      - .actual_access:  read_only
        .address_space:  global
        .offset:         64
        .size:           8
        .value_kind:     global_buffer
      - .actual_access:  read_only
        .address_space:  global
        .offset:         72
        .size:           8
        .value_kind:     global_buffer
      - .actual_access:  read_only
        .address_space:  global
        .offset:         80
        .size:           8
        .value_kind:     global_buffer
      - .offset:         88
        .size:           16
        .value_kind:     by_value
      - .address_space:  global
        .offset:         104
        .size:           8
        .value_kind:     global_buffer
      - .offset:         112
        .size:           4
        .value_kind:     by_value
      - .offset:         116
        .size:           1
        .value_kind:     by_value
    .group_segment_fixed_size: 0
    .kernarg_segment_align: 8
    .kernarg_segment_size: 120
    .language:       OpenCL C
    .language_version:
      - 2
      - 0
    .max_flat_workgroup_size: 128
    .name:           _ZN9rocsparseL18bsrxmvn_4x4_kernelILj128ELj8E21rocsparse_complex_numIdElldS2_S2_EEvT3_20rocsparse_direction_NS_24const_host_device_scalarIT1_EES3_PKS3_PKT2_SC_S9_PKT4_PKT5_S7_PT6_21rocsparse_index_base_b
    .private_segment_fixed_size: 0
    .sgpr_count:     24
    .sgpr_spill_count: 0
    .symbol:         _ZN9rocsparseL18bsrxmvn_4x4_kernelILj128ELj8E21rocsparse_complex_numIdElldS2_S2_EEvT3_20rocsparse_direction_NS_24const_host_device_scalarIT1_EES3_PKS3_PKT2_SC_S9_PKT4_PKT5_S7_PT6_21rocsparse_index_base_b.kd
    .uniform_work_group_size: 1
    .uses_dynamic_stack: false
    .vgpr_count:     110
    .vgpr_spill_count: 0
    .wavefront_size: 64
  - .agpr_count:     0
    .args:
      - .offset:         0
        .size:           8
        .value_kind:     by_value
      - .offset:         8
        .size:           4
        .value_kind:     by_value
      - .offset:         16
        .size:           16
        .value_kind:     by_value
      - .offset:         32
        .size:           8
        .value_kind:     by_value
      - .actual_access:  read_only
        .address_space:  global
        .offset:         40
        .size:           8
        .value_kind:     global_buffer
      - .actual_access:  read_only
        .address_space:  global
        .offset:         48
        .size:           8
        .value_kind:     global_buffer
      - .actual_access:  read_only
        .address_space:  global
        .offset:         56
        .size:           8
        .value_kind:     global_buffer
      - .actual_access:  read_only
        .address_space:  global
        .offset:         64
        .size:           8
        .value_kind:     global_buffer
      - .actual_access:  read_only
        .address_space:  global
        .offset:         72
        .size:           8
        .value_kind:     global_buffer
      - .actual_access:  read_only
        .address_space:  global
        .offset:         80
        .size:           8
        .value_kind:     global_buffer
      - .offset:         88
        .size:           16
        .value_kind:     by_value
      - .address_space:  global
        .offset:         104
        .size:           8
        .value_kind:     global_buffer
      - .offset:         112
        .size:           4
        .value_kind:     by_value
      - .offset:         116
        .size:           1
        .value_kind:     by_value
    .group_segment_fixed_size: 0
    .kernarg_segment_align: 8
    .kernarg_segment_size: 120
    .language:       OpenCL C
    .language_version:
      - 2
      - 0
    .max_flat_workgroup_size: 128
    .name:           _ZN9rocsparseL18bsrxmvn_4x4_kernelILj128ELj16E21rocsparse_complex_numIdElldS2_S2_EEvT3_20rocsparse_direction_NS_24const_host_device_scalarIT1_EES3_PKS3_PKT2_SC_S9_PKT4_PKT5_S7_PT6_21rocsparse_index_base_b
    .private_segment_fixed_size: 0
    .sgpr_count:     27
    .sgpr_spill_count: 0
    .symbol:         _ZN9rocsparseL18bsrxmvn_4x4_kernelILj128ELj16E21rocsparse_complex_numIdElldS2_S2_EEvT3_20rocsparse_direction_NS_24const_host_device_scalarIT1_EES3_PKS3_PKT2_SC_S9_PKT4_PKT5_S7_PT6_21rocsparse_index_base_b.kd
    .uniform_work_group_size: 1
    .uses_dynamic_stack: false
    .vgpr_count:     116
    .vgpr_spill_count: 0
    .wavefront_size: 64
  - .agpr_count:     0
    .args:
      - .offset:         0
        .size:           8
        .value_kind:     by_value
      - .offset:         8
        .size:           4
        .value_kind:     by_value
      - .offset:         16
        .size:           16
        .value_kind:     by_value
      - .offset:         32
        .size:           8
        .value_kind:     by_value
      - .actual_access:  read_only
        .address_space:  global
        .offset:         40
        .size:           8
        .value_kind:     global_buffer
      - .actual_access:  read_only
        .address_space:  global
        .offset:         48
        .size:           8
        .value_kind:     global_buffer
      - .actual_access:  read_only
        .address_space:  global
        .offset:         56
        .size:           8
        .value_kind:     global_buffer
      - .actual_access:  read_only
        .address_space:  global
        .offset:         64
        .size:           8
        .value_kind:     global_buffer
      - .actual_access:  read_only
        .address_space:  global
        .offset:         72
        .size:           8
        .value_kind:     global_buffer
      - .actual_access:  read_only
        .address_space:  global
        .offset:         80
        .size:           8
        .value_kind:     global_buffer
      - .offset:         88
        .size:           16
        .value_kind:     by_value
      - .address_space:  global
        .offset:         104
        .size:           8
        .value_kind:     global_buffer
      - .offset:         112
        .size:           4
        .value_kind:     by_value
      - .offset:         116
        .size:           1
        .value_kind:     by_value
    .group_segment_fixed_size: 0
    .kernarg_segment_align: 8
    .kernarg_segment_size: 120
    .language:       OpenCL C
    .language_version:
      - 2
      - 0
    .max_flat_workgroup_size: 128
    .name:           _ZN9rocsparseL18bsrxmvn_4x4_kernelILj128ELj32E21rocsparse_complex_numIdElldS2_S2_EEvT3_20rocsparse_direction_NS_24const_host_device_scalarIT1_EES3_PKS3_PKT2_SC_S9_PKT4_PKT5_S7_PT6_21rocsparse_index_base_b
    .private_segment_fixed_size: 0
    .sgpr_count:     34
    .sgpr_spill_count: 0
    .symbol:         _ZN9rocsparseL18bsrxmvn_4x4_kernelILj128ELj32E21rocsparse_complex_numIdElldS2_S2_EEvT3_20rocsparse_direction_NS_24const_host_device_scalarIT1_EES3_PKS3_PKT2_SC_S9_PKT4_PKT5_S7_PT6_21rocsparse_index_base_b.kd
    .uniform_work_group_size: 1
    .uses_dynamic_stack: false
    .vgpr_count:     116
    .vgpr_spill_count: 0
    .wavefront_size: 64
  - .agpr_count:     0
    .args:
      - .offset:         0
        .size:           8
        .value_kind:     by_value
      - .offset:         8
        .size:           4
        .value_kind:     by_value
      - .offset:         16
        .size:           16
        .value_kind:     by_value
      - .offset:         32
        .size:           8
        .value_kind:     by_value
      - .actual_access:  read_only
        .address_space:  global
        .offset:         40
        .size:           8
        .value_kind:     global_buffer
      - .actual_access:  read_only
        .address_space:  global
        .offset:         48
        .size:           8
        .value_kind:     global_buffer
      - .actual_access:  read_only
        .address_space:  global
        .offset:         56
        .size:           8
        .value_kind:     global_buffer
      - .actual_access:  read_only
        .address_space:  global
        .offset:         64
        .size:           8
        .value_kind:     global_buffer
      - .actual_access:  read_only
        .address_space:  global
        .offset:         72
        .size:           8
        .value_kind:     global_buffer
      - .actual_access:  read_only
        .address_space:  global
        .offset:         80
        .size:           8
        .value_kind:     global_buffer
      - .offset:         88
        .size:           16
        .value_kind:     by_value
      - .address_space:  global
        .offset:         104
        .size:           8
        .value_kind:     global_buffer
      - .offset:         112
        .size:           4
        .value_kind:     by_value
      - .offset:         116
        .size:           1
        .value_kind:     by_value
    .group_segment_fixed_size: 0
    .kernarg_segment_align: 8
    .kernarg_segment_size: 120
    .language:       OpenCL C
    .language_version:
      - 2
      - 0
    .max_flat_workgroup_size: 128
    .name:           _ZN9rocsparseL18bsrxmvn_4x4_kernelILj128ELj64E21rocsparse_complex_numIdElldS2_S2_EEvT3_20rocsparse_direction_NS_24const_host_device_scalarIT1_EES3_PKS3_PKT2_SC_S9_PKT4_PKT5_S7_PT6_21rocsparse_index_base_b
    .private_segment_fixed_size: 0
    .sgpr_count:     35
    .sgpr_spill_count: 0
    .symbol:         _ZN9rocsparseL18bsrxmvn_4x4_kernelILj128ELj64E21rocsparse_complex_numIdElldS2_S2_EEvT3_20rocsparse_direction_NS_24const_host_device_scalarIT1_EES3_PKS3_PKT2_SC_S9_PKT4_PKT5_S7_PT6_21rocsparse_index_base_b.kd
    .uniform_work_group_size: 1
    .uses_dynamic_stack: false
    .vgpr_count:     110
    .vgpr_spill_count: 0
    .wavefront_size: 64
  - .agpr_count:     0
    .args:
      - .offset:         0
        .size:           4
        .value_kind:     by_value
      - .offset:         4
        .size:           4
        .value_kind:     by_value
      - .offset:         8
        .size:           8
        .value_kind:     by_value
      - .offset:         16
        .size:           4
        .value_kind:     by_value
      - .actual_access:  read_only
        .address_space:  global
        .offset:         24
        .size:           8
        .value_kind:     global_buffer
      - .actual_access:  read_only
        .address_space:  global
        .offset:         32
        .size:           8
        .value_kind:     global_buffer
      - .actual_access:  read_only
        .address_space:  global
        .offset:         40
        .size:           8
        .value_kind:     global_buffer
      - .actual_access:  read_only
        .address_space:  global
        .offset:         48
        .size:           8
        .value_kind:     global_buffer
      - .actual_access:  read_only
        .address_space:  global
        .offset:         56
        .size:           8
        .value_kind:     global_buffer
      - .actual_access:  read_only
        .address_space:  global
        .offset:         64
        .size:           8
        .value_kind:     global_buffer
      - .offset:         72
        .size:           8
        .value_kind:     by_value
      - .address_space:  global
        .offset:         80
        .size:           8
        .value_kind:     global_buffer
      - .offset:         88
        .size:           4
        .value_kind:     by_value
      - .offset:         92
        .size:           1
        .value_kind:     by_value
    .group_segment_fixed_size: 0
    .kernarg_segment_align: 8
    .kernarg_segment_size: 96
    .language:       OpenCL C
    .language_version:
      - 2
      - 0
    .max_flat_workgroup_size: 128
    .name:           _ZN9rocsparseL18bsrxmvn_4x4_kernelILj128ELj4EdiifddEEvT3_20rocsparse_direction_NS_24const_host_device_scalarIT1_EES1_PKS1_PKT2_SA_S7_PKT4_PKT5_S5_PT6_21rocsparse_index_base_b
    .private_segment_fixed_size: 0
    .sgpr_count:     24
    .sgpr_spill_count: 0
    .symbol:         _ZN9rocsparseL18bsrxmvn_4x4_kernelILj128ELj4EdiifddEEvT3_20rocsparse_direction_NS_24const_host_device_scalarIT1_EES1_PKS1_PKT2_SA_S7_PKT4_PKT5_S5_PT6_21rocsparse_index_base_b.kd
    .uniform_work_group_size: 1
    .uses_dynamic_stack: false
    .vgpr_count:     122
    .vgpr_spill_count: 0
    .wavefront_size: 64
  - .agpr_count:     0
    .args:
      - .offset:         0
        .size:           4
        .value_kind:     by_value
      - .offset:         4
        .size:           4
        .value_kind:     by_value
      - .offset:         8
        .size:           8
        .value_kind:     by_value
      - .offset:         16
        .size:           4
        .value_kind:     by_value
      - .actual_access:  read_only
        .address_space:  global
        .offset:         24
        .size:           8
        .value_kind:     global_buffer
      - .actual_access:  read_only
        .address_space:  global
        .offset:         32
        .size:           8
        .value_kind:     global_buffer
      - .actual_access:  read_only
        .address_space:  global
        .offset:         40
        .size:           8
        .value_kind:     global_buffer
      - .actual_access:  read_only
        .address_space:  global
        .offset:         48
        .size:           8
        .value_kind:     global_buffer
      - .actual_access:  read_only
        .address_space:  global
        .offset:         56
        .size:           8
        .value_kind:     global_buffer
      - .actual_access:  read_only
        .address_space:  global
        .offset:         64
        .size:           8
        .value_kind:     global_buffer
      - .offset:         72
        .size:           8
        .value_kind:     by_value
      - .address_space:  global
        .offset:         80
        .size:           8
        .value_kind:     global_buffer
      - .offset:         88
        .size:           4
        .value_kind:     by_value
      - .offset:         92
        .size:           1
        .value_kind:     by_value
    .group_segment_fixed_size: 0
    .kernarg_segment_align: 8
    .kernarg_segment_size: 96
    .language:       OpenCL C
    .language_version:
      - 2
      - 0
    .max_flat_workgroup_size: 128
    .name:           _ZN9rocsparseL18bsrxmvn_4x4_kernelILj128ELj8EdiifddEEvT3_20rocsparse_direction_NS_24const_host_device_scalarIT1_EES1_PKS1_PKT2_SA_S7_PKT4_PKT5_S5_PT6_21rocsparse_index_base_b
    .private_segment_fixed_size: 0
    .sgpr_count:     24
    .sgpr_spill_count: 0
    .symbol:         _ZN9rocsparseL18bsrxmvn_4x4_kernelILj128ELj8EdiifddEEvT3_20rocsparse_direction_NS_24const_host_device_scalarIT1_EES1_PKS1_PKT2_SA_S7_PKT4_PKT5_S5_PT6_21rocsparse_index_base_b.kd
    .uniform_work_group_size: 1
    .uses_dynamic_stack: false
    .vgpr_count:     122
    .vgpr_spill_count: 0
    .wavefront_size: 64
  - .agpr_count:     0
    .args:
      - .offset:         0
        .size:           4
        .value_kind:     by_value
      - .offset:         4
        .size:           4
        .value_kind:     by_value
      - .offset:         8
        .size:           8
        .value_kind:     by_value
      - .offset:         16
        .size:           4
        .value_kind:     by_value
      - .actual_access:  read_only
        .address_space:  global
        .offset:         24
        .size:           8
        .value_kind:     global_buffer
      - .actual_access:  read_only
        .address_space:  global
        .offset:         32
        .size:           8
        .value_kind:     global_buffer
      - .actual_access:  read_only
        .address_space:  global
        .offset:         40
        .size:           8
        .value_kind:     global_buffer
      - .actual_access:  read_only
        .address_space:  global
        .offset:         48
        .size:           8
        .value_kind:     global_buffer
      - .actual_access:  read_only
        .address_space:  global
        .offset:         56
        .size:           8
        .value_kind:     global_buffer
      - .actual_access:  read_only
        .address_space:  global
        .offset:         64
        .size:           8
        .value_kind:     global_buffer
      - .offset:         72
        .size:           8
        .value_kind:     by_value
      - .address_space:  global
        .offset:         80
        .size:           8
        .value_kind:     global_buffer
      - .offset:         88
        .size:           4
        .value_kind:     by_value
      - .offset:         92
        .size:           1
        .value_kind:     by_value
    .group_segment_fixed_size: 0
    .kernarg_segment_align: 8
    .kernarg_segment_size: 96
    .language:       OpenCL C
    .language_version:
      - 2
      - 0
    .max_flat_workgroup_size: 128
    .name:           _ZN9rocsparseL18bsrxmvn_4x4_kernelILj128ELj16EdiifddEEvT3_20rocsparse_direction_NS_24const_host_device_scalarIT1_EES1_PKS1_PKT2_SA_S7_PKT4_PKT5_S5_PT6_21rocsparse_index_base_b
    .private_segment_fixed_size: 0
    .sgpr_count:     24
    .sgpr_spill_count: 0
    .symbol:         _ZN9rocsparseL18bsrxmvn_4x4_kernelILj128ELj16EdiifddEEvT3_20rocsparse_direction_NS_24const_host_device_scalarIT1_EES1_PKS1_PKT2_SA_S7_PKT4_PKT5_S5_PT6_21rocsparse_index_base_b.kd
    .uniform_work_group_size: 1
    .uses_dynamic_stack: false
    .vgpr_count:     122
    .vgpr_spill_count: 0
    .wavefront_size: 64
  - .agpr_count:     0
    .args:
      - .offset:         0
        .size:           4
        .value_kind:     by_value
      - .offset:         4
        .size:           4
        .value_kind:     by_value
      - .offset:         8
        .size:           8
        .value_kind:     by_value
      - .offset:         16
        .size:           4
        .value_kind:     by_value
      - .actual_access:  read_only
        .address_space:  global
        .offset:         24
        .size:           8
        .value_kind:     global_buffer
      - .actual_access:  read_only
        .address_space:  global
        .offset:         32
        .size:           8
        .value_kind:     global_buffer
      - .actual_access:  read_only
        .address_space:  global
        .offset:         40
        .size:           8
        .value_kind:     global_buffer
      - .actual_access:  read_only
        .address_space:  global
        .offset:         48
        .size:           8
        .value_kind:     global_buffer
      - .actual_access:  read_only
        .address_space:  global
        .offset:         56
        .size:           8
        .value_kind:     global_buffer
      - .actual_access:  read_only
        .address_space:  global
        .offset:         64
        .size:           8
        .value_kind:     global_buffer
      - .offset:         72
        .size:           8
        .value_kind:     by_value
      - .address_space:  global
        .offset:         80
        .size:           8
        .value_kind:     global_buffer
      - .offset:         88
        .size:           4
        .value_kind:     by_value
      - .offset:         92
        .size:           1
        .value_kind:     by_value
    .group_segment_fixed_size: 0
    .kernarg_segment_align: 8
    .kernarg_segment_size: 96
    .language:       OpenCL C
    .language_version:
      - 2
      - 0
    .max_flat_workgroup_size: 128
    .name:           _ZN9rocsparseL18bsrxmvn_4x4_kernelILj128ELj32EdiifddEEvT3_20rocsparse_direction_NS_24const_host_device_scalarIT1_EES1_PKS1_PKT2_SA_S7_PKT4_PKT5_S5_PT6_21rocsparse_index_base_b
    .private_segment_fixed_size: 0
    .sgpr_count:     26
    .sgpr_spill_count: 0
    .symbol:         _ZN9rocsparseL18bsrxmvn_4x4_kernelILj128ELj32EdiifddEEvT3_20rocsparse_direction_NS_24const_host_device_scalarIT1_EES1_PKS1_PKT2_SA_S7_PKT4_PKT5_S5_PT6_21rocsparse_index_base_b.kd
    .uniform_work_group_size: 1
    .uses_dynamic_stack: false
    .vgpr_count:     122
    .vgpr_spill_count: 0
    .wavefront_size: 64
  - .agpr_count:     0
    .args:
      - .offset:         0
        .size:           4
        .value_kind:     by_value
      - .offset:         4
        .size:           4
        .value_kind:     by_value
      - .offset:         8
        .size:           8
        .value_kind:     by_value
      - .offset:         16
        .size:           4
        .value_kind:     by_value
      - .actual_access:  read_only
        .address_space:  global
        .offset:         24
        .size:           8
        .value_kind:     global_buffer
      - .actual_access:  read_only
        .address_space:  global
        .offset:         32
        .size:           8
        .value_kind:     global_buffer
      - .actual_access:  read_only
        .address_space:  global
        .offset:         40
        .size:           8
        .value_kind:     global_buffer
      - .actual_access:  read_only
        .address_space:  global
        .offset:         48
        .size:           8
        .value_kind:     global_buffer
      - .actual_access:  read_only
        .address_space:  global
        .offset:         56
        .size:           8
        .value_kind:     global_buffer
      - .actual_access:  read_only
        .address_space:  global
        .offset:         64
        .size:           8
        .value_kind:     global_buffer
      - .offset:         72
        .size:           8
        .value_kind:     by_value
      - .address_space:  global
        .offset:         80
        .size:           8
        .value_kind:     global_buffer
      - .offset:         88
        .size:           4
        .value_kind:     by_value
      - .offset:         92
        .size:           1
        .value_kind:     by_value
    .group_segment_fixed_size: 0
    .kernarg_segment_align: 8
    .kernarg_segment_size: 96
    .language:       OpenCL C
    .language_version:
      - 2
      - 0
    .max_flat_workgroup_size: 128
    .name:           _ZN9rocsparseL18bsrxmvn_4x4_kernelILj128ELj64EdiifddEEvT3_20rocsparse_direction_NS_24const_host_device_scalarIT1_EES1_PKS1_PKT2_SA_S7_PKT4_PKT5_S5_PT6_21rocsparse_index_base_b
    .private_segment_fixed_size: 0
    .sgpr_count:     31
    .sgpr_spill_count: 0
    .symbol:         _ZN9rocsparseL18bsrxmvn_4x4_kernelILj128ELj64EdiifddEEvT3_20rocsparse_direction_NS_24const_host_device_scalarIT1_EES1_PKS1_PKT2_SA_S7_PKT4_PKT5_S5_PT6_21rocsparse_index_base_b.kd
    .uniform_work_group_size: 1
    .uses_dynamic_stack: false
    .vgpr_count:     120
    .vgpr_spill_count: 0
    .wavefront_size: 64
  - .agpr_count:     0
    .args:
      - .offset:         0
        .size:           4
        .value_kind:     by_value
      - .offset:         4
        .size:           4
        .value_kind:     by_value
      - .offset:         8
        .size:           8
        .value_kind:     by_value
      - .offset:         16
        .size:           4
        .value_kind:     by_value
      - .actual_access:  read_only
        .address_space:  global
        .offset:         24
        .size:           8
        .value_kind:     global_buffer
      - .actual_access:  read_only
        .address_space:  global
        .offset:         32
        .size:           8
        .value_kind:     global_buffer
      - .actual_access:  read_only
        .address_space:  global
        .offset:         40
        .size:           8
        .value_kind:     global_buffer
      - .actual_access:  read_only
        .address_space:  global
        .offset:         48
        .size:           8
        .value_kind:     global_buffer
      - .actual_access:  read_only
        .address_space:  global
        .offset:         56
        .size:           8
        .value_kind:     global_buffer
      - .actual_access:  read_only
        .address_space:  global
        .offset:         64
        .size:           8
        .value_kind:     global_buffer
      - .offset:         72
        .size:           8
        .value_kind:     by_value
      - .address_space:  global
        .offset:         80
        .size:           8
        .value_kind:     global_buffer
      - .offset:         88
        .size:           4
        .value_kind:     by_value
      - .offset:         92
        .size:           1
        .value_kind:     by_value
    .group_segment_fixed_size: 0
    .kernarg_segment_align: 8
    .kernarg_segment_size: 96
    .language:       OpenCL C
    .language_version:
      - 2
      - 0
    .max_flat_workgroup_size: 128
    .name:           _ZN9rocsparseL18bsrxmvn_4x4_kernelILj128ELj4EdlifddEEvT3_20rocsparse_direction_NS_24const_host_device_scalarIT1_EES1_PKS1_PKT2_SA_S7_PKT4_PKT5_S5_PT6_21rocsparse_index_base_b
    .private_segment_fixed_size: 0
    .sgpr_count:     24
    .sgpr_spill_count: 0
    .symbol:         _ZN9rocsparseL18bsrxmvn_4x4_kernelILj128ELj4EdlifddEEvT3_20rocsparse_direction_NS_24const_host_device_scalarIT1_EES1_PKS1_PKT2_SA_S7_PKT4_PKT5_S5_PT6_21rocsparse_index_base_b.kd
    .uniform_work_group_size: 1
    .uses_dynamic_stack: false
    .vgpr_count:     118
    .vgpr_spill_count: 0
    .wavefront_size: 64
  - .agpr_count:     0
    .args:
      - .offset:         0
        .size:           4
        .value_kind:     by_value
      - .offset:         4
        .size:           4
        .value_kind:     by_value
      - .offset:         8
        .size:           8
        .value_kind:     by_value
      - .offset:         16
        .size:           4
        .value_kind:     by_value
      - .actual_access:  read_only
        .address_space:  global
        .offset:         24
        .size:           8
        .value_kind:     global_buffer
      - .actual_access:  read_only
        .address_space:  global
        .offset:         32
        .size:           8
        .value_kind:     global_buffer
      - .actual_access:  read_only
        .address_space:  global
        .offset:         40
        .size:           8
        .value_kind:     global_buffer
      - .actual_access:  read_only
        .address_space:  global
        .offset:         48
        .size:           8
        .value_kind:     global_buffer
      - .actual_access:  read_only
        .address_space:  global
        .offset:         56
        .size:           8
        .value_kind:     global_buffer
      - .actual_access:  read_only
        .address_space:  global
        .offset:         64
        .size:           8
        .value_kind:     global_buffer
      - .offset:         72
        .size:           8
        .value_kind:     by_value
      - .address_space:  global
        .offset:         80
        .size:           8
        .value_kind:     global_buffer
      - .offset:         88
        .size:           4
        .value_kind:     by_value
      - .offset:         92
        .size:           1
        .value_kind:     by_value
    .group_segment_fixed_size: 0
    .kernarg_segment_align: 8
    .kernarg_segment_size: 96
    .language:       OpenCL C
    .language_version:
      - 2
      - 0
    .max_flat_workgroup_size: 128
    .name:           _ZN9rocsparseL18bsrxmvn_4x4_kernelILj128ELj8EdlifddEEvT3_20rocsparse_direction_NS_24const_host_device_scalarIT1_EES1_PKS1_PKT2_SA_S7_PKT4_PKT5_S5_PT6_21rocsparse_index_base_b
    .private_segment_fixed_size: 0
    .sgpr_count:     26
    .sgpr_spill_count: 0
    .symbol:         _ZN9rocsparseL18bsrxmvn_4x4_kernelILj128ELj8EdlifddEEvT3_20rocsparse_direction_NS_24const_host_device_scalarIT1_EES1_PKS1_PKT2_SA_S7_PKT4_PKT5_S5_PT6_21rocsparse_index_base_b.kd
    .uniform_work_group_size: 1
    .uses_dynamic_stack: false
    .vgpr_count:     118
    .vgpr_spill_count: 0
    .wavefront_size: 64
  - .agpr_count:     0
    .args:
      - .offset:         0
        .size:           4
        .value_kind:     by_value
      - .offset:         4
        .size:           4
        .value_kind:     by_value
      - .offset:         8
        .size:           8
        .value_kind:     by_value
      - .offset:         16
        .size:           4
        .value_kind:     by_value
      - .actual_access:  read_only
        .address_space:  global
        .offset:         24
        .size:           8
        .value_kind:     global_buffer
      - .actual_access:  read_only
        .address_space:  global
        .offset:         32
        .size:           8
        .value_kind:     global_buffer
      - .actual_access:  read_only
        .address_space:  global
        .offset:         40
        .size:           8
        .value_kind:     global_buffer
      - .actual_access:  read_only
        .address_space:  global
        .offset:         48
        .size:           8
        .value_kind:     global_buffer
      - .actual_access:  read_only
        .address_space:  global
        .offset:         56
        .size:           8
        .value_kind:     global_buffer
      - .actual_access:  read_only
        .address_space:  global
        .offset:         64
        .size:           8
        .value_kind:     global_buffer
      - .offset:         72
        .size:           8
        .value_kind:     by_value
      - .address_space:  global
        .offset:         80
        .size:           8
        .value_kind:     global_buffer
      - .offset:         88
        .size:           4
        .value_kind:     by_value
      - .offset:         92
        .size:           1
        .value_kind:     by_value
    .group_segment_fixed_size: 0
    .kernarg_segment_align: 8
    .kernarg_segment_size: 96
    .language:       OpenCL C
    .language_version:
      - 2
      - 0
    .max_flat_workgroup_size: 128
    .name:           _ZN9rocsparseL18bsrxmvn_4x4_kernelILj128ELj16EdlifddEEvT3_20rocsparse_direction_NS_24const_host_device_scalarIT1_EES1_PKS1_PKT2_SA_S7_PKT4_PKT5_S5_PT6_21rocsparse_index_base_b
    .private_segment_fixed_size: 0
    .sgpr_count:     26
    .sgpr_spill_count: 0
    .symbol:         _ZN9rocsparseL18bsrxmvn_4x4_kernelILj128ELj16EdlifddEEvT3_20rocsparse_direction_NS_24const_host_device_scalarIT1_EES1_PKS1_PKT2_SA_S7_PKT4_PKT5_S5_PT6_21rocsparse_index_base_b.kd
    .uniform_work_group_size: 1
    .uses_dynamic_stack: false
    .vgpr_count:     118
    .vgpr_spill_count: 0
    .wavefront_size: 64
  - .agpr_count:     0
    .args:
      - .offset:         0
        .size:           4
        .value_kind:     by_value
      - .offset:         4
        .size:           4
        .value_kind:     by_value
      - .offset:         8
        .size:           8
        .value_kind:     by_value
      - .offset:         16
        .size:           4
        .value_kind:     by_value
      - .actual_access:  read_only
        .address_space:  global
        .offset:         24
        .size:           8
        .value_kind:     global_buffer
      - .actual_access:  read_only
        .address_space:  global
        .offset:         32
        .size:           8
        .value_kind:     global_buffer
      - .actual_access:  read_only
        .address_space:  global
        .offset:         40
        .size:           8
        .value_kind:     global_buffer
      - .actual_access:  read_only
        .address_space:  global
        .offset:         48
        .size:           8
        .value_kind:     global_buffer
      - .actual_access:  read_only
        .address_space:  global
        .offset:         56
        .size:           8
        .value_kind:     global_buffer
      - .actual_access:  read_only
        .address_space:  global
        .offset:         64
        .size:           8
        .value_kind:     global_buffer
      - .offset:         72
        .size:           8
        .value_kind:     by_value
      - .address_space:  global
        .offset:         80
        .size:           8
        .value_kind:     global_buffer
      - .offset:         88
        .size:           4
        .value_kind:     by_value
      - .offset:         92
        .size:           1
        .value_kind:     by_value
    .group_segment_fixed_size: 0
    .kernarg_segment_align: 8
    .kernarg_segment_size: 96
    .language:       OpenCL C
    .language_version:
      - 2
      - 0
    .max_flat_workgroup_size: 128
    .name:           _ZN9rocsparseL18bsrxmvn_4x4_kernelILj128ELj32EdlifddEEvT3_20rocsparse_direction_NS_24const_host_device_scalarIT1_EES1_PKS1_PKT2_SA_S7_PKT4_PKT5_S5_PT6_21rocsparse_index_base_b
    .private_segment_fixed_size: 0
    .sgpr_count:     30
    .sgpr_spill_count: 0
    .symbol:         _ZN9rocsparseL18bsrxmvn_4x4_kernelILj128ELj32EdlifddEEvT3_20rocsparse_direction_NS_24const_host_device_scalarIT1_EES1_PKS1_PKT2_SA_S7_PKT4_PKT5_S5_PT6_21rocsparse_index_base_b.kd
    .uniform_work_group_size: 1
    .uses_dynamic_stack: false
    .vgpr_count:     112
    .vgpr_spill_count: 0
    .wavefront_size: 64
  - .agpr_count:     0
    .args:
      - .offset:         0
        .size:           4
        .value_kind:     by_value
      - .offset:         4
        .size:           4
        .value_kind:     by_value
      - .offset:         8
        .size:           8
        .value_kind:     by_value
      - .offset:         16
        .size:           4
        .value_kind:     by_value
      - .actual_access:  read_only
        .address_space:  global
        .offset:         24
        .size:           8
        .value_kind:     global_buffer
      - .actual_access:  read_only
        .address_space:  global
        .offset:         32
        .size:           8
        .value_kind:     global_buffer
      - .actual_access:  read_only
        .address_space:  global
        .offset:         40
        .size:           8
        .value_kind:     global_buffer
      - .actual_access:  read_only
        .address_space:  global
        .offset:         48
        .size:           8
        .value_kind:     global_buffer
      - .actual_access:  read_only
        .address_space:  global
        .offset:         56
        .size:           8
        .value_kind:     global_buffer
      - .actual_access:  read_only
        .address_space:  global
        .offset:         64
        .size:           8
        .value_kind:     global_buffer
      - .offset:         72
        .size:           8
        .value_kind:     by_value
      - .address_space:  global
        .offset:         80
        .size:           8
        .value_kind:     global_buffer
      - .offset:         88
        .size:           4
        .value_kind:     by_value
      - .offset:         92
        .size:           1
        .value_kind:     by_value
    .group_segment_fixed_size: 0
    .kernarg_segment_align: 8
    .kernarg_segment_size: 96
    .language:       OpenCL C
    .language_version:
      - 2
      - 0
    .max_flat_workgroup_size: 128
    .name:           _ZN9rocsparseL18bsrxmvn_4x4_kernelILj128ELj64EdlifddEEvT3_20rocsparse_direction_NS_24const_host_device_scalarIT1_EES1_PKS1_PKT2_SA_S7_PKT4_PKT5_S5_PT6_21rocsparse_index_base_b
    .private_segment_fixed_size: 0
    .sgpr_count:     35
    .sgpr_spill_count: 0
    .symbol:         _ZN9rocsparseL18bsrxmvn_4x4_kernelILj128ELj64EdlifddEEvT3_20rocsparse_direction_NS_24const_host_device_scalarIT1_EES1_PKS1_PKT2_SA_S7_PKT4_PKT5_S5_PT6_21rocsparse_index_base_b.kd
    .uniform_work_group_size: 1
    .uses_dynamic_stack: false
    .vgpr_count:     118
    .vgpr_spill_count: 0
    .wavefront_size: 64
  - .agpr_count:     0
    .args:
      - .offset:         0
        .size:           8
        .value_kind:     by_value
      - .offset:         8
        .size:           4
        .value_kind:     by_value
      - .offset:         16
        .size:           8
        .value_kind:     by_value
      - .offset:         24
        .size:           8
        .value_kind:     by_value
      - .actual_access:  read_only
        .address_space:  global
        .offset:         32
        .size:           8
        .value_kind:     global_buffer
      - .actual_access:  read_only
        .address_space:  global
        .offset:         40
        .size:           8
        .value_kind:     global_buffer
      - .actual_access:  read_only
        .address_space:  global
        .offset:         48
        .size:           8
        .value_kind:     global_buffer
      - .actual_access:  read_only
        .address_space:  global
        .offset:         56
        .size:           8
        .value_kind:     global_buffer
      - .actual_access:  read_only
        .address_space:  global
        .offset:         64
        .size:           8
        .value_kind:     global_buffer
      - .actual_access:  read_only
        .address_space:  global
        .offset:         72
        .size:           8
        .value_kind:     global_buffer
      - .offset:         80
        .size:           8
        .value_kind:     by_value
      - .address_space:  global
        .offset:         88
        .size:           8
        .value_kind:     global_buffer
      - .offset:         96
        .size:           4
        .value_kind:     by_value
      - .offset:         100
        .size:           1
        .value_kind:     by_value
    .group_segment_fixed_size: 0
    .kernarg_segment_align: 8
    .kernarg_segment_size: 104
    .language:       OpenCL C
    .language_version:
      - 2
      - 0
    .max_flat_workgroup_size: 128
    .name:           _ZN9rocsparseL18bsrxmvn_4x4_kernelILj128ELj4EdllfddEEvT3_20rocsparse_direction_NS_24const_host_device_scalarIT1_EES1_PKS1_PKT2_SA_S7_PKT4_PKT5_S5_PT6_21rocsparse_index_base_b
    .private_segment_fixed_size: 0
    .sgpr_count:     24
    .sgpr_spill_count: 0
    .symbol:         _ZN9rocsparseL18bsrxmvn_4x4_kernelILj128ELj4EdllfddEEvT3_20rocsparse_direction_NS_24const_host_device_scalarIT1_EES1_PKS1_PKT2_SA_S7_PKT4_PKT5_S5_PT6_21rocsparse_index_base_b.kd
    .uniform_work_group_size: 1
    .uses_dynamic_stack: false
    .vgpr_count:     116
    .vgpr_spill_count: 0
    .wavefront_size: 64
  - .agpr_count:     0
    .args:
      - .offset:         0
        .size:           8
        .value_kind:     by_value
      - .offset:         8
        .size:           4
        .value_kind:     by_value
      - .offset:         16
        .size:           8
        .value_kind:     by_value
      - .offset:         24
        .size:           8
        .value_kind:     by_value
      - .actual_access:  read_only
        .address_space:  global
        .offset:         32
        .size:           8
        .value_kind:     global_buffer
      - .actual_access:  read_only
        .address_space:  global
        .offset:         40
        .size:           8
        .value_kind:     global_buffer
      - .actual_access:  read_only
        .address_space:  global
        .offset:         48
        .size:           8
        .value_kind:     global_buffer
      - .actual_access:  read_only
        .address_space:  global
        .offset:         56
        .size:           8
        .value_kind:     global_buffer
      - .actual_access:  read_only
        .address_space:  global
        .offset:         64
        .size:           8
        .value_kind:     global_buffer
      - .actual_access:  read_only
        .address_space:  global
        .offset:         72
        .size:           8
        .value_kind:     global_buffer
      - .offset:         80
        .size:           8
        .value_kind:     by_value
      - .address_space:  global
        .offset:         88
        .size:           8
        .value_kind:     global_buffer
      - .offset:         96
        .size:           4
        .value_kind:     by_value
      - .offset:         100
        .size:           1
        .value_kind:     by_value
    .group_segment_fixed_size: 0
    .kernarg_segment_align: 8
    .kernarg_segment_size: 104
    .language:       OpenCL C
    .language_version:
      - 2
      - 0
    .max_flat_workgroup_size: 128
    .name:           _ZN9rocsparseL18bsrxmvn_4x4_kernelILj128ELj8EdllfddEEvT3_20rocsparse_direction_NS_24const_host_device_scalarIT1_EES1_PKS1_PKT2_SA_S7_PKT4_PKT5_S5_PT6_21rocsparse_index_base_b
    .private_segment_fixed_size: 0
    .sgpr_count:     24
    .sgpr_spill_count: 0
    .symbol:         _ZN9rocsparseL18bsrxmvn_4x4_kernelILj128ELj8EdllfddEEvT3_20rocsparse_direction_NS_24const_host_device_scalarIT1_EES1_PKS1_PKT2_SA_S7_PKT4_PKT5_S5_PT6_21rocsparse_index_base_b.kd
    .uniform_work_group_size: 1
    .uses_dynamic_stack: false
    .vgpr_count:     116
    .vgpr_spill_count: 0
    .wavefront_size: 64
  - .agpr_count:     0
    .args:
      - .offset:         0
        .size:           8
        .value_kind:     by_value
      - .offset:         8
        .size:           4
        .value_kind:     by_value
      - .offset:         16
        .size:           8
        .value_kind:     by_value
      - .offset:         24
        .size:           8
        .value_kind:     by_value
      - .actual_access:  read_only
        .address_space:  global
        .offset:         32
        .size:           8
        .value_kind:     global_buffer
      - .actual_access:  read_only
        .address_space:  global
        .offset:         40
        .size:           8
        .value_kind:     global_buffer
      - .actual_access:  read_only
        .address_space:  global
        .offset:         48
        .size:           8
        .value_kind:     global_buffer
      - .actual_access:  read_only
        .address_space:  global
        .offset:         56
        .size:           8
        .value_kind:     global_buffer
      - .actual_access:  read_only
        .address_space:  global
        .offset:         64
        .size:           8
        .value_kind:     global_buffer
      - .actual_access:  read_only
        .address_space:  global
        .offset:         72
        .size:           8
        .value_kind:     global_buffer
      - .offset:         80
        .size:           8
        .value_kind:     by_value
      - .address_space:  global
        .offset:         88
        .size:           8
        .value_kind:     global_buffer
      - .offset:         96
        .size:           4
        .value_kind:     by_value
      - .offset:         100
        .size:           1
        .value_kind:     by_value
    .group_segment_fixed_size: 0
    .kernarg_segment_align: 8
    .kernarg_segment_size: 104
    .language:       OpenCL C
    .language_version:
      - 2
      - 0
    .max_flat_workgroup_size: 128
    .name:           _ZN9rocsparseL18bsrxmvn_4x4_kernelILj128ELj16EdllfddEEvT3_20rocsparse_direction_NS_24const_host_device_scalarIT1_EES1_PKS1_PKT2_SA_S7_PKT4_PKT5_S5_PT6_21rocsparse_index_base_b
    .private_segment_fixed_size: 0
    .sgpr_count:     24
    .sgpr_spill_count: 0
    .symbol:         _ZN9rocsparseL18bsrxmvn_4x4_kernelILj128ELj16EdllfddEEvT3_20rocsparse_direction_NS_24const_host_device_scalarIT1_EES1_PKS1_PKT2_SA_S7_PKT4_PKT5_S5_PT6_21rocsparse_index_base_b.kd
    .uniform_work_group_size: 1
    .uses_dynamic_stack: false
    .vgpr_count:     116
    .vgpr_spill_count: 0
    .wavefront_size: 64
  - .agpr_count:     0
    .args:
      - .offset:         0
        .size:           8
        .value_kind:     by_value
      - .offset:         8
        .size:           4
        .value_kind:     by_value
      - .offset:         16
        .size:           8
        .value_kind:     by_value
      - .offset:         24
        .size:           8
        .value_kind:     by_value
      - .actual_access:  read_only
        .address_space:  global
        .offset:         32
        .size:           8
        .value_kind:     global_buffer
      - .actual_access:  read_only
        .address_space:  global
        .offset:         40
        .size:           8
        .value_kind:     global_buffer
      - .actual_access:  read_only
        .address_space:  global
        .offset:         48
        .size:           8
        .value_kind:     global_buffer
      - .actual_access:  read_only
        .address_space:  global
        .offset:         56
        .size:           8
        .value_kind:     global_buffer
      - .actual_access:  read_only
        .address_space:  global
        .offset:         64
        .size:           8
        .value_kind:     global_buffer
      - .actual_access:  read_only
        .address_space:  global
        .offset:         72
        .size:           8
        .value_kind:     global_buffer
      - .offset:         80
        .size:           8
        .value_kind:     by_value
      - .address_space:  global
        .offset:         88
        .size:           8
        .value_kind:     global_buffer
      - .offset:         96
        .size:           4
        .value_kind:     by_value
      - .offset:         100
        .size:           1
        .value_kind:     by_value
    .group_segment_fixed_size: 0
    .kernarg_segment_align: 8
    .kernarg_segment_size: 104
    .language:       OpenCL C
    .language_version:
      - 2
      - 0
    .max_flat_workgroup_size: 128
    .name:           _ZN9rocsparseL18bsrxmvn_4x4_kernelILj128ELj32EdllfddEEvT3_20rocsparse_direction_NS_24const_host_device_scalarIT1_EES1_PKS1_PKT2_SA_S7_PKT4_PKT5_S5_PT6_21rocsparse_index_base_b
    .private_segment_fixed_size: 0
    .sgpr_count:     29
    .sgpr_spill_count: 0
    .symbol:         _ZN9rocsparseL18bsrxmvn_4x4_kernelILj128ELj32EdllfddEEvT3_20rocsparse_direction_NS_24const_host_device_scalarIT1_EES1_PKS1_PKT2_SA_S7_PKT4_PKT5_S5_PT6_21rocsparse_index_base_b.kd
    .uniform_work_group_size: 1
    .uses_dynamic_stack: false
    .vgpr_count:     110
    .vgpr_spill_count: 0
    .wavefront_size: 64
  - .agpr_count:     0
    .args:
      - .offset:         0
        .size:           8
        .value_kind:     by_value
      - .offset:         8
        .size:           4
        .value_kind:     by_value
      - .offset:         16
        .size:           8
        .value_kind:     by_value
      - .offset:         24
        .size:           8
        .value_kind:     by_value
      - .actual_access:  read_only
        .address_space:  global
        .offset:         32
        .size:           8
        .value_kind:     global_buffer
      - .actual_access:  read_only
        .address_space:  global
        .offset:         40
        .size:           8
        .value_kind:     global_buffer
      - .actual_access:  read_only
        .address_space:  global
        .offset:         48
        .size:           8
        .value_kind:     global_buffer
      - .actual_access:  read_only
        .address_space:  global
        .offset:         56
        .size:           8
        .value_kind:     global_buffer
      - .actual_access:  read_only
        .address_space:  global
        .offset:         64
        .size:           8
        .value_kind:     global_buffer
      - .actual_access:  read_only
        .address_space:  global
        .offset:         72
        .size:           8
        .value_kind:     global_buffer
      - .offset:         80
        .size:           8
        .value_kind:     by_value
      - .address_space:  global
        .offset:         88
        .size:           8
        .value_kind:     global_buffer
      - .offset:         96
        .size:           4
        .value_kind:     by_value
      - .offset:         100
        .size:           1
        .value_kind:     by_value
    .group_segment_fixed_size: 0
    .kernarg_segment_align: 8
    .kernarg_segment_size: 104
    .language:       OpenCL C
    .language_version:
      - 2
      - 0
    .max_flat_workgroup_size: 128
    .name:           _ZN9rocsparseL18bsrxmvn_4x4_kernelILj128ELj64EdllfddEEvT3_20rocsparse_direction_NS_24const_host_device_scalarIT1_EES1_PKS1_PKT2_SA_S7_PKT4_PKT5_S5_PT6_21rocsparse_index_base_b
    .private_segment_fixed_size: 0
    .sgpr_count:     36
    .sgpr_spill_count: 0
    .symbol:         _ZN9rocsparseL18bsrxmvn_4x4_kernelILj128ELj64EdllfddEEvT3_20rocsparse_direction_NS_24const_host_device_scalarIT1_EES1_PKS1_PKT2_SA_S7_PKT4_PKT5_S5_PT6_21rocsparse_index_base_b.kd
    .uniform_work_group_size: 1
    .uses_dynamic_stack: false
    .vgpr_count:     116
    .vgpr_spill_count: 0
    .wavefront_size: 64
  - .agpr_count:     0
    .args:
      - .offset:         0
        .size:           4
        .value_kind:     by_value
      - .offset:         4
        .size:           4
        .value_kind:     by_value
      - .offset:         8
        .size:           16
        .value_kind:     by_value
      - .offset:         24
        .size:           4
        .value_kind:     by_value
      - .actual_access:  read_only
        .address_space:  global
        .offset:         32
        .size:           8
        .value_kind:     global_buffer
      - .actual_access:  read_only
        .address_space:  global
        .offset:         40
        .size:           8
        .value_kind:     global_buffer
      - .actual_access:  read_only
        .address_space:  global
        .offset:         48
        .size:           8
        .value_kind:     global_buffer
      - .actual_access:  read_only
        .address_space:  global
        .offset:         56
        .size:           8
        .value_kind:     global_buffer
      - .actual_access:  read_only
        .address_space:  global
        .offset:         64
        .size:           8
        .value_kind:     global_buffer
      - .actual_access:  read_only
        .address_space:  global
        .offset:         72
        .size:           8
        .value_kind:     global_buffer
      - .offset:         80
        .size:           16
        .value_kind:     by_value
      - .address_space:  global
        .offset:         96
        .size:           8
        .value_kind:     global_buffer
      - .offset:         104
        .size:           4
        .value_kind:     by_value
      - .offset:         108
        .size:           1
        .value_kind:     by_value
    .group_segment_fixed_size: 0
    .kernarg_segment_align: 8
    .kernarg_segment_size: 112
    .language:       OpenCL C
    .language_version:
      - 2
      - 0
    .max_flat_workgroup_size: 128
    .name:           _ZN9rocsparseL18bsrxmvn_4x4_kernelILj128ELj4E21rocsparse_complex_numIdEiiS1_IfES2_S2_EEvT3_20rocsparse_direction_NS_24const_host_device_scalarIT1_EES4_PKS4_PKT2_SD_SA_PKT4_PKT5_S8_PT6_21rocsparse_index_base_b
    .private_segment_fixed_size: 0
    .sgpr_count:     24
    .sgpr_spill_count: 0
    .symbol:         _ZN9rocsparseL18bsrxmvn_4x4_kernelILj128ELj4E21rocsparse_complex_numIdEiiS1_IfES2_S2_EEvT3_20rocsparse_direction_NS_24const_host_device_scalarIT1_EES4_PKS4_PKT2_SD_SA_PKT4_PKT5_S8_PT6_21rocsparse_index_base_b.kd
    .uniform_work_group_size: 1
    .uses_dynamic_stack: false
    .vgpr_count:     118
    .vgpr_spill_count: 0
    .wavefront_size: 64
  - .agpr_count:     0
    .args:
      - .offset:         0
        .size:           4
        .value_kind:     by_value
      - .offset:         4
        .size:           4
        .value_kind:     by_value
      - .offset:         8
        .size:           16
        .value_kind:     by_value
      - .offset:         24
        .size:           4
        .value_kind:     by_value
      - .actual_access:  read_only
        .address_space:  global
        .offset:         32
        .size:           8
        .value_kind:     global_buffer
      - .actual_access:  read_only
        .address_space:  global
        .offset:         40
        .size:           8
        .value_kind:     global_buffer
      - .actual_access:  read_only
        .address_space:  global
        .offset:         48
        .size:           8
        .value_kind:     global_buffer
      - .actual_access:  read_only
        .address_space:  global
        .offset:         56
        .size:           8
        .value_kind:     global_buffer
      - .actual_access:  read_only
        .address_space:  global
        .offset:         64
        .size:           8
        .value_kind:     global_buffer
      - .actual_access:  read_only
        .address_space:  global
        .offset:         72
        .size:           8
        .value_kind:     global_buffer
      - .offset:         80
        .size:           16
        .value_kind:     by_value
      - .address_space:  global
        .offset:         96
        .size:           8
        .value_kind:     global_buffer
      - .offset:         104
        .size:           4
        .value_kind:     by_value
      - .offset:         108
        .size:           1
        .value_kind:     by_value
    .group_segment_fixed_size: 0
    .kernarg_segment_align: 8
    .kernarg_segment_size: 112
    .language:       OpenCL C
    .language_version:
      - 2
      - 0
    .max_flat_workgroup_size: 128
    .name:           _ZN9rocsparseL18bsrxmvn_4x4_kernelILj128ELj8E21rocsparse_complex_numIdEiiS1_IfES2_S2_EEvT3_20rocsparse_direction_NS_24const_host_device_scalarIT1_EES4_PKS4_PKT2_SD_SA_PKT4_PKT5_S8_PT6_21rocsparse_index_base_b
    .private_segment_fixed_size: 0
    .sgpr_count:     24
    .sgpr_spill_count: 0
    .symbol:         _ZN9rocsparseL18bsrxmvn_4x4_kernelILj128ELj8E21rocsparse_complex_numIdEiiS1_IfES2_S2_EEvT3_20rocsparse_direction_NS_24const_host_device_scalarIT1_EES4_PKS4_PKT2_SD_SA_PKT4_PKT5_S8_PT6_21rocsparse_index_base_b.kd
    .uniform_work_group_size: 1
    .uses_dynamic_stack: false
    .vgpr_count:     118
    .vgpr_spill_count: 0
    .wavefront_size: 64
  - .agpr_count:     0
    .args:
      - .offset:         0
        .size:           4
        .value_kind:     by_value
      - .offset:         4
        .size:           4
        .value_kind:     by_value
      - .offset:         8
        .size:           16
        .value_kind:     by_value
      - .offset:         24
        .size:           4
        .value_kind:     by_value
      - .actual_access:  read_only
        .address_space:  global
        .offset:         32
        .size:           8
        .value_kind:     global_buffer
      - .actual_access:  read_only
        .address_space:  global
        .offset:         40
        .size:           8
        .value_kind:     global_buffer
      - .actual_access:  read_only
        .address_space:  global
        .offset:         48
        .size:           8
        .value_kind:     global_buffer
      - .actual_access:  read_only
        .address_space:  global
        .offset:         56
        .size:           8
        .value_kind:     global_buffer
      - .actual_access:  read_only
        .address_space:  global
        .offset:         64
        .size:           8
        .value_kind:     global_buffer
      - .actual_access:  read_only
        .address_space:  global
        .offset:         72
        .size:           8
        .value_kind:     global_buffer
      - .offset:         80
        .size:           16
        .value_kind:     by_value
      - .address_space:  global
        .offset:         96
        .size:           8
        .value_kind:     global_buffer
      - .offset:         104
        .size:           4
        .value_kind:     by_value
      - .offset:         108
        .size:           1
        .value_kind:     by_value
    .group_segment_fixed_size: 0
    .kernarg_segment_align: 8
    .kernarg_segment_size: 112
    .language:       OpenCL C
    .language_version:
      - 2
      - 0
    .max_flat_workgroup_size: 128
    .name:           _ZN9rocsparseL18bsrxmvn_4x4_kernelILj128ELj16E21rocsparse_complex_numIdEiiS1_IfES2_S2_EEvT3_20rocsparse_direction_NS_24const_host_device_scalarIT1_EES4_PKS4_PKT2_SD_SA_PKT4_PKT5_S8_PT6_21rocsparse_index_base_b
    .private_segment_fixed_size: 0
    .sgpr_count:     26
    .sgpr_spill_count: 0
    .symbol:         _ZN9rocsparseL18bsrxmvn_4x4_kernelILj128ELj16E21rocsparse_complex_numIdEiiS1_IfES2_S2_EEvT3_20rocsparse_direction_NS_24const_host_device_scalarIT1_EES4_PKS4_PKT2_SD_SA_PKT4_PKT5_S8_PT6_21rocsparse_index_base_b.kd
    .uniform_work_group_size: 1
    .uses_dynamic_stack: false
    .vgpr_count:     118
    .vgpr_spill_count: 0
    .wavefront_size: 64
  - .agpr_count:     0
    .args:
      - .offset:         0
        .size:           4
        .value_kind:     by_value
      - .offset:         4
        .size:           4
        .value_kind:     by_value
      - .offset:         8
        .size:           16
        .value_kind:     by_value
      - .offset:         24
        .size:           4
        .value_kind:     by_value
      - .actual_access:  read_only
        .address_space:  global
        .offset:         32
        .size:           8
        .value_kind:     global_buffer
      - .actual_access:  read_only
        .address_space:  global
        .offset:         40
        .size:           8
        .value_kind:     global_buffer
      - .actual_access:  read_only
        .address_space:  global
        .offset:         48
        .size:           8
        .value_kind:     global_buffer
      - .actual_access:  read_only
        .address_space:  global
        .offset:         56
        .size:           8
        .value_kind:     global_buffer
      - .actual_access:  read_only
        .address_space:  global
        .offset:         64
        .size:           8
        .value_kind:     global_buffer
      - .actual_access:  read_only
        .address_space:  global
        .offset:         72
        .size:           8
        .value_kind:     global_buffer
      - .offset:         80
        .size:           16
        .value_kind:     by_value
      - .address_space:  global
        .offset:         96
        .size:           8
        .value_kind:     global_buffer
      - .offset:         104
        .size:           4
        .value_kind:     by_value
      - .offset:         108
        .size:           1
        .value_kind:     by_value
    .group_segment_fixed_size: 0
    .kernarg_segment_align: 8
    .kernarg_segment_size: 112
    .language:       OpenCL C
    .language_version:
      - 2
      - 0
    .max_flat_workgroup_size: 128
    .name:           _ZN9rocsparseL18bsrxmvn_4x4_kernelILj128ELj32E21rocsparse_complex_numIdEiiS1_IfES2_S2_EEvT3_20rocsparse_direction_NS_24const_host_device_scalarIT1_EES4_PKS4_PKT2_SD_SA_PKT4_PKT5_S8_PT6_21rocsparse_index_base_b
    .private_segment_fixed_size: 0
    .sgpr_count:     31
    .sgpr_spill_count: 0
    .symbol:         _ZN9rocsparseL18bsrxmvn_4x4_kernelILj128ELj32E21rocsparse_complex_numIdEiiS1_IfES2_S2_EEvT3_20rocsparse_direction_NS_24const_host_device_scalarIT1_EES4_PKS4_PKT2_SD_SA_PKT4_PKT5_S8_PT6_21rocsparse_index_base_b.kd
    .uniform_work_group_size: 1
    .uses_dynamic_stack: false
    .vgpr_count:     118
    .vgpr_spill_count: 0
    .wavefront_size: 64
  - .agpr_count:     0
    .args:
      - .offset:         0
        .size:           4
        .value_kind:     by_value
      - .offset:         4
        .size:           4
        .value_kind:     by_value
      - .offset:         8
        .size:           16
        .value_kind:     by_value
      - .offset:         24
        .size:           4
        .value_kind:     by_value
      - .actual_access:  read_only
        .address_space:  global
        .offset:         32
        .size:           8
        .value_kind:     global_buffer
      - .actual_access:  read_only
        .address_space:  global
        .offset:         40
        .size:           8
        .value_kind:     global_buffer
      - .actual_access:  read_only
        .address_space:  global
        .offset:         48
        .size:           8
        .value_kind:     global_buffer
      - .actual_access:  read_only
        .address_space:  global
        .offset:         56
        .size:           8
        .value_kind:     global_buffer
      - .actual_access:  read_only
        .address_space:  global
        .offset:         64
        .size:           8
        .value_kind:     global_buffer
      - .actual_access:  read_only
        .address_space:  global
        .offset:         72
        .size:           8
        .value_kind:     global_buffer
      - .offset:         80
        .size:           16
        .value_kind:     by_value
      - .address_space:  global
        .offset:         96
        .size:           8
        .value_kind:     global_buffer
      - .offset:         104
        .size:           4
        .value_kind:     by_value
      - .offset:         108
        .size:           1
        .value_kind:     by_value
    .group_segment_fixed_size: 0
    .kernarg_segment_align: 8
    .kernarg_segment_size: 112
    .language:       OpenCL C
    .language_version:
      - 2
      - 0
    .max_flat_workgroup_size: 128
    .name:           _ZN9rocsparseL18bsrxmvn_4x4_kernelILj128ELj64E21rocsparse_complex_numIdEiiS1_IfES2_S2_EEvT3_20rocsparse_direction_NS_24const_host_device_scalarIT1_EES4_PKS4_PKT2_SD_SA_PKT4_PKT5_S8_PT6_21rocsparse_index_base_b
    .private_segment_fixed_size: 0
    .sgpr_count:     32
    .sgpr_spill_count: 0
    .symbol:         _ZN9rocsparseL18bsrxmvn_4x4_kernelILj128ELj64E21rocsparse_complex_numIdEiiS1_IfES2_S2_EEvT3_20rocsparse_direction_NS_24const_host_device_scalarIT1_EES4_PKS4_PKT2_SD_SA_PKT4_PKT5_S8_PT6_21rocsparse_index_base_b.kd
    .uniform_work_group_size: 1
    .uses_dynamic_stack: false
    .vgpr_count:     118
    .vgpr_spill_count: 0
    .wavefront_size: 64
  - .agpr_count:     0
    .args:
      - .offset:         0
        .size:           4
        .value_kind:     by_value
      - .offset:         4
        .size:           4
        .value_kind:     by_value
      - .offset:         8
        .size:           16
        .value_kind:     by_value
      - .offset:         24
        .size:           4
        .value_kind:     by_value
      - .actual_access:  read_only
        .address_space:  global
        .offset:         32
        .size:           8
        .value_kind:     global_buffer
      - .actual_access:  read_only
        .address_space:  global
        .offset:         40
        .size:           8
        .value_kind:     global_buffer
      - .actual_access:  read_only
        .address_space:  global
        .offset:         48
        .size:           8
        .value_kind:     global_buffer
      - .actual_access:  read_only
        .address_space:  global
        .offset:         56
        .size:           8
        .value_kind:     global_buffer
      - .actual_access:  read_only
        .address_space:  global
        .offset:         64
        .size:           8
        .value_kind:     global_buffer
      - .actual_access:  read_only
        .address_space:  global
        .offset:         72
        .size:           8
        .value_kind:     global_buffer
      - .offset:         80
        .size:           16
        .value_kind:     by_value
      - .address_space:  global
        .offset:         96
        .size:           8
        .value_kind:     global_buffer
      - .offset:         104
        .size:           4
        .value_kind:     by_value
      - .offset:         108
        .size:           1
        .value_kind:     by_value
    .group_segment_fixed_size: 0
    .kernarg_segment_align: 8
    .kernarg_segment_size: 112
    .language:       OpenCL C
    .language_version:
      - 2
      - 0
    .max_flat_workgroup_size: 128
    .name:           _ZN9rocsparseL18bsrxmvn_4x4_kernelILj128ELj4E21rocsparse_complex_numIdEliS1_IfES2_S2_EEvT3_20rocsparse_direction_NS_24const_host_device_scalarIT1_EES4_PKS4_PKT2_SD_SA_PKT4_PKT5_S8_PT6_21rocsparse_index_base_b
    .private_segment_fixed_size: 0
    .sgpr_count:     24
    .sgpr_spill_count: 0
    .symbol:         _ZN9rocsparseL18bsrxmvn_4x4_kernelILj128ELj4E21rocsparse_complex_numIdEliS1_IfES2_S2_EEvT3_20rocsparse_direction_NS_24const_host_device_scalarIT1_EES4_PKS4_PKT2_SD_SA_PKT4_PKT5_S8_PT6_21rocsparse_index_base_b.kd
    .uniform_work_group_size: 1
    .uses_dynamic_stack: false
    .vgpr_count:     126
    .vgpr_spill_count: 0
    .wavefront_size: 64
  - .agpr_count:     0
    .args:
      - .offset:         0
        .size:           4
        .value_kind:     by_value
      - .offset:         4
        .size:           4
        .value_kind:     by_value
      - .offset:         8
        .size:           16
        .value_kind:     by_value
      - .offset:         24
        .size:           4
        .value_kind:     by_value
      - .actual_access:  read_only
        .address_space:  global
        .offset:         32
        .size:           8
        .value_kind:     global_buffer
      - .actual_access:  read_only
        .address_space:  global
        .offset:         40
        .size:           8
        .value_kind:     global_buffer
      - .actual_access:  read_only
        .address_space:  global
        .offset:         48
        .size:           8
        .value_kind:     global_buffer
      - .actual_access:  read_only
        .address_space:  global
        .offset:         56
        .size:           8
        .value_kind:     global_buffer
      - .actual_access:  read_only
        .address_space:  global
        .offset:         64
        .size:           8
        .value_kind:     global_buffer
      - .actual_access:  read_only
        .address_space:  global
        .offset:         72
        .size:           8
        .value_kind:     global_buffer
      - .offset:         80
        .size:           16
        .value_kind:     by_value
      - .address_space:  global
        .offset:         96
        .size:           8
        .value_kind:     global_buffer
      - .offset:         104
        .size:           4
        .value_kind:     by_value
      - .offset:         108
        .size:           1
        .value_kind:     by_value
    .group_segment_fixed_size: 0
    .kernarg_segment_align: 8
    .kernarg_segment_size: 112
    .language:       OpenCL C
    .language_version:
      - 2
      - 0
    .max_flat_workgroup_size: 128
    .name:           _ZN9rocsparseL18bsrxmvn_4x4_kernelILj128ELj8E21rocsparse_complex_numIdEliS1_IfES2_S2_EEvT3_20rocsparse_direction_NS_24const_host_device_scalarIT1_EES4_PKS4_PKT2_SD_SA_PKT4_PKT5_S8_PT6_21rocsparse_index_base_b
    .private_segment_fixed_size: 0
    .sgpr_count:     26
    .sgpr_spill_count: 0
    .symbol:         _ZN9rocsparseL18bsrxmvn_4x4_kernelILj128ELj8E21rocsparse_complex_numIdEliS1_IfES2_S2_EEvT3_20rocsparse_direction_NS_24const_host_device_scalarIT1_EES4_PKS4_PKT2_SD_SA_PKT4_PKT5_S8_PT6_21rocsparse_index_base_b.kd
    .uniform_work_group_size: 1
    .uses_dynamic_stack: false
    .vgpr_count:     126
    .vgpr_spill_count: 0
    .wavefront_size: 64
  - .agpr_count:     0
    .args:
      - .offset:         0
        .size:           4
        .value_kind:     by_value
      - .offset:         4
        .size:           4
        .value_kind:     by_value
      - .offset:         8
        .size:           16
        .value_kind:     by_value
      - .offset:         24
        .size:           4
        .value_kind:     by_value
      - .actual_access:  read_only
        .address_space:  global
        .offset:         32
        .size:           8
        .value_kind:     global_buffer
      - .actual_access:  read_only
        .address_space:  global
        .offset:         40
        .size:           8
        .value_kind:     global_buffer
      - .actual_access:  read_only
        .address_space:  global
        .offset:         48
        .size:           8
        .value_kind:     global_buffer
      - .actual_access:  read_only
        .address_space:  global
        .offset:         56
        .size:           8
        .value_kind:     global_buffer
      - .actual_access:  read_only
        .address_space:  global
        .offset:         64
        .size:           8
        .value_kind:     global_buffer
      - .actual_access:  read_only
        .address_space:  global
        .offset:         72
        .size:           8
        .value_kind:     global_buffer
      - .offset:         80
        .size:           16
        .value_kind:     by_value
      - .address_space:  global
        .offset:         96
        .size:           8
        .value_kind:     global_buffer
      - .offset:         104
        .size:           4
        .value_kind:     by_value
      - .offset:         108
        .size:           1
        .value_kind:     by_value
    .group_segment_fixed_size: 0
    .kernarg_segment_align: 8
    .kernarg_segment_size: 112
    .language:       OpenCL C
    .language_version:
      - 2
      - 0
    .max_flat_workgroup_size: 128
    .name:           _ZN9rocsparseL18bsrxmvn_4x4_kernelILj128ELj16E21rocsparse_complex_numIdEliS1_IfES2_S2_EEvT3_20rocsparse_direction_NS_24const_host_device_scalarIT1_EES4_PKS4_PKT2_SD_SA_PKT4_PKT5_S8_PT6_21rocsparse_index_base_b
    .private_segment_fixed_size: 0
    .sgpr_count:     28
    .sgpr_spill_count: 0
    .symbol:         _ZN9rocsparseL18bsrxmvn_4x4_kernelILj128ELj16E21rocsparse_complex_numIdEliS1_IfES2_S2_EEvT3_20rocsparse_direction_NS_24const_host_device_scalarIT1_EES4_PKS4_PKT2_SD_SA_PKT4_PKT5_S8_PT6_21rocsparse_index_base_b.kd
    .uniform_work_group_size: 1
    .uses_dynamic_stack: false
    .vgpr_count:     126
    .vgpr_spill_count: 0
    .wavefront_size: 64
  - .agpr_count:     0
    .args:
      - .offset:         0
        .size:           4
        .value_kind:     by_value
      - .offset:         4
        .size:           4
        .value_kind:     by_value
      - .offset:         8
        .size:           16
        .value_kind:     by_value
      - .offset:         24
        .size:           4
        .value_kind:     by_value
      - .actual_access:  read_only
        .address_space:  global
        .offset:         32
        .size:           8
        .value_kind:     global_buffer
      - .actual_access:  read_only
        .address_space:  global
        .offset:         40
        .size:           8
        .value_kind:     global_buffer
      - .actual_access:  read_only
        .address_space:  global
        .offset:         48
        .size:           8
        .value_kind:     global_buffer
      - .actual_access:  read_only
        .address_space:  global
        .offset:         56
        .size:           8
        .value_kind:     global_buffer
      - .actual_access:  read_only
        .address_space:  global
        .offset:         64
        .size:           8
        .value_kind:     global_buffer
      - .actual_access:  read_only
        .address_space:  global
        .offset:         72
        .size:           8
        .value_kind:     global_buffer
      - .offset:         80
        .size:           16
        .value_kind:     by_value
      - .address_space:  global
        .offset:         96
        .size:           8
        .value_kind:     global_buffer
      - .offset:         104
        .size:           4
        .value_kind:     by_value
      - .offset:         108
        .size:           1
        .value_kind:     by_value
    .group_segment_fixed_size: 0
    .kernarg_segment_align: 8
    .kernarg_segment_size: 112
    .language:       OpenCL C
    .language_version:
      - 2
      - 0
    .max_flat_workgroup_size: 128
    .name:           _ZN9rocsparseL18bsrxmvn_4x4_kernelILj128ELj32E21rocsparse_complex_numIdEliS1_IfES2_S2_EEvT3_20rocsparse_direction_NS_24const_host_device_scalarIT1_EES4_PKS4_PKT2_SD_SA_PKT4_PKT5_S8_PT6_21rocsparse_index_base_b
    .private_segment_fixed_size: 0
    .sgpr_count:     35
    .sgpr_spill_count: 0
    .symbol:         _ZN9rocsparseL18bsrxmvn_4x4_kernelILj128ELj32E21rocsparse_complex_numIdEliS1_IfES2_S2_EEvT3_20rocsparse_direction_NS_24const_host_device_scalarIT1_EES4_PKS4_PKT2_SD_SA_PKT4_PKT5_S8_PT6_21rocsparse_index_base_b.kd
    .uniform_work_group_size: 1
    .uses_dynamic_stack: false
    .vgpr_count:     126
    .vgpr_spill_count: 0
    .wavefront_size: 64
  - .agpr_count:     0
    .args:
      - .offset:         0
        .size:           4
        .value_kind:     by_value
      - .offset:         4
        .size:           4
        .value_kind:     by_value
      - .offset:         8
        .size:           16
        .value_kind:     by_value
      - .offset:         24
        .size:           4
        .value_kind:     by_value
      - .actual_access:  read_only
        .address_space:  global
        .offset:         32
        .size:           8
        .value_kind:     global_buffer
      - .actual_access:  read_only
        .address_space:  global
        .offset:         40
        .size:           8
        .value_kind:     global_buffer
      - .actual_access:  read_only
        .address_space:  global
        .offset:         48
        .size:           8
        .value_kind:     global_buffer
      - .actual_access:  read_only
        .address_space:  global
        .offset:         56
        .size:           8
        .value_kind:     global_buffer
      - .actual_access:  read_only
        .address_space:  global
        .offset:         64
        .size:           8
        .value_kind:     global_buffer
      - .actual_access:  read_only
        .address_space:  global
        .offset:         72
        .size:           8
        .value_kind:     global_buffer
      - .offset:         80
        .size:           16
        .value_kind:     by_value
      - .address_space:  global
        .offset:         96
        .size:           8
        .value_kind:     global_buffer
      - .offset:         104
        .size:           4
        .value_kind:     by_value
      - .offset:         108
        .size:           1
        .value_kind:     by_value
    .group_segment_fixed_size: 0
    .kernarg_segment_align: 8
    .kernarg_segment_size: 112
    .language:       OpenCL C
    .language_version:
      - 2
      - 0
    .max_flat_workgroup_size: 128
    .name:           _ZN9rocsparseL18bsrxmvn_4x4_kernelILj128ELj64E21rocsparse_complex_numIdEliS1_IfES2_S2_EEvT3_20rocsparse_direction_NS_24const_host_device_scalarIT1_EES4_PKS4_PKT2_SD_SA_PKT4_PKT5_S8_PT6_21rocsparse_index_base_b
    .private_segment_fixed_size: 0
    .sgpr_count:     36
    .sgpr_spill_count: 0
    .symbol:         _ZN9rocsparseL18bsrxmvn_4x4_kernelILj128ELj64E21rocsparse_complex_numIdEliS1_IfES2_S2_EEvT3_20rocsparse_direction_NS_24const_host_device_scalarIT1_EES4_PKS4_PKT2_SD_SA_PKT4_PKT5_S8_PT6_21rocsparse_index_base_b.kd
    .uniform_work_group_size: 1
    .uses_dynamic_stack: false
    .vgpr_count:     126
    .vgpr_spill_count: 0
    .wavefront_size: 64
  - .agpr_count:     0
    .args:
      - .offset:         0
        .size:           8
        .value_kind:     by_value
      - .offset:         8
        .size:           4
        .value_kind:     by_value
      - .offset:         16
        .size:           16
        .value_kind:     by_value
      - .offset:         32
        .size:           8
        .value_kind:     by_value
      - .actual_access:  read_only
        .address_space:  global
        .offset:         40
        .size:           8
        .value_kind:     global_buffer
      - .actual_access:  read_only
        .address_space:  global
        .offset:         48
        .size:           8
        .value_kind:     global_buffer
      - .actual_access:  read_only
        .address_space:  global
        .offset:         56
        .size:           8
        .value_kind:     global_buffer
      - .actual_access:  read_only
        .address_space:  global
        .offset:         64
        .size:           8
        .value_kind:     global_buffer
      - .actual_access:  read_only
        .address_space:  global
        .offset:         72
        .size:           8
        .value_kind:     global_buffer
      - .actual_access:  read_only
        .address_space:  global
        .offset:         80
        .size:           8
        .value_kind:     global_buffer
      - .offset:         88
        .size:           16
        .value_kind:     by_value
      - .address_space:  global
        .offset:         104
        .size:           8
        .value_kind:     global_buffer
      - .offset:         112
        .size:           4
        .value_kind:     by_value
      - .offset:         116
        .size:           1
        .value_kind:     by_value
    .group_segment_fixed_size: 0
    .kernarg_segment_align: 8
    .kernarg_segment_size: 120
    .language:       OpenCL C
    .language_version:
      - 2
      - 0
    .max_flat_workgroup_size: 128
    .name:           _ZN9rocsparseL18bsrxmvn_4x4_kernelILj128ELj4E21rocsparse_complex_numIdEllS1_IfES2_S2_EEvT3_20rocsparse_direction_NS_24const_host_device_scalarIT1_EES4_PKS4_PKT2_SD_SA_PKT4_PKT5_S8_PT6_21rocsparse_index_base_b
    .private_segment_fixed_size: 0
    .sgpr_count:     24
    .sgpr_spill_count: 0
    .symbol:         _ZN9rocsparseL18bsrxmvn_4x4_kernelILj128ELj4E21rocsparse_complex_numIdEllS1_IfES2_S2_EEvT3_20rocsparse_direction_NS_24const_host_device_scalarIT1_EES4_PKS4_PKT2_SD_SA_PKT4_PKT5_S8_PT6_21rocsparse_index_base_b.kd
    .uniform_work_group_size: 1
    .uses_dynamic_stack: false
    .vgpr_count:     128
    .vgpr_spill_count: 0
    .wavefront_size: 64
  - .agpr_count:     0
    .args:
      - .offset:         0
        .size:           8
        .value_kind:     by_value
      - .offset:         8
        .size:           4
        .value_kind:     by_value
      - .offset:         16
        .size:           16
        .value_kind:     by_value
      - .offset:         32
        .size:           8
        .value_kind:     by_value
      - .actual_access:  read_only
        .address_space:  global
        .offset:         40
        .size:           8
        .value_kind:     global_buffer
      - .actual_access:  read_only
        .address_space:  global
        .offset:         48
        .size:           8
        .value_kind:     global_buffer
      - .actual_access:  read_only
        .address_space:  global
        .offset:         56
        .size:           8
        .value_kind:     global_buffer
      - .actual_access:  read_only
        .address_space:  global
        .offset:         64
        .size:           8
        .value_kind:     global_buffer
      - .actual_access:  read_only
        .address_space:  global
        .offset:         72
        .size:           8
        .value_kind:     global_buffer
      - .actual_access:  read_only
        .address_space:  global
        .offset:         80
        .size:           8
        .value_kind:     global_buffer
      - .offset:         88
        .size:           16
        .value_kind:     by_value
      - .address_space:  global
        .offset:         104
        .size:           8
        .value_kind:     global_buffer
      - .offset:         112
        .size:           4
        .value_kind:     by_value
      - .offset:         116
        .size:           1
        .value_kind:     by_value
    .group_segment_fixed_size: 0
    .kernarg_segment_align: 8
    .kernarg_segment_size: 120
    .language:       OpenCL C
    .language_version:
      - 2
      - 0
    .max_flat_workgroup_size: 128
    .name:           _ZN9rocsparseL18bsrxmvn_4x4_kernelILj128ELj8E21rocsparse_complex_numIdEllS1_IfES2_S2_EEvT3_20rocsparse_direction_NS_24const_host_device_scalarIT1_EES4_PKS4_PKT2_SD_SA_PKT4_PKT5_S8_PT6_21rocsparse_index_base_b
    .private_segment_fixed_size: 0
    .sgpr_count:     24
    .sgpr_spill_count: 0
    .symbol:         _ZN9rocsparseL18bsrxmvn_4x4_kernelILj128ELj8E21rocsparse_complex_numIdEllS1_IfES2_S2_EEvT3_20rocsparse_direction_NS_24const_host_device_scalarIT1_EES4_PKS4_PKT2_SD_SA_PKT4_PKT5_S8_PT6_21rocsparse_index_base_b.kd
    .uniform_work_group_size: 1
    .uses_dynamic_stack: false
    .vgpr_count:     128
    .vgpr_spill_count: 0
    .wavefront_size: 64
  - .agpr_count:     0
    .args:
      - .offset:         0
        .size:           8
        .value_kind:     by_value
      - .offset:         8
        .size:           4
        .value_kind:     by_value
      - .offset:         16
        .size:           16
        .value_kind:     by_value
      - .offset:         32
        .size:           8
        .value_kind:     by_value
      - .actual_access:  read_only
        .address_space:  global
        .offset:         40
        .size:           8
        .value_kind:     global_buffer
      - .actual_access:  read_only
        .address_space:  global
        .offset:         48
        .size:           8
        .value_kind:     global_buffer
      - .actual_access:  read_only
        .address_space:  global
        .offset:         56
        .size:           8
        .value_kind:     global_buffer
      - .actual_access:  read_only
        .address_space:  global
        .offset:         64
        .size:           8
        .value_kind:     global_buffer
      - .actual_access:  read_only
        .address_space:  global
        .offset:         72
        .size:           8
        .value_kind:     global_buffer
      - .actual_access:  read_only
        .address_space:  global
        .offset:         80
        .size:           8
        .value_kind:     global_buffer
      - .offset:         88
        .size:           16
        .value_kind:     by_value
      - .address_space:  global
        .offset:         104
        .size:           8
        .value_kind:     global_buffer
      - .offset:         112
        .size:           4
        .value_kind:     by_value
      - .offset:         116
        .size:           1
        .value_kind:     by_value
    .group_segment_fixed_size: 0
    .kernarg_segment_align: 8
    .kernarg_segment_size: 120
    .language:       OpenCL C
    .language_version:
      - 2
      - 0
    .max_flat_workgroup_size: 128
    .name:           _ZN9rocsparseL18bsrxmvn_4x4_kernelILj128ELj16E21rocsparse_complex_numIdEllS1_IfES2_S2_EEvT3_20rocsparse_direction_NS_24const_host_device_scalarIT1_EES4_PKS4_PKT2_SD_SA_PKT4_PKT5_S8_PT6_21rocsparse_index_base_b
    .private_segment_fixed_size: 0
    .sgpr_count:     27
    .sgpr_spill_count: 0
    .symbol:         _ZN9rocsparseL18bsrxmvn_4x4_kernelILj128ELj16E21rocsparse_complex_numIdEllS1_IfES2_S2_EEvT3_20rocsparse_direction_NS_24const_host_device_scalarIT1_EES4_PKS4_PKT2_SD_SA_PKT4_PKT5_S8_PT6_21rocsparse_index_base_b.kd
    .uniform_work_group_size: 1
    .uses_dynamic_stack: false
    .vgpr_count:     128
    .vgpr_spill_count: 0
    .wavefront_size: 64
  - .agpr_count:     0
    .args:
      - .offset:         0
        .size:           8
        .value_kind:     by_value
      - .offset:         8
        .size:           4
        .value_kind:     by_value
      - .offset:         16
        .size:           16
        .value_kind:     by_value
      - .offset:         32
        .size:           8
        .value_kind:     by_value
      - .actual_access:  read_only
        .address_space:  global
        .offset:         40
        .size:           8
        .value_kind:     global_buffer
      - .actual_access:  read_only
        .address_space:  global
        .offset:         48
        .size:           8
        .value_kind:     global_buffer
      - .actual_access:  read_only
        .address_space:  global
        .offset:         56
        .size:           8
        .value_kind:     global_buffer
      - .actual_access:  read_only
        .address_space:  global
        .offset:         64
        .size:           8
        .value_kind:     global_buffer
      - .actual_access:  read_only
        .address_space:  global
        .offset:         72
        .size:           8
        .value_kind:     global_buffer
      - .actual_access:  read_only
        .address_space:  global
        .offset:         80
        .size:           8
        .value_kind:     global_buffer
      - .offset:         88
        .size:           16
        .value_kind:     by_value
      - .address_space:  global
        .offset:         104
        .size:           8
        .value_kind:     global_buffer
      - .offset:         112
        .size:           4
        .value_kind:     by_value
      - .offset:         116
        .size:           1
        .value_kind:     by_value
    .group_segment_fixed_size: 0
    .kernarg_segment_align: 8
    .kernarg_segment_size: 120
    .language:       OpenCL C
    .language_version:
      - 2
      - 0
    .max_flat_workgroup_size: 128
    .name:           _ZN9rocsparseL18bsrxmvn_4x4_kernelILj128ELj32E21rocsparse_complex_numIdEllS1_IfES2_S2_EEvT3_20rocsparse_direction_NS_24const_host_device_scalarIT1_EES4_PKS4_PKT2_SD_SA_PKT4_PKT5_S8_PT6_21rocsparse_index_base_b
    .private_segment_fixed_size: 0
    .sgpr_count:     34
    .sgpr_spill_count: 0
    .symbol:         _ZN9rocsparseL18bsrxmvn_4x4_kernelILj128ELj32E21rocsparse_complex_numIdEllS1_IfES2_S2_EEvT3_20rocsparse_direction_NS_24const_host_device_scalarIT1_EES4_PKS4_PKT2_SD_SA_PKT4_PKT5_S8_PT6_21rocsparse_index_base_b.kd
    .uniform_work_group_size: 1
    .uses_dynamic_stack: false
    .vgpr_count:     128
    .vgpr_spill_count: 0
    .wavefront_size: 64
  - .agpr_count:     0
    .args:
      - .offset:         0
        .size:           8
        .value_kind:     by_value
      - .offset:         8
        .size:           4
        .value_kind:     by_value
      - .offset:         16
        .size:           16
        .value_kind:     by_value
      - .offset:         32
        .size:           8
        .value_kind:     by_value
      - .actual_access:  read_only
        .address_space:  global
        .offset:         40
        .size:           8
        .value_kind:     global_buffer
      - .actual_access:  read_only
        .address_space:  global
        .offset:         48
        .size:           8
        .value_kind:     global_buffer
      - .actual_access:  read_only
        .address_space:  global
        .offset:         56
        .size:           8
        .value_kind:     global_buffer
      - .actual_access:  read_only
        .address_space:  global
        .offset:         64
        .size:           8
        .value_kind:     global_buffer
      - .actual_access:  read_only
        .address_space:  global
        .offset:         72
        .size:           8
        .value_kind:     global_buffer
      - .actual_access:  read_only
        .address_space:  global
        .offset:         80
        .size:           8
        .value_kind:     global_buffer
      - .offset:         88
        .size:           16
        .value_kind:     by_value
      - .address_space:  global
        .offset:         104
        .size:           8
        .value_kind:     global_buffer
      - .offset:         112
        .size:           4
        .value_kind:     by_value
      - .offset:         116
        .size:           1
        .value_kind:     by_value
    .group_segment_fixed_size: 0
    .kernarg_segment_align: 8
    .kernarg_segment_size: 120
    .language:       OpenCL C
    .language_version:
      - 2
      - 0
    .max_flat_workgroup_size: 128
    .name:           _ZN9rocsparseL18bsrxmvn_4x4_kernelILj128ELj64E21rocsparse_complex_numIdEllS1_IfES2_S2_EEvT3_20rocsparse_direction_NS_24const_host_device_scalarIT1_EES4_PKS4_PKT2_SD_SA_PKT4_PKT5_S8_PT6_21rocsparse_index_base_b
    .private_segment_fixed_size: 0
    .sgpr_count:     35
    .sgpr_spill_count: 0
    .symbol:         _ZN9rocsparseL18bsrxmvn_4x4_kernelILj128ELj64E21rocsparse_complex_numIdEllS1_IfES2_S2_EEvT3_20rocsparse_direction_NS_24const_host_device_scalarIT1_EES4_PKS4_PKT2_SD_SA_PKT4_PKT5_S8_PT6_21rocsparse_index_base_b.kd
    .uniform_work_group_size: 1
    .uses_dynamic_stack: false
    .vgpr_count:     128
    .vgpr_spill_count: 0
    .wavefront_size: 64
amdhsa.target:   amdgcn-amd-amdhsa--gfx950
amdhsa.version:
  - 1
  - 2
...

	.end_amdgpu_metadata
